;; amdgpu-corpus repo=ROCm/rocSPARSE kind=compiled arch=gfx1100 opt=O3
	.text
	.amdgcn_target "amdgcn-amd-amdhsa--gfx1100"
	.amdhsa_code_object_version 6
	.section	.text._ZN9rocsparseL19gebsrmvn_3xn_kernelILj128ELj1ELj4EfEEvi20rocsparse_direction_NS_24const_host_device_scalarIT2_EEPKiS6_PKS3_S8_S4_PS3_21rocsparse_index_base_b,"axG",@progbits,_ZN9rocsparseL19gebsrmvn_3xn_kernelILj128ELj1ELj4EfEEvi20rocsparse_direction_NS_24const_host_device_scalarIT2_EEPKiS6_PKS3_S8_S4_PS3_21rocsparse_index_base_b,comdat
	.globl	_ZN9rocsparseL19gebsrmvn_3xn_kernelILj128ELj1ELj4EfEEvi20rocsparse_direction_NS_24const_host_device_scalarIT2_EEPKiS6_PKS3_S8_S4_PS3_21rocsparse_index_base_b ; -- Begin function _ZN9rocsparseL19gebsrmvn_3xn_kernelILj128ELj1ELj4EfEEvi20rocsparse_direction_NS_24const_host_device_scalarIT2_EEPKiS6_PKS3_S8_S4_PS3_21rocsparse_index_base_b
	.p2align	8
	.type	_ZN9rocsparseL19gebsrmvn_3xn_kernelILj128ELj1ELj4EfEEvi20rocsparse_direction_NS_24const_host_device_scalarIT2_EEPKiS6_PKS3_S8_S4_PS3_21rocsparse_index_base_b,@function
_ZN9rocsparseL19gebsrmvn_3xn_kernelILj128ELj1ELj4EfEEvi20rocsparse_direction_NS_24const_host_device_scalarIT2_EEPKiS6_PKS3_S8_S4_PS3_21rocsparse_index_base_b: ; @_ZN9rocsparseL19gebsrmvn_3xn_kernelILj128ELj1ELj4EfEEvi20rocsparse_direction_NS_24const_host_device_scalarIT2_EEPKiS6_PKS3_S8_S4_PS3_21rocsparse_index_base_b
; %bb.0:
	s_clause 0x2
	s_load_b64 s[18:19], s[0:1], 0x40
	s_load_b64 s[16:17], s[0:1], 0x8
	;; [unrolled: 1-line block ×3, first 2 shown]
	s_waitcnt lgkmcnt(0)
	s_bitcmp1_b32 s19, 0
	s_cselect_b32 s2, -1, 0
	s_delay_alu instid0(SALU_CYCLE_1)
	s_and_b32 vcc_lo, exec_lo, s2
	s_xor_b32 s2, s2, -1
	s_cbranch_vccnz .LBB0_2
; %bb.1:
	s_load_b32 s16, s[16:17], 0x0
.LBB0_2:
	s_and_not1_b32 vcc_lo, exec_lo, s2
	s_cbranch_vccnz .LBB0_4
; %bb.3:
	s_load_b32 s12, s[12:13], 0x0
.LBB0_4:
	s_waitcnt lgkmcnt(0)
	v_cmp_eq_f32_e64 s2, s16, 0
	v_cmp_eq_f32_e64 s3, s12, 1.0
	s_delay_alu instid0(VALU_DEP_1) | instskip(NEXT) | instid1(SALU_CYCLE_1)
	s_and_b32 s2, s2, s3
	s_and_b32 vcc_lo, exec_lo, s2
	s_cbranch_vccnz .LBB0_23
; %bb.5:
	s_load_b64 s[2:3], s[0:1], 0x0
	v_lshrrev_b32_e32 v1, 2, v0
	s_delay_alu instid0(VALU_DEP_1) | instskip(SKIP_1) | instid1(VALU_DEP_1)
	v_lshl_or_b32 v1, s15, 5, v1
	s_waitcnt lgkmcnt(0)
	v_cmp_gt_i32_e32 vcc_lo, s2, v1
	s_and_saveexec_b32 s2, vcc_lo
	s_cbranch_execz .LBB0_23
; %bb.6:
	s_load_b256 s[4:11], s[0:1], 0x10
	v_ashrrev_i32_e32 v2, 31, v1
	v_and_b32_e32 v0, 3, v0
	s_cmp_lg_u32 s3, 0
	s_delay_alu instid0(VALU_DEP_2) | instskip(SKIP_1) | instid1(VALU_DEP_1)
	v_lshlrev_b64 v[2:3], 2, v[1:2]
	s_waitcnt lgkmcnt(0)
	v_add_co_u32 v2, vcc_lo, s4, v2
	s_delay_alu instid0(VALU_DEP_2) | instskip(SKIP_4) | instid1(VALU_DEP_2)
	v_add_co_ci_u32_e32 v3, vcc_lo, s5, v3, vcc_lo
	global_load_b64 v[2:3], v[2:3], off
	s_waitcnt vmcnt(0)
	v_subrev_nc_u32_e32 v2, s18, v2
	v_subrev_nc_u32_e32 v10, s18, v3
	v_add_nc_u32_e32 v2, v2, v0
	s_delay_alu instid0(VALU_DEP_1)
	v_cmp_lt_i32_e64 s2, v2, v10
	s_cbranch_scc0 .LBB0_12
; %bb.7:
	v_dual_mov_b32 v7, 0 :: v_dual_mov_b32 v8, 0
	v_mov_b32_e32 v9, 0
	s_mov_b32 s3, 0
	s_and_saveexec_b32 s4, s2
	s_cbranch_execz .LBB0_11
; %bb.8:
	v_dual_mov_b32 v4, 0 :: v_dual_mov_b32 v5, v2
	v_lshl_add_u32 v3, v2, 1, v2
	s_mov_b32 s5, 0
	s_delay_alu instid0(VALU_DEP_2)
	v_mov_b32_e32 v7, v4
	v_mov_b32_e32 v8, v4
	;; [unrolled: 1-line block ×3, first 2 shown]
.LBB0_9:                                ; =>This Inner Loop Header: Depth=1
	v_ashrrev_i32_e32 v6, 31, v5
	v_lshlrev_b64 v[15:16], 2, v[3:4]
	v_dual_mov_b32 v14, v4 :: v_dual_add_nc_u32 v13, 2, v3
	v_mov_b32_e32 v17, v4
	s_delay_alu instid0(VALU_DEP_4) | instskip(SKIP_1) | instid1(VALU_DEP_4)
	v_lshlrev_b64 v[11:12], 2, v[5:6]
	v_add_nc_u32_e32 v5, 4, v5
	v_lshlrev_b64 v[13:14], 2, v[13:14]
	s_delay_alu instid0(VALU_DEP_3) | instskip(NEXT) | instid1(VALU_DEP_4)
	v_add_co_u32 v11, vcc_lo, s6, v11
	v_add_co_ci_u32_e32 v12, vcc_lo, s7, v12, vcc_lo
	v_add_co_u32 v15, vcc_lo, s8, v15
	v_add_co_ci_u32_e32 v16, vcc_lo, s9, v16, vcc_lo
	global_load_b32 v6, v[11:12], off
	v_dual_mov_b32 v12, v4 :: v_dual_add_nc_u32 v11, 1, v3
	global_load_b32 v18, v[15:16], off
	v_add_nc_u32_e32 v3, 12, v3
	v_lshlrev_b64 v[11:12], 2, v[11:12]
	s_delay_alu instid0(VALU_DEP_1) | instskip(NEXT) | instid1(VALU_DEP_2)
	v_add_co_u32 v11, vcc_lo, s8, v11
	v_add_co_ci_u32_e32 v12, vcc_lo, s9, v12, vcc_lo
	v_add_co_u32 v13, vcc_lo, s8, v13
	v_add_co_ci_u32_e32 v14, vcc_lo, s9, v14, vcc_lo
	s_waitcnt vmcnt(1)
	v_subrev_nc_u32_e32 v16, s18, v6
	s_delay_alu instid0(VALU_DEP_1) | instskip(NEXT) | instid1(VALU_DEP_1)
	v_lshlrev_b64 v[15:16], 2, v[16:17]
	v_add_co_u32 v15, vcc_lo, s10, v15
	s_delay_alu instid0(VALU_DEP_2)
	v_add_co_ci_u32_e32 v16, vcc_lo, s11, v16, vcc_lo
	s_clause 0x1
	global_load_b32 v6, v[11:12], off
	global_load_b32 v11, v[13:14], off
	;; [unrolled: 1-line block ×3, first 2 shown]
	v_cmp_ge_i32_e32 vcc_lo, v5, v10
	s_or_b32 s5, vcc_lo, s5
	s_waitcnt vmcnt(0)
	v_fmac_f32_e32 v7, v18, v12
	v_fmac_f32_e32 v9, v6, v12
	;; [unrolled: 1-line block ×3, first 2 shown]
	s_and_not1_b32 exec_lo, exec_lo, s5
	s_cbranch_execnz .LBB0_9
; %bb.10:
	s_or_b32 exec_lo, exec_lo, s5
.LBB0_11:
	s_delay_alu instid0(SALU_CYCLE_1) | instskip(NEXT) | instid1(SALU_CYCLE_1)
	s_or_b32 exec_lo, exec_lo, s4
	s_and_not1_b32 vcc_lo, exec_lo, s3
	s_cbranch_vccz .LBB0_13
	s_branch .LBB0_18
.LBB0_12:
                                        ; implicit-def: $vgpr7
                                        ; implicit-def: $vgpr8
                                        ; implicit-def: $vgpr9
.LBB0_13:
	v_dual_mov_b32 v7, 0 :: v_dual_mov_b32 v8, 0
	v_mov_b32_e32 v9, 0
	s_delay_alu instid0(VALU_DEP_3)
	s_and_saveexec_b32 s3, s2
	s_cbranch_execz .LBB0_17
; %bb.14:
	v_mov_b32_e32 v5, 0
	v_lshl_add_u32 v4, v2, 1, v2
	s_mov_b32 s2, 0
	s_delay_alu instid0(VALU_DEP_2)
	v_mov_b32_e32 v7, v5
	v_mov_b32_e32 v8, v5
	;; [unrolled: 1-line block ×3, first 2 shown]
.LBB0_15:                               ; =>This Inner Loop Header: Depth=1
	v_ashrrev_i32_e32 v3, 31, v2
	v_lshlrev_b64 v[15:16], 2, v[4:5]
	v_dual_mov_b32 v14, v5 :: v_dual_add_nc_u32 v13, 2, v4
	v_mov_b32_e32 v17, v5
	s_delay_alu instid0(VALU_DEP_4) | instskip(SKIP_1) | instid1(VALU_DEP_4)
	v_lshlrev_b64 v[11:12], 2, v[2:3]
	v_add_nc_u32_e32 v2, 4, v2
	v_lshlrev_b64 v[13:14], 2, v[13:14]
	s_delay_alu instid0(VALU_DEP_3) | instskip(NEXT) | instid1(VALU_DEP_4)
	v_add_co_u32 v11, vcc_lo, s6, v11
	v_add_co_ci_u32_e32 v12, vcc_lo, s7, v12, vcc_lo
	v_add_co_u32 v15, vcc_lo, s8, v15
	v_add_co_ci_u32_e32 v16, vcc_lo, s9, v16, vcc_lo
	global_load_b32 v3, v[11:12], off
	v_dual_mov_b32 v12, v5 :: v_dual_add_nc_u32 v11, 1, v4
	global_load_b32 v6, v[15:16], off
	v_add_nc_u32_e32 v4, 12, v4
	v_lshlrev_b64 v[11:12], 2, v[11:12]
	s_delay_alu instid0(VALU_DEP_1) | instskip(NEXT) | instid1(VALU_DEP_2)
	v_add_co_u32 v11, vcc_lo, s8, v11
	v_add_co_ci_u32_e32 v12, vcc_lo, s9, v12, vcc_lo
	v_add_co_u32 v13, vcc_lo, s8, v13
	v_add_co_ci_u32_e32 v14, vcc_lo, s9, v14, vcc_lo
	s_waitcnt vmcnt(1)
	v_subrev_nc_u32_e32 v16, s18, v3
	s_delay_alu instid0(VALU_DEP_1) | instskip(NEXT) | instid1(VALU_DEP_1)
	v_lshlrev_b64 v[15:16], 2, v[16:17]
	v_add_co_u32 v15, vcc_lo, s10, v15
	s_delay_alu instid0(VALU_DEP_2)
	v_add_co_ci_u32_e32 v16, vcc_lo, s11, v16, vcc_lo
	s_clause 0x1
	global_load_b32 v3, v[11:12], off
	global_load_b32 v11, v[13:14], off
	;; [unrolled: 1-line block ×3, first 2 shown]
	v_cmp_ge_i32_e32 vcc_lo, v2, v10
	s_or_b32 s2, vcc_lo, s2
	s_waitcnt vmcnt(0)
	v_fmac_f32_e32 v7, v6, v12
	v_fmac_f32_e32 v9, v3, v12
	;; [unrolled: 1-line block ×3, first 2 shown]
	s_and_not1_b32 exec_lo, exec_lo, s2
	s_cbranch_execnz .LBB0_15
; %bb.16:
	s_or_b32 exec_lo, exec_lo, s2
.LBB0_17:
	s_delay_alu instid0(SALU_CYCLE_1)
	s_or_b32 exec_lo, exec_lo, s3
.LBB0_18:
	v_mbcnt_lo_u32_b32 v2, -1, 0
	s_mov_b32 s2, -1
	s_delay_alu instid0(VALU_DEP_1) | instskip(NEXT) | instid1(VALU_DEP_1)
	v_xor_b32_e32 v3, 2, v2
	v_cmp_gt_i32_e32 vcc_lo, 32, v3
	v_cndmask_b32_e32 v3, v2, v3, vcc_lo
	s_delay_alu instid0(VALU_DEP_1) | instskip(SKIP_4) | instid1(VALU_DEP_1)
	v_lshlrev_b32_e32 v3, 2, v3
	ds_bpermute_b32 v4, v3, v7
	ds_bpermute_b32 v5, v3, v9
	;; [unrolled: 1-line block ×3, first 2 shown]
	v_xor_b32_e32 v3, 1, v2
	v_cmp_gt_i32_e32 vcc_lo, 32, v3
	v_cndmask_b32_e32 v2, v2, v3, vcc_lo
	v_cmp_eq_u32_e32 vcc_lo, 3, v0
	s_waitcnt lgkmcnt(1)
	s_delay_alu instid0(VALU_DEP_2)
	v_dual_add_f32 v3, v9, v5 :: v_dual_lshlrev_b32 v10, 2, v2
	v_add_f32_e32 v2, v7, v4
	s_waitcnt lgkmcnt(0)
	v_add_f32_e32 v4, v8, v6
	ds_bpermute_b32 v6, v10, v3
	ds_bpermute_b32 v5, v10, v2
	ds_bpermute_b32 v7, v10, v4
	s_and_b32 exec_lo, exec_lo, vcc_lo
	s_cbranch_execz .LBB0_23
; %bb.19:
	s_load_b64 s[0:1], s[0:1], 0x38
	s_waitcnt lgkmcnt(0)
	v_add_f32_e32 v0, v2, v5
	v_add_f32_e32 v2, v3, v6
	;; [unrolled: 1-line block ×3, first 2 shown]
	v_lshl_add_u32 v3, v1, 1, v1
	v_cmp_eq_f32_e64 s3, s12, 0
	s_delay_alu instid0(VALU_DEP_4) | instskip(NEXT) | instid1(VALU_DEP_4)
	v_dual_mul_f32 v1, s16, v2 :: v_dual_mul_f32 v0, s16, v0
	v_mul_f32_e32 v2, s16, v4
	s_delay_alu instid0(VALU_DEP_4) | instskip(NEXT) | instid1(VALU_DEP_4)
	v_ashrrev_i32_e32 v4, 31, v3
	s_and_b32 vcc_lo, exec_lo, s3
	s_cbranch_vccz .LBB0_21
; %bb.20:
	s_delay_alu instid0(VALU_DEP_1) | instskip(SKIP_1) | instid1(VALU_DEP_1)
	v_lshlrev_b64 v[5:6], 2, v[3:4]
	s_mov_b32 s2, 0
	v_add_co_u32 v5, vcc_lo, s0, v5
	s_delay_alu instid0(VALU_DEP_2)
	v_add_co_ci_u32_e32 v6, vcc_lo, s1, v6, vcc_lo
	global_store_b96 v[5:6], v[0:2], off
.LBB0_21:
	s_and_not1_b32 vcc_lo, exec_lo, s2
	s_cbranch_vccnz .LBB0_23
; %bb.22:
	v_lshlrev_b64 v[3:4], 2, v[3:4]
	s_delay_alu instid0(VALU_DEP_1) | instskip(NEXT) | instid1(VALU_DEP_2)
	v_add_co_u32 v6, vcc_lo, s0, v3
	v_add_co_ci_u32_e32 v7, vcc_lo, s1, v4, vcc_lo
	global_load_b96 v[3:5], v[6:7], off
	s_waitcnt vmcnt(0)
	v_dual_fmac_f32 v0, s12, v3 :: v_dual_fmac_f32 v1, s12, v4
	v_fmac_f32_e32 v2, s12, v5
	global_store_b96 v[6:7], v[0:2], off
.LBB0_23:
	s_nop 0
	s_sendmsg sendmsg(MSG_DEALLOC_VGPRS)
	s_endpgm
	.section	.rodata,"a",@progbits
	.p2align	6, 0x0
	.amdhsa_kernel _ZN9rocsparseL19gebsrmvn_3xn_kernelILj128ELj1ELj4EfEEvi20rocsparse_direction_NS_24const_host_device_scalarIT2_EEPKiS6_PKS3_S8_S4_PS3_21rocsparse_index_base_b
		.amdhsa_group_segment_fixed_size 0
		.amdhsa_private_segment_fixed_size 0
		.amdhsa_kernarg_size 72
		.amdhsa_user_sgpr_count 15
		.amdhsa_user_sgpr_dispatch_ptr 0
		.amdhsa_user_sgpr_queue_ptr 0
		.amdhsa_user_sgpr_kernarg_segment_ptr 1
		.amdhsa_user_sgpr_dispatch_id 0
		.amdhsa_user_sgpr_private_segment_size 0
		.amdhsa_wavefront_size32 1
		.amdhsa_uses_dynamic_stack 0
		.amdhsa_enable_private_segment 0
		.amdhsa_system_sgpr_workgroup_id_x 1
		.amdhsa_system_sgpr_workgroup_id_y 0
		.amdhsa_system_sgpr_workgroup_id_z 0
		.amdhsa_system_sgpr_workgroup_info 0
		.amdhsa_system_vgpr_workitem_id 0
		.amdhsa_next_free_vgpr 19
		.amdhsa_next_free_sgpr 20
		.amdhsa_reserve_vcc 1
		.amdhsa_float_round_mode_32 0
		.amdhsa_float_round_mode_16_64 0
		.amdhsa_float_denorm_mode_32 3
		.amdhsa_float_denorm_mode_16_64 3
		.amdhsa_dx10_clamp 1
		.amdhsa_ieee_mode 1
		.amdhsa_fp16_overflow 0
		.amdhsa_workgroup_processor_mode 1
		.amdhsa_memory_ordered 1
		.amdhsa_forward_progress 0
		.amdhsa_shared_vgpr_count 0
		.amdhsa_exception_fp_ieee_invalid_op 0
		.amdhsa_exception_fp_denorm_src 0
		.amdhsa_exception_fp_ieee_div_zero 0
		.amdhsa_exception_fp_ieee_overflow 0
		.amdhsa_exception_fp_ieee_underflow 0
		.amdhsa_exception_fp_ieee_inexact 0
		.amdhsa_exception_int_div_zero 0
	.end_amdhsa_kernel
	.section	.text._ZN9rocsparseL19gebsrmvn_3xn_kernelILj128ELj1ELj4EfEEvi20rocsparse_direction_NS_24const_host_device_scalarIT2_EEPKiS6_PKS3_S8_S4_PS3_21rocsparse_index_base_b,"axG",@progbits,_ZN9rocsparseL19gebsrmvn_3xn_kernelILj128ELj1ELj4EfEEvi20rocsparse_direction_NS_24const_host_device_scalarIT2_EEPKiS6_PKS3_S8_S4_PS3_21rocsparse_index_base_b,comdat
.Lfunc_end0:
	.size	_ZN9rocsparseL19gebsrmvn_3xn_kernelILj128ELj1ELj4EfEEvi20rocsparse_direction_NS_24const_host_device_scalarIT2_EEPKiS6_PKS3_S8_S4_PS3_21rocsparse_index_base_b, .Lfunc_end0-_ZN9rocsparseL19gebsrmvn_3xn_kernelILj128ELj1ELj4EfEEvi20rocsparse_direction_NS_24const_host_device_scalarIT2_EEPKiS6_PKS3_S8_S4_PS3_21rocsparse_index_base_b
                                        ; -- End function
	.section	.AMDGPU.csdata,"",@progbits
; Kernel info:
; codeLenInByte = 1196
; NumSgprs: 22
; NumVgprs: 19
; ScratchSize: 0
; MemoryBound: 0
; FloatMode: 240
; IeeeMode: 1
; LDSByteSize: 0 bytes/workgroup (compile time only)
; SGPRBlocks: 2
; VGPRBlocks: 2
; NumSGPRsForWavesPerEU: 22
; NumVGPRsForWavesPerEU: 19
; Occupancy: 16
; WaveLimiterHint : 1
; COMPUTE_PGM_RSRC2:SCRATCH_EN: 0
; COMPUTE_PGM_RSRC2:USER_SGPR: 15
; COMPUTE_PGM_RSRC2:TRAP_HANDLER: 0
; COMPUTE_PGM_RSRC2:TGID_X_EN: 1
; COMPUTE_PGM_RSRC2:TGID_Y_EN: 0
; COMPUTE_PGM_RSRC2:TGID_Z_EN: 0
; COMPUTE_PGM_RSRC2:TIDIG_COMP_CNT: 0
	.section	.text._ZN9rocsparseL19gebsrmvn_3xn_kernelILj128ELj1ELj8EfEEvi20rocsparse_direction_NS_24const_host_device_scalarIT2_EEPKiS6_PKS3_S8_S4_PS3_21rocsparse_index_base_b,"axG",@progbits,_ZN9rocsparseL19gebsrmvn_3xn_kernelILj128ELj1ELj8EfEEvi20rocsparse_direction_NS_24const_host_device_scalarIT2_EEPKiS6_PKS3_S8_S4_PS3_21rocsparse_index_base_b,comdat
	.globl	_ZN9rocsparseL19gebsrmvn_3xn_kernelILj128ELj1ELj8EfEEvi20rocsparse_direction_NS_24const_host_device_scalarIT2_EEPKiS6_PKS3_S8_S4_PS3_21rocsparse_index_base_b ; -- Begin function _ZN9rocsparseL19gebsrmvn_3xn_kernelILj128ELj1ELj8EfEEvi20rocsparse_direction_NS_24const_host_device_scalarIT2_EEPKiS6_PKS3_S8_S4_PS3_21rocsparse_index_base_b
	.p2align	8
	.type	_ZN9rocsparseL19gebsrmvn_3xn_kernelILj128ELj1ELj8EfEEvi20rocsparse_direction_NS_24const_host_device_scalarIT2_EEPKiS6_PKS3_S8_S4_PS3_21rocsparse_index_base_b,@function
_ZN9rocsparseL19gebsrmvn_3xn_kernelILj128ELj1ELj8EfEEvi20rocsparse_direction_NS_24const_host_device_scalarIT2_EEPKiS6_PKS3_S8_S4_PS3_21rocsparse_index_base_b: ; @_ZN9rocsparseL19gebsrmvn_3xn_kernelILj128ELj1ELj8EfEEvi20rocsparse_direction_NS_24const_host_device_scalarIT2_EEPKiS6_PKS3_S8_S4_PS3_21rocsparse_index_base_b
; %bb.0:
	s_clause 0x2
	s_load_b64 s[18:19], s[0:1], 0x40
	s_load_b64 s[16:17], s[0:1], 0x8
	;; [unrolled: 1-line block ×3, first 2 shown]
	s_waitcnt lgkmcnt(0)
	s_bitcmp1_b32 s19, 0
	s_cselect_b32 s2, -1, 0
	s_delay_alu instid0(SALU_CYCLE_1)
	s_and_b32 vcc_lo, exec_lo, s2
	s_xor_b32 s2, s2, -1
	s_cbranch_vccnz .LBB1_2
; %bb.1:
	s_load_b32 s16, s[16:17], 0x0
.LBB1_2:
	s_and_not1_b32 vcc_lo, exec_lo, s2
	s_cbranch_vccnz .LBB1_4
; %bb.3:
	s_load_b32 s12, s[12:13], 0x0
.LBB1_4:
	s_waitcnt lgkmcnt(0)
	v_cmp_eq_f32_e64 s2, s16, 0
	v_cmp_eq_f32_e64 s3, s12, 1.0
	s_delay_alu instid0(VALU_DEP_1) | instskip(NEXT) | instid1(SALU_CYCLE_1)
	s_and_b32 s2, s2, s3
	s_and_b32 vcc_lo, exec_lo, s2
	s_cbranch_vccnz .LBB1_23
; %bb.5:
	s_load_b64 s[2:3], s[0:1], 0x0
	v_lshrrev_b32_e32 v1, 3, v0
	s_delay_alu instid0(VALU_DEP_1) | instskip(SKIP_1) | instid1(VALU_DEP_1)
	v_lshl_or_b32 v1, s15, 4, v1
	s_waitcnt lgkmcnt(0)
	v_cmp_gt_i32_e32 vcc_lo, s2, v1
	s_and_saveexec_b32 s2, vcc_lo
	s_cbranch_execz .LBB1_23
; %bb.6:
	s_load_b256 s[4:11], s[0:1], 0x10
	v_ashrrev_i32_e32 v2, 31, v1
	v_and_b32_e32 v0, 7, v0
	s_cmp_lg_u32 s3, 0
	s_delay_alu instid0(VALU_DEP_2) | instskip(SKIP_1) | instid1(VALU_DEP_1)
	v_lshlrev_b64 v[2:3], 2, v[1:2]
	s_waitcnt lgkmcnt(0)
	v_add_co_u32 v2, vcc_lo, s4, v2
	s_delay_alu instid0(VALU_DEP_2) | instskip(SKIP_4) | instid1(VALU_DEP_2)
	v_add_co_ci_u32_e32 v3, vcc_lo, s5, v3, vcc_lo
	global_load_b64 v[2:3], v[2:3], off
	s_waitcnt vmcnt(0)
	v_subrev_nc_u32_e32 v2, s18, v2
	v_subrev_nc_u32_e32 v10, s18, v3
	v_add_nc_u32_e32 v2, v2, v0
	s_delay_alu instid0(VALU_DEP_1)
	v_cmp_lt_i32_e64 s2, v2, v10
	s_cbranch_scc0 .LBB1_12
; %bb.7:
	v_dual_mov_b32 v7, 0 :: v_dual_mov_b32 v8, 0
	v_mov_b32_e32 v9, 0
	s_mov_b32 s3, 0
	s_and_saveexec_b32 s4, s2
	s_cbranch_execz .LBB1_11
; %bb.8:
	v_dual_mov_b32 v4, 0 :: v_dual_mov_b32 v5, v2
	v_lshl_add_u32 v3, v2, 1, v2
	s_mov_b32 s5, 0
	s_delay_alu instid0(VALU_DEP_2)
	v_mov_b32_e32 v7, v4
	v_mov_b32_e32 v8, v4
	;; [unrolled: 1-line block ×3, first 2 shown]
.LBB1_9:                                ; =>This Inner Loop Header: Depth=1
	v_ashrrev_i32_e32 v6, 31, v5
	v_lshlrev_b64 v[15:16], 2, v[3:4]
	v_dual_mov_b32 v14, v4 :: v_dual_add_nc_u32 v13, 2, v3
	v_mov_b32_e32 v17, v4
	s_delay_alu instid0(VALU_DEP_4) | instskip(SKIP_1) | instid1(VALU_DEP_4)
	v_lshlrev_b64 v[11:12], 2, v[5:6]
	v_add_nc_u32_e32 v5, 8, v5
	v_lshlrev_b64 v[13:14], 2, v[13:14]
	s_delay_alu instid0(VALU_DEP_3) | instskip(NEXT) | instid1(VALU_DEP_4)
	v_add_co_u32 v11, vcc_lo, s6, v11
	v_add_co_ci_u32_e32 v12, vcc_lo, s7, v12, vcc_lo
	v_add_co_u32 v15, vcc_lo, s8, v15
	v_add_co_ci_u32_e32 v16, vcc_lo, s9, v16, vcc_lo
	global_load_b32 v6, v[11:12], off
	v_dual_mov_b32 v12, v4 :: v_dual_add_nc_u32 v11, 1, v3
	global_load_b32 v18, v[15:16], off
	v_add_nc_u32_e32 v3, 24, v3
	v_lshlrev_b64 v[11:12], 2, v[11:12]
	s_delay_alu instid0(VALU_DEP_1) | instskip(NEXT) | instid1(VALU_DEP_2)
	v_add_co_u32 v11, vcc_lo, s8, v11
	v_add_co_ci_u32_e32 v12, vcc_lo, s9, v12, vcc_lo
	v_add_co_u32 v13, vcc_lo, s8, v13
	v_add_co_ci_u32_e32 v14, vcc_lo, s9, v14, vcc_lo
	s_waitcnt vmcnt(1)
	v_subrev_nc_u32_e32 v16, s18, v6
	s_delay_alu instid0(VALU_DEP_1) | instskip(NEXT) | instid1(VALU_DEP_1)
	v_lshlrev_b64 v[15:16], 2, v[16:17]
	v_add_co_u32 v15, vcc_lo, s10, v15
	s_delay_alu instid0(VALU_DEP_2)
	v_add_co_ci_u32_e32 v16, vcc_lo, s11, v16, vcc_lo
	s_clause 0x1
	global_load_b32 v6, v[11:12], off
	global_load_b32 v11, v[13:14], off
	;; [unrolled: 1-line block ×3, first 2 shown]
	v_cmp_ge_i32_e32 vcc_lo, v5, v10
	s_or_b32 s5, vcc_lo, s5
	s_waitcnt vmcnt(0)
	v_fmac_f32_e32 v7, v18, v12
	v_fmac_f32_e32 v9, v6, v12
	;; [unrolled: 1-line block ×3, first 2 shown]
	s_and_not1_b32 exec_lo, exec_lo, s5
	s_cbranch_execnz .LBB1_9
; %bb.10:
	s_or_b32 exec_lo, exec_lo, s5
.LBB1_11:
	s_delay_alu instid0(SALU_CYCLE_1) | instskip(NEXT) | instid1(SALU_CYCLE_1)
	s_or_b32 exec_lo, exec_lo, s4
	s_and_not1_b32 vcc_lo, exec_lo, s3
	s_cbranch_vccz .LBB1_13
	s_branch .LBB1_18
.LBB1_12:
                                        ; implicit-def: $vgpr7
                                        ; implicit-def: $vgpr8
                                        ; implicit-def: $vgpr9
.LBB1_13:
	v_dual_mov_b32 v7, 0 :: v_dual_mov_b32 v8, 0
	v_mov_b32_e32 v9, 0
	s_delay_alu instid0(VALU_DEP_3)
	s_and_saveexec_b32 s3, s2
	s_cbranch_execz .LBB1_17
; %bb.14:
	v_mov_b32_e32 v5, 0
	v_lshl_add_u32 v4, v2, 1, v2
	s_mov_b32 s2, 0
	s_delay_alu instid0(VALU_DEP_2)
	v_mov_b32_e32 v7, v5
	v_mov_b32_e32 v8, v5
	;; [unrolled: 1-line block ×3, first 2 shown]
.LBB1_15:                               ; =>This Inner Loop Header: Depth=1
	v_ashrrev_i32_e32 v3, 31, v2
	v_lshlrev_b64 v[15:16], 2, v[4:5]
	v_dual_mov_b32 v14, v5 :: v_dual_add_nc_u32 v13, 2, v4
	v_mov_b32_e32 v17, v5
	s_delay_alu instid0(VALU_DEP_4) | instskip(SKIP_1) | instid1(VALU_DEP_4)
	v_lshlrev_b64 v[11:12], 2, v[2:3]
	v_add_nc_u32_e32 v2, 8, v2
	v_lshlrev_b64 v[13:14], 2, v[13:14]
	s_delay_alu instid0(VALU_DEP_3) | instskip(NEXT) | instid1(VALU_DEP_4)
	v_add_co_u32 v11, vcc_lo, s6, v11
	v_add_co_ci_u32_e32 v12, vcc_lo, s7, v12, vcc_lo
	v_add_co_u32 v15, vcc_lo, s8, v15
	v_add_co_ci_u32_e32 v16, vcc_lo, s9, v16, vcc_lo
	global_load_b32 v3, v[11:12], off
	v_dual_mov_b32 v12, v5 :: v_dual_add_nc_u32 v11, 1, v4
	global_load_b32 v6, v[15:16], off
	v_add_nc_u32_e32 v4, 24, v4
	v_lshlrev_b64 v[11:12], 2, v[11:12]
	s_delay_alu instid0(VALU_DEP_1) | instskip(NEXT) | instid1(VALU_DEP_2)
	v_add_co_u32 v11, vcc_lo, s8, v11
	v_add_co_ci_u32_e32 v12, vcc_lo, s9, v12, vcc_lo
	v_add_co_u32 v13, vcc_lo, s8, v13
	v_add_co_ci_u32_e32 v14, vcc_lo, s9, v14, vcc_lo
	s_waitcnt vmcnt(1)
	v_subrev_nc_u32_e32 v16, s18, v3
	s_delay_alu instid0(VALU_DEP_1) | instskip(NEXT) | instid1(VALU_DEP_1)
	v_lshlrev_b64 v[15:16], 2, v[16:17]
	v_add_co_u32 v15, vcc_lo, s10, v15
	s_delay_alu instid0(VALU_DEP_2)
	v_add_co_ci_u32_e32 v16, vcc_lo, s11, v16, vcc_lo
	s_clause 0x1
	global_load_b32 v3, v[11:12], off
	global_load_b32 v11, v[13:14], off
	;; [unrolled: 1-line block ×3, first 2 shown]
	v_cmp_ge_i32_e32 vcc_lo, v2, v10
	s_or_b32 s2, vcc_lo, s2
	s_waitcnt vmcnt(0)
	v_fmac_f32_e32 v7, v6, v12
	v_fmac_f32_e32 v9, v3, v12
	;; [unrolled: 1-line block ×3, first 2 shown]
	s_and_not1_b32 exec_lo, exec_lo, s2
	s_cbranch_execnz .LBB1_15
; %bb.16:
	s_or_b32 exec_lo, exec_lo, s2
.LBB1_17:
	s_delay_alu instid0(SALU_CYCLE_1)
	s_or_b32 exec_lo, exec_lo, s3
.LBB1_18:
	v_mbcnt_lo_u32_b32 v2, -1, 0
	s_mov_b32 s2, -1
	s_delay_alu instid0(VALU_DEP_1) | instskip(SKIP_1) | instid1(VALU_DEP_2)
	v_xor_b32_e32 v3, 4, v2
	v_xor_b32_e32 v6, 2, v2
	v_cmp_gt_i32_e32 vcc_lo, 32, v3
	v_cndmask_b32_e32 v3, v2, v3, vcc_lo
	s_delay_alu instid0(VALU_DEP_3) | instskip(SKIP_1) | instid1(VALU_DEP_1)
	v_cmp_gt_i32_e32 vcc_lo, 32, v6
	v_cndmask_b32_e32 v6, v2, v6, vcc_lo
	v_lshlrev_b32_e32 v6, 2, v6
	s_delay_alu instid0(VALU_DEP_4)
	v_lshlrev_b32_e32 v3, 2, v3
	ds_bpermute_b32 v4, v3, v7
	s_waitcnt lgkmcnt(0)
	v_add_f32_e32 v4, v7, v4
	ds_bpermute_b32 v5, v3, v9
	ds_bpermute_b32 v3, v3, v8
	s_waitcnt lgkmcnt(1)
	v_add_f32_e32 v5, v9, v5
	v_xor_b32_e32 v9, 1, v2
	s_delay_alu instid0(VALU_DEP_1)
	v_cmp_gt_i32_e32 vcc_lo, 32, v9
	s_waitcnt lgkmcnt(0)
	v_add_f32_e32 v7, v8, v3
	ds_bpermute_b32 v3, v6, v4
	ds_bpermute_b32 v8, v6, v5
	v_cndmask_b32_e32 v2, v2, v9, vcc_lo
	ds_bpermute_b32 v6, v6, v7
	v_cmp_eq_u32_e32 vcc_lo, 7, v0
	s_waitcnt lgkmcnt(2)
	v_dual_add_f32 v2, v4, v3 :: v_dual_lshlrev_b32 v9, 2, v2
	s_waitcnt lgkmcnt(0)
	v_dual_add_f32 v3, v5, v8 :: v_dual_add_f32 v4, v7, v6
	ds_bpermute_b32 v5, v9, v2
	ds_bpermute_b32 v6, v9, v3
	;; [unrolled: 1-line block ×3, first 2 shown]
	s_and_b32 exec_lo, exec_lo, vcc_lo
	s_cbranch_execz .LBB1_23
; %bb.19:
	s_load_b64 s[0:1], s[0:1], 0x38
	s_waitcnt lgkmcnt(0)
	v_add_f32_e32 v0, v2, v5
	v_add_f32_e32 v2, v3, v6
	;; [unrolled: 1-line block ×3, first 2 shown]
	v_lshl_add_u32 v3, v1, 1, v1
	v_cmp_eq_f32_e64 s3, s12, 0
	s_delay_alu instid0(VALU_DEP_4) | instskip(NEXT) | instid1(VALU_DEP_4)
	v_dual_mul_f32 v1, s16, v2 :: v_dual_mul_f32 v0, s16, v0
	v_mul_f32_e32 v2, s16, v4
	s_delay_alu instid0(VALU_DEP_4) | instskip(NEXT) | instid1(VALU_DEP_4)
	v_ashrrev_i32_e32 v4, 31, v3
	s_and_b32 vcc_lo, exec_lo, s3
	s_cbranch_vccz .LBB1_21
; %bb.20:
	s_delay_alu instid0(VALU_DEP_1) | instskip(SKIP_1) | instid1(VALU_DEP_1)
	v_lshlrev_b64 v[5:6], 2, v[3:4]
	s_mov_b32 s2, 0
	v_add_co_u32 v5, vcc_lo, s0, v5
	s_delay_alu instid0(VALU_DEP_2)
	v_add_co_ci_u32_e32 v6, vcc_lo, s1, v6, vcc_lo
	global_store_b96 v[5:6], v[0:2], off
.LBB1_21:
	s_and_not1_b32 vcc_lo, exec_lo, s2
	s_cbranch_vccnz .LBB1_23
; %bb.22:
	v_lshlrev_b64 v[3:4], 2, v[3:4]
	s_delay_alu instid0(VALU_DEP_1) | instskip(NEXT) | instid1(VALU_DEP_2)
	v_add_co_u32 v6, vcc_lo, s0, v3
	v_add_co_ci_u32_e32 v7, vcc_lo, s1, v4, vcc_lo
	global_load_b96 v[3:5], v[6:7], off
	s_waitcnt vmcnt(0)
	v_dual_fmac_f32 v0, s12, v3 :: v_dual_fmac_f32 v1, s12, v4
	v_fmac_f32_e32 v2, s12, v5
	global_store_b96 v[6:7], v[0:2], off
.LBB1_23:
	s_nop 0
	s_sendmsg sendmsg(MSG_DEALLOC_VGPRS)
	s_endpgm
	.section	.rodata,"a",@progbits
	.p2align	6, 0x0
	.amdhsa_kernel _ZN9rocsparseL19gebsrmvn_3xn_kernelILj128ELj1ELj8EfEEvi20rocsparse_direction_NS_24const_host_device_scalarIT2_EEPKiS6_PKS3_S8_S4_PS3_21rocsparse_index_base_b
		.amdhsa_group_segment_fixed_size 0
		.amdhsa_private_segment_fixed_size 0
		.amdhsa_kernarg_size 72
		.amdhsa_user_sgpr_count 15
		.amdhsa_user_sgpr_dispatch_ptr 0
		.amdhsa_user_sgpr_queue_ptr 0
		.amdhsa_user_sgpr_kernarg_segment_ptr 1
		.amdhsa_user_sgpr_dispatch_id 0
		.amdhsa_user_sgpr_private_segment_size 0
		.amdhsa_wavefront_size32 1
		.amdhsa_uses_dynamic_stack 0
		.amdhsa_enable_private_segment 0
		.amdhsa_system_sgpr_workgroup_id_x 1
		.amdhsa_system_sgpr_workgroup_id_y 0
		.amdhsa_system_sgpr_workgroup_id_z 0
		.amdhsa_system_sgpr_workgroup_info 0
		.amdhsa_system_vgpr_workitem_id 0
		.amdhsa_next_free_vgpr 19
		.amdhsa_next_free_sgpr 20
		.amdhsa_reserve_vcc 1
		.amdhsa_float_round_mode_32 0
		.amdhsa_float_round_mode_16_64 0
		.amdhsa_float_denorm_mode_32 3
		.amdhsa_float_denorm_mode_16_64 3
		.amdhsa_dx10_clamp 1
		.amdhsa_ieee_mode 1
		.amdhsa_fp16_overflow 0
		.amdhsa_workgroup_processor_mode 1
		.amdhsa_memory_ordered 1
		.amdhsa_forward_progress 0
		.amdhsa_shared_vgpr_count 0
		.amdhsa_exception_fp_ieee_invalid_op 0
		.amdhsa_exception_fp_denorm_src 0
		.amdhsa_exception_fp_ieee_div_zero 0
		.amdhsa_exception_fp_ieee_overflow 0
		.amdhsa_exception_fp_ieee_underflow 0
		.amdhsa_exception_fp_ieee_inexact 0
		.amdhsa_exception_int_div_zero 0
	.end_amdhsa_kernel
	.section	.text._ZN9rocsparseL19gebsrmvn_3xn_kernelILj128ELj1ELj8EfEEvi20rocsparse_direction_NS_24const_host_device_scalarIT2_EEPKiS6_PKS3_S8_S4_PS3_21rocsparse_index_base_b,"axG",@progbits,_ZN9rocsparseL19gebsrmvn_3xn_kernelILj128ELj1ELj8EfEEvi20rocsparse_direction_NS_24const_host_device_scalarIT2_EEPKiS6_PKS3_S8_S4_PS3_21rocsparse_index_base_b,comdat
.Lfunc_end1:
	.size	_ZN9rocsparseL19gebsrmvn_3xn_kernelILj128ELj1ELj8EfEEvi20rocsparse_direction_NS_24const_host_device_scalarIT2_EEPKiS6_PKS3_S8_S4_PS3_21rocsparse_index_base_b, .Lfunc_end1-_ZN9rocsparseL19gebsrmvn_3xn_kernelILj128ELj1ELj8EfEEvi20rocsparse_direction_NS_24const_host_device_scalarIT2_EEPKiS6_PKS3_S8_S4_PS3_21rocsparse_index_base_b
                                        ; -- End function
	.section	.AMDGPU.csdata,"",@progbits
; Kernel info:
; codeLenInByte = 1264
; NumSgprs: 22
; NumVgprs: 19
; ScratchSize: 0
; MemoryBound: 0
; FloatMode: 240
; IeeeMode: 1
; LDSByteSize: 0 bytes/workgroup (compile time only)
; SGPRBlocks: 2
; VGPRBlocks: 2
; NumSGPRsForWavesPerEU: 22
; NumVGPRsForWavesPerEU: 19
; Occupancy: 16
; WaveLimiterHint : 1
; COMPUTE_PGM_RSRC2:SCRATCH_EN: 0
; COMPUTE_PGM_RSRC2:USER_SGPR: 15
; COMPUTE_PGM_RSRC2:TRAP_HANDLER: 0
; COMPUTE_PGM_RSRC2:TGID_X_EN: 1
; COMPUTE_PGM_RSRC2:TGID_Y_EN: 0
; COMPUTE_PGM_RSRC2:TGID_Z_EN: 0
; COMPUTE_PGM_RSRC2:TIDIG_COMP_CNT: 0
	.section	.text._ZN9rocsparseL19gebsrmvn_3xn_kernelILj128ELj1ELj16EfEEvi20rocsparse_direction_NS_24const_host_device_scalarIT2_EEPKiS6_PKS3_S8_S4_PS3_21rocsparse_index_base_b,"axG",@progbits,_ZN9rocsparseL19gebsrmvn_3xn_kernelILj128ELj1ELj16EfEEvi20rocsparse_direction_NS_24const_host_device_scalarIT2_EEPKiS6_PKS3_S8_S4_PS3_21rocsparse_index_base_b,comdat
	.globl	_ZN9rocsparseL19gebsrmvn_3xn_kernelILj128ELj1ELj16EfEEvi20rocsparse_direction_NS_24const_host_device_scalarIT2_EEPKiS6_PKS3_S8_S4_PS3_21rocsparse_index_base_b ; -- Begin function _ZN9rocsparseL19gebsrmvn_3xn_kernelILj128ELj1ELj16EfEEvi20rocsparse_direction_NS_24const_host_device_scalarIT2_EEPKiS6_PKS3_S8_S4_PS3_21rocsparse_index_base_b
	.p2align	8
	.type	_ZN9rocsparseL19gebsrmvn_3xn_kernelILj128ELj1ELj16EfEEvi20rocsparse_direction_NS_24const_host_device_scalarIT2_EEPKiS6_PKS3_S8_S4_PS3_21rocsparse_index_base_b,@function
_ZN9rocsparseL19gebsrmvn_3xn_kernelILj128ELj1ELj16EfEEvi20rocsparse_direction_NS_24const_host_device_scalarIT2_EEPKiS6_PKS3_S8_S4_PS3_21rocsparse_index_base_b: ; @_ZN9rocsparseL19gebsrmvn_3xn_kernelILj128ELj1ELj16EfEEvi20rocsparse_direction_NS_24const_host_device_scalarIT2_EEPKiS6_PKS3_S8_S4_PS3_21rocsparse_index_base_b
; %bb.0:
	s_clause 0x2
	s_load_b64 s[18:19], s[0:1], 0x40
	s_load_b64 s[16:17], s[0:1], 0x8
	;; [unrolled: 1-line block ×3, first 2 shown]
	s_waitcnt lgkmcnt(0)
	s_bitcmp1_b32 s19, 0
	s_cselect_b32 s2, -1, 0
	s_delay_alu instid0(SALU_CYCLE_1)
	s_and_b32 vcc_lo, exec_lo, s2
	s_xor_b32 s2, s2, -1
	s_cbranch_vccnz .LBB2_2
; %bb.1:
	s_load_b32 s16, s[16:17], 0x0
.LBB2_2:
	s_and_not1_b32 vcc_lo, exec_lo, s2
	s_cbranch_vccnz .LBB2_4
; %bb.3:
	s_load_b32 s12, s[12:13], 0x0
.LBB2_4:
	s_waitcnt lgkmcnt(0)
	v_cmp_eq_f32_e64 s2, s16, 0
	v_cmp_eq_f32_e64 s3, s12, 1.0
	s_delay_alu instid0(VALU_DEP_1) | instskip(NEXT) | instid1(SALU_CYCLE_1)
	s_and_b32 s2, s2, s3
	s_and_b32 vcc_lo, exec_lo, s2
	s_cbranch_vccnz .LBB2_23
; %bb.5:
	s_load_b64 s[2:3], s[0:1], 0x0
	v_lshrrev_b32_e32 v1, 4, v0
	s_delay_alu instid0(VALU_DEP_1) | instskip(SKIP_1) | instid1(VALU_DEP_1)
	v_lshl_or_b32 v1, s15, 3, v1
	s_waitcnt lgkmcnt(0)
	v_cmp_gt_i32_e32 vcc_lo, s2, v1
	s_and_saveexec_b32 s2, vcc_lo
	s_cbranch_execz .LBB2_23
; %bb.6:
	s_load_b256 s[4:11], s[0:1], 0x10
	v_ashrrev_i32_e32 v2, 31, v1
	v_and_b32_e32 v0, 15, v0
	s_cmp_lg_u32 s3, 0
	s_delay_alu instid0(VALU_DEP_2) | instskip(SKIP_1) | instid1(VALU_DEP_1)
	v_lshlrev_b64 v[2:3], 2, v[1:2]
	s_waitcnt lgkmcnt(0)
	v_add_co_u32 v2, vcc_lo, s4, v2
	s_delay_alu instid0(VALU_DEP_2) | instskip(SKIP_4) | instid1(VALU_DEP_2)
	v_add_co_ci_u32_e32 v3, vcc_lo, s5, v3, vcc_lo
	global_load_b64 v[2:3], v[2:3], off
	s_waitcnt vmcnt(0)
	v_subrev_nc_u32_e32 v2, s18, v2
	v_subrev_nc_u32_e32 v10, s18, v3
	v_add_nc_u32_e32 v2, v2, v0
	s_delay_alu instid0(VALU_DEP_1)
	v_cmp_lt_i32_e64 s2, v2, v10
	s_cbranch_scc0 .LBB2_12
; %bb.7:
	v_dual_mov_b32 v7, 0 :: v_dual_mov_b32 v8, 0
	v_mov_b32_e32 v9, 0
	s_mov_b32 s3, 0
	s_and_saveexec_b32 s4, s2
	s_cbranch_execz .LBB2_11
; %bb.8:
	v_dual_mov_b32 v4, 0 :: v_dual_mov_b32 v5, v2
	v_lshl_add_u32 v3, v2, 1, v2
	s_mov_b32 s5, 0
	s_delay_alu instid0(VALU_DEP_2)
	v_mov_b32_e32 v7, v4
	v_mov_b32_e32 v8, v4
	;; [unrolled: 1-line block ×3, first 2 shown]
.LBB2_9:                                ; =>This Inner Loop Header: Depth=1
	v_ashrrev_i32_e32 v6, 31, v5
	v_lshlrev_b64 v[15:16], 2, v[3:4]
	v_dual_mov_b32 v14, v4 :: v_dual_add_nc_u32 v13, 2, v3
	v_mov_b32_e32 v17, v4
	s_delay_alu instid0(VALU_DEP_4) | instskip(SKIP_1) | instid1(VALU_DEP_4)
	v_lshlrev_b64 v[11:12], 2, v[5:6]
	v_add_nc_u32_e32 v5, 16, v5
	v_lshlrev_b64 v[13:14], 2, v[13:14]
	s_delay_alu instid0(VALU_DEP_3) | instskip(NEXT) | instid1(VALU_DEP_4)
	v_add_co_u32 v11, vcc_lo, s6, v11
	v_add_co_ci_u32_e32 v12, vcc_lo, s7, v12, vcc_lo
	v_add_co_u32 v15, vcc_lo, s8, v15
	v_add_co_ci_u32_e32 v16, vcc_lo, s9, v16, vcc_lo
	global_load_b32 v6, v[11:12], off
	v_dual_mov_b32 v12, v4 :: v_dual_add_nc_u32 v11, 1, v3
	global_load_b32 v18, v[15:16], off
	v_add_nc_u32_e32 v3, 48, v3
	v_lshlrev_b64 v[11:12], 2, v[11:12]
	s_delay_alu instid0(VALU_DEP_1) | instskip(NEXT) | instid1(VALU_DEP_2)
	v_add_co_u32 v11, vcc_lo, s8, v11
	v_add_co_ci_u32_e32 v12, vcc_lo, s9, v12, vcc_lo
	v_add_co_u32 v13, vcc_lo, s8, v13
	v_add_co_ci_u32_e32 v14, vcc_lo, s9, v14, vcc_lo
	s_waitcnt vmcnt(1)
	v_subrev_nc_u32_e32 v16, s18, v6
	s_delay_alu instid0(VALU_DEP_1) | instskip(NEXT) | instid1(VALU_DEP_1)
	v_lshlrev_b64 v[15:16], 2, v[16:17]
	v_add_co_u32 v15, vcc_lo, s10, v15
	s_delay_alu instid0(VALU_DEP_2)
	v_add_co_ci_u32_e32 v16, vcc_lo, s11, v16, vcc_lo
	s_clause 0x1
	global_load_b32 v6, v[11:12], off
	global_load_b32 v11, v[13:14], off
	;; [unrolled: 1-line block ×3, first 2 shown]
	v_cmp_ge_i32_e32 vcc_lo, v5, v10
	s_or_b32 s5, vcc_lo, s5
	s_waitcnt vmcnt(0)
	v_fmac_f32_e32 v7, v18, v12
	v_fmac_f32_e32 v9, v6, v12
	;; [unrolled: 1-line block ×3, first 2 shown]
	s_and_not1_b32 exec_lo, exec_lo, s5
	s_cbranch_execnz .LBB2_9
; %bb.10:
	s_or_b32 exec_lo, exec_lo, s5
.LBB2_11:
	s_delay_alu instid0(SALU_CYCLE_1) | instskip(NEXT) | instid1(SALU_CYCLE_1)
	s_or_b32 exec_lo, exec_lo, s4
	s_and_not1_b32 vcc_lo, exec_lo, s3
	s_cbranch_vccz .LBB2_13
	s_branch .LBB2_18
.LBB2_12:
                                        ; implicit-def: $vgpr7
                                        ; implicit-def: $vgpr8
                                        ; implicit-def: $vgpr9
.LBB2_13:
	v_dual_mov_b32 v7, 0 :: v_dual_mov_b32 v8, 0
	v_mov_b32_e32 v9, 0
	s_delay_alu instid0(VALU_DEP_3)
	s_and_saveexec_b32 s3, s2
	s_cbranch_execz .LBB2_17
; %bb.14:
	v_mov_b32_e32 v5, 0
	v_lshl_add_u32 v4, v2, 1, v2
	s_mov_b32 s2, 0
	s_delay_alu instid0(VALU_DEP_2)
	v_mov_b32_e32 v7, v5
	v_mov_b32_e32 v8, v5
	;; [unrolled: 1-line block ×3, first 2 shown]
.LBB2_15:                               ; =>This Inner Loop Header: Depth=1
	v_ashrrev_i32_e32 v3, 31, v2
	v_lshlrev_b64 v[15:16], 2, v[4:5]
	v_dual_mov_b32 v14, v5 :: v_dual_add_nc_u32 v13, 2, v4
	v_mov_b32_e32 v17, v5
	s_delay_alu instid0(VALU_DEP_4) | instskip(SKIP_1) | instid1(VALU_DEP_4)
	v_lshlrev_b64 v[11:12], 2, v[2:3]
	v_add_nc_u32_e32 v2, 16, v2
	v_lshlrev_b64 v[13:14], 2, v[13:14]
	s_delay_alu instid0(VALU_DEP_3) | instskip(NEXT) | instid1(VALU_DEP_4)
	v_add_co_u32 v11, vcc_lo, s6, v11
	v_add_co_ci_u32_e32 v12, vcc_lo, s7, v12, vcc_lo
	v_add_co_u32 v15, vcc_lo, s8, v15
	v_add_co_ci_u32_e32 v16, vcc_lo, s9, v16, vcc_lo
	global_load_b32 v3, v[11:12], off
	v_dual_mov_b32 v12, v5 :: v_dual_add_nc_u32 v11, 1, v4
	global_load_b32 v6, v[15:16], off
	v_add_nc_u32_e32 v4, 48, v4
	v_lshlrev_b64 v[11:12], 2, v[11:12]
	s_delay_alu instid0(VALU_DEP_1) | instskip(NEXT) | instid1(VALU_DEP_2)
	v_add_co_u32 v11, vcc_lo, s8, v11
	v_add_co_ci_u32_e32 v12, vcc_lo, s9, v12, vcc_lo
	v_add_co_u32 v13, vcc_lo, s8, v13
	v_add_co_ci_u32_e32 v14, vcc_lo, s9, v14, vcc_lo
	s_waitcnt vmcnt(1)
	v_subrev_nc_u32_e32 v16, s18, v3
	s_delay_alu instid0(VALU_DEP_1) | instskip(NEXT) | instid1(VALU_DEP_1)
	v_lshlrev_b64 v[15:16], 2, v[16:17]
	v_add_co_u32 v15, vcc_lo, s10, v15
	s_delay_alu instid0(VALU_DEP_2)
	v_add_co_ci_u32_e32 v16, vcc_lo, s11, v16, vcc_lo
	s_clause 0x1
	global_load_b32 v3, v[11:12], off
	global_load_b32 v11, v[13:14], off
	;; [unrolled: 1-line block ×3, first 2 shown]
	v_cmp_ge_i32_e32 vcc_lo, v2, v10
	s_or_b32 s2, vcc_lo, s2
	s_waitcnt vmcnt(0)
	v_fmac_f32_e32 v7, v6, v12
	v_fmac_f32_e32 v9, v3, v12
	;; [unrolled: 1-line block ×3, first 2 shown]
	s_and_not1_b32 exec_lo, exec_lo, s2
	s_cbranch_execnz .LBB2_15
; %bb.16:
	s_or_b32 exec_lo, exec_lo, s2
.LBB2_17:
	s_delay_alu instid0(SALU_CYCLE_1)
	s_or_b32 exec_lo, exec_lo, s3
.LBB2_18:
	v_mbcnt_lo_u32_b32 v2, -1, 0
	s_mov_b32 s2, -1
	s_delay_alu instid0(VALU_DEP_1) | instskip(SKIP_1) | instid1(VALU_DEP_2)
	v_xor_b32_e32 v3, 8, v2
	v_xor_b32_e32 v6, 4, v2
	v_cmp_gt_i32_e32 vcc_lo, 32, v3
	v_cndmask_b32_e32 v3, v2, v3, vcc_lo
	s_delay_alu instid0(VALU_DEP_3) | instskip(SKIP_1) | instid1(VALU_DEP_1)
	v_cmp_gt_i32_e32 vcc_lo, 32, v6
	v_cndmask_b32_e32 v6, v2, v6, vcc_lo
	v_lshlrev_b32_e32 v6, 2, v6
	s_delay_alu instid0(VALU_DEP_4)
	v_lshlrev_b32_e32 v3, 2, v3
	ds_bpermute_b32 v4, v3, v7
	s_waitcnt lgkmcnt(0)
	v_add_f32_e32 v4, v7, v4
	ds_bpermute_b32 v5, v3, v9
	ds_bpermute_b32 v3, v3, v8
	;; [unrolled: 1-line block ×3, first 2 shown]
	s_waitcnt lgkmcnt(2)
	v_add_f32_e32 v5, v9, v5
	s_waitcnt lgkmcnt(1)
	v_add_f32_e32 v3, v8, v3
	v_xor_b32_e32 v9, 2, v2
	s_waitcnt lgkmcnt(0)
	v_add_f32_e32 v4, v4, v7
	ds_bpermute_b32 v8, v6, v5
	ds_bpermute_b32 v6, v6, v3
	v_cmp_gt_i32_e32 vcc_lo, 32, v9
	v_cndmask_b32_e32 v9, v2, v9, vcc_lo
	s_waitcnt lgkmcnt(0)
	s_delay_alu instid0(VALU_DEP_1)
	v_dual_add_f32 v6, v3, v6 :: v_dual_lshlrev_b32 v9, 2, v9
	ds_bpermute_b32 v3, v9, v4
	v_add_f32_e32 v5, v5, v8
	ds_bpermute_b32 v8, v9, v6
	ds_bpermute_b32 v7, v9, v5
	v_xor_b32_e32 v9, 1, v2
	s_delay_alu instid0(VALU_DEP_1) | instskip(SKIP_3) | instid1(VALU_DEP_2)
	v_cmp_gt_i32_e32 vcc_lo, 32, v9
	v_cndmask_b32_e32 v2, v2, v9, vcc_lo
	v_cmp_eq_u32_e32 vcc_lo, 15, v0
	s_waitcnt lgkmcnt(2)
	v_dual_add_f32 v2, v4, v3 :: v_dual_lshlrev_b32 v9, 2, v2
	s_waitcnt lgkmcnt(0)
	v_dual_add_f32 v4, v6, v8 :: v_dual_add_f32 v3, v5, v7
	ds_bpermute_b32 v5, v9, v2
	ds_bpermute_b32 v7, v9, v4
	;; [unrolled: 1-line block ×3, first 2 shown]
	s_and_b32 exec_lo, exec_lo, vcc_lo
	s_cbranch_execz .LBB2_23
; %bb.19:
	s_load_b64 s[0:1], s[0:1], 0x38
	s_waitcnt lgkmcnt(0)
	v_add_f32_e32 v0, v2, v5
	v_add_f32_e32 v2, v3, v6
	v_add_f32_e32 v4, v4, v7
	v_lshl_add_u32 v3, v1, 1, v1
	v_cmp_eq_f32_e64 s3, s12, 0
	s_delay_alu instid0(VALU_DEP_4) | instskip(NEXT) | instid1(VALU_DEP_4)
	v_dual_mul_f32 v1, s16, v2 :: v_dual_mul_f32 v0, s16, v0
	v_mul_f32_e32 v2, s16, v4
	s_delay_alu instid0(VALU_DEP_4) | instskip(NEXT) | instid1(VALU_DEP_4)
	v_ashrrev_i32_e32 v4, 31, v3
	s_and_b32 vcc_lo, exec_lo, s3
	s_cbranch_vccz .LBB2_21
; %bb.20:
	s_delay_alu instid0(VALU_DEP_1) | instskip(SKIP_1) | instid1(VALU_DEP_1)
	v_lshlrev_b64 v[5:6], 2, v[3:4]
	s_mov_b32 s2, 0
	v_add_co_u32 v5, vcc_lo, s0, v5
	s_delay_alu instid0(VALU_DEP_2)
	v_add_co_ci_u32_e32 v6, vcc_lo, s1, v6, vcc_lo
	global_store_b96 v[5:6], v[0:2], off
.LBB2_21:
	s_and_not1_b32 vcc_lo, exec_lo, s2
	s_cbranch_vccnz .LBB2_23
; %bb.22:
	v_lshlrev_b64 v[3:4], 2, v[3:4]
	s_delay_alu instid0(VALU_DEP_1) | instskip(NEXT) | instid1(VALU_DEP_2)
	v_add_co_u32 v6, vcc_lo, s0, v3
	v_add_co_ci_u32_e32 v7, vcc_lo, s1, v4, vcc_lo
	global_load_b96 v[3:5], v[6:7], off
	s_waitcnt vmcnt(0)
	v_dual_fmac_f32 v0, s12, v3 :: v_dual_fmac_f32 v1, s12, v4
	v_fmac_f32_e32 v2, s12, v5
	global_store_b96 v[6:7], v[0:2], off
.LBB2_23:
	s_nop 0
	s_sendmsg sendmsg(MSG_DEALLOC_VGPRS)
	s_endpgm
	.section	.rodata,"a",@progbits
	.p2align	6, 0x0
	.amdhsa_kernel _ZN9rocsparseL19gebsrmvn_3xn_kernelILj128ELj1ELj16EfEEvi20rocsparse_direction_NS_24const_host_device_scalarIT2_EEPKiS6_PKS3_S8_S4_PS3_21rocsparse_index_base_b
		.amdhsa_group_segment_fixed_size 0
		.amdhsa_private_segment_fixed_size 0
		.amdhsa_kernarg_size 72
		.amdhsa_user_sgpr_count 15
		.amdhsa_user_sgpr_dispatch_ptr 0
		.amdhsa_user_sgpr_queue_ptr 0
		.amdhsa_user_sgpr_kernarg_segment_ptr 1
		.amdhsa_user_sgpr_dispatch_id 0
		.amdhsa_user_sgpr_private_segment_size 0
		.amdhsa_wavefront_size32 1
		.amdhsa_uses_dynamic_stack 0
		.amdhsa_enable_private_segment 0
		.amdhsa_system_sgpr_workgroup_id_x 1
		.amdhsa_system_sgpr_workgroup_id_y 0
		.amdhsa_system_sgpr_workgroup_id_z 0
		.amdhsa_system_sgpr_workgroup_info 0
		.amdhsa_system_vgpr_workitem_id 0
		.amdhsa_next_free_vgpr 19
		.amdhsa_next_free_sgpr 20
		.amdhsa_reserve_vcc 1
		.amdhsa_float_round_mode_32 0
		.amdhsa_float_round_mode_16_64 0
		.amdhsa_float_denorm_mode_32 3
		.amdhsa_float_denorm_mode_16_64 3
		.amdhsa_dx10_clamp 1
		.amdhsa_ieee_mode 1
		.amdhsa_fp16_overflow 0
		.amdhsa_workgroup_processor_mode 1
		.amdhsa_memory_ordered 1
		.amdhsa_forward_progress 0
		.amdhsa_shared_vgpr_count 0
		.amdhsa_exception_fp_ieee_invalid_op 0
		.amdhsa_exception_fp_denorm_src 0
		.amdhsa_exception_fp_ieee_div_zero 0
		.amdhsa_exception_fp_ieee_overflow 0
		.amdhsa_exception_fp_ieee_underflow 0
		.amdhsa_exception_fp_ieee_inexact 0
		.amdhsa_exception_int_div_zero 0
	.end_amdhsa_kernel
	.section	.text._ZN9rocsparseL19gebsrmvn_3xn_kernelILj128ELj1ELj16EfEEvi20rocsparse_direction_NS_24const_host_device_scalarIT2_EEPKiS6_PKS3_S8_S4_PS3_21rocsparse_index_base_b,"axG",@progbits,_ZN9rocsparseL19gebsrmvn_3xn_kernelILj128ELj1ELj16EfEEvi20rocsparse_direction_NS_24const_host_device_scalarIT2_EEPKiS6_PKS3_S8_S4_PS3_21rocsparse_index_base_b,comdat
.Lfunc_end2:
	.size	_ZN9rocsparseL19gebsrmvn_3xn_kernelILj128ELj1ELj16EfEEvi20rocsparse_direction_NS_24const_host_device_scalarIT2_EEPKiS6_PKS3_S8_S4_PS3_21rocsparse_index_base_b, .Lfunc_end2-_ZN9rocsparseL19gebsrmvn_3xn_kernelILj128ELj1ELj16EfEEvi20rocsparse_direction_NS_24const_host_device_scalarIT2_EEPKiS6_PKS3_S8_S4_PS3_21rocsparse_index_base_b
                                        ; -- End function
	.section	.AMDGPU.csdata,"",@progbits
; Kernel info:
; codeLenInByte = 1328
; NumSgprs: 22
; NumVgprs: 19
; ScratchSize: 0
; MemoryBound: 0
; FloatMode: 240
; IeeeMode: 1
; LDSByteSize: 0 bytes/workgroup (compile time only)
; SGPRBlocks: 2
; VGPRBlocks: 2
; NumSGPRsForWavesPerEU: 22
; NumVGPRsForWavesPerEU: 19
; Occupancy: 16
; WaveLimiterHint : 1
; COMPUTE_PGM_RSRC2:SCRATCH_EN: 0
; COMPUTE_PGM_RSRC2:USER_SGPR: 15
; COMPUTE_PGM_RSRC2:TRAP_HANDLER: 0
; COMPUTE_PGM_RSRC2:TGID_X_EN: 1
; COMPUTE_PGM_RSRC2:TGID_Y_EN: 0
; COMPUTE_PGM_RSRC2:TGID_Z_EN: 0
; COMPUTE_PGM_RSRC2:TIDIG_COMP_CNT: 0
	.section	.text._ZN9rocsparseL19gebsrmvn_3xn_kernelILj128ELj1ELj32EfEEvi20rocsparse_direction_NS_24const_host_device_scalarIT2_EEPKiS6_PKS3_S8_S4_PS3_21rocsparse_index_base_b,"axG",@progbits,_ZN9rocsparseL19gebsrmvn_3xn_kernelILj128ELj1ELj32EfEEvi20rocsparse_direction_NS_24const_host_device_scalarIT2_EEPKiS6_PKS3_S8_S4_PS3_21rocsparse_index_base_b,comdat
	.globl	_ZN9rocsparseL19gebsrmvn_3xn_kernelILj128ELj1ELj32EfEEvi20rocsparse_direction_NS_24const_host_device_scalarIT2_EEPKiS6_PKS3_S8_S4_PS3_21rocsparse_index_base_b ; -- Begin function _ZN9rocsparseL19gebsrmvn_3xn_kernelILj128ELj1ELj32EfEEvi20rocsparse_direction_NS_24const_host_device_scalarIT2_EEPKiS6_PKS3_S8_S4_PS3_21rocsparse_index_base_b
	.p2align	8
	.type	_ZN9rocsparseL19gebsrmvn_3xn_kernelILj128ELj1ELj32EfEEvi20rocsparse_direction_NS_24const_host_device_scalarIT2_EEPKiS6_PKS3_S8_S4_PS3_21rocsparse_index_base_b,@function
_ZN9rocsparseL19gebsrmvn_3xn_kernelILj128ELj1ELj32EfEEvi20rocsparse_direction_NS_24const_host_device_scalarIT2_EEPKiS6_PKS3_S8_S4_PS3_21rocsparse_index_base_b: ; @_ZN9rocsparseL19gebsrmvn_3xn_kernelILj128ELj1ELj32EfEEvi20rocsparse_direction_NS_24const_host_device_scalarIT2_EEPKiS6_PKS3_S8_S4_PS3_21rocsparse_index_base_b
; %bb.0:
	s_clause 0x2
	s_load_b64 s[18:19], s[0:1], 0x40
	s_load_b64 s[16:17], s[0:1], 0x8
	s_load_b64 s[12:13], s[0:1], 0x30
	s_waitcnt lgkmcnt(0)
	s_bitcmp1_b32 s19, 0
	s_cselect_b32 s2, -1, 0
	s_delay_alu instid0(SALU_CYCLE_1)
	s_and_b32 vcc_lo, exec_lo, s2
	s_xor_b32 s2, s2, -1
	s_cbranch_vccnz .LBB3_2
; %bb.1:
	s_load_b32 s16, s[16:17], 0x0
.LBB3_2:
	s_and_not1_b32 vcc_lo, exec_lo, s2
	s_cbranch_vccnz .LBB3_4
; %bb.3:
	s_load_b32 s12, s[12:13], 0x0
.LBB3_4:
	s_waitcnt lgkmcnt(0)
	v_cmp_eq_f32_e64 s2, s16, 0
	v_cmp_eq_f32_e64 s3, s12, 1.0
	s_delay_alu instid0(VALU_DEP_1) | instskip(NEXT) | instid1(SALU_CYCLE_1)
	s_and_b32 s2, s2, s3
	s_and_b32 vcc_lo, exec_lo, s2
	s_cbranch_vccnz .LBB3_23
; %bb.5:
	s_load_b64 s[2:3], s[0:1], 0x0
	v_lshrrev_b32_e32 v1, 5, v0
	s_delay_alu instid0(VALU_DEP_1) | instskip(SKIP_1) | instid1(VALU_DEP_1)
	v_lshl_or_b32 v1, s15, 2, v1
	s_waitcnt lgkmcnt(0)
	v_cmp_gt_i32_e32 vcc_lo, s2, v1
	s_and_saveexec_b32 s2, vcc_lo
	s_cbranch_execz .LBB3_23
; %bb.6:
	s_load_b256 s[4:11], s[0:1], 0x10
	v_ashrrev_i32_e32 v2, 31, v1
	v_and_b32_e32 v0, 31, v0
	s_cmp_lg_u32 s3, 0
	s_delay_alu instid0(VALU_DEP_2) | instskip(SKIP_1) | instid1(VALU_DEP_1)
	v_lshlrev_b64 v[2:3], 2, v[1:2]
	s_waitcnt lgkmcnt(0)
	v_add_co_u32 v2, vcc_lo, s4, v2
	s_delay_alu instid0(VALU_DEP_2) | instskip(SKIP_4) | instid1(VALU_DEP_2)
	v_add_co_ci_u32_e32 v3, vcc_lo, s5, v3, vcc_lo
	global_load_b64 v[2:3], v[2:3], off
	s_waitcnt vmcnt(0)
	v_subrev_nc_u32_e32 v2, s18, v2
	v_subrev_nc_u32_e32 v10, s18, v3
	v_add_nc_u32_e32 v2, v2, v0
	s_delay_alu instid0(VALU_DEP_1)
	v_cmp_lt_i32_e64 s2, v2, v10
	s_cbranch_scc0 .LBB3_12
; %bb.7:
	v_dual_mov_b32 v7, 0 :: v_dual_mov_b32 v8, 0
	v_mov_b32_e32 v9, 0
	s_mov_b32 s3, 0
	s_and_saveexec_b32 s4, s2
	s_cbranch_execz .LBB3_11
; %bb.8:
	v_dual_mov_b32 v4, 0 :: v_dual_mov_b32 v5, v2
	v_lshl_add_u32 v3, v2, 1, v2
	s_mov_b32 s5, 0
	s_delay_alu instid0(VALU_DEP_2)
	v_mov_b32_e32 v7, v4
	v_mov_b32_e32 v8, v4
	v_mov_b32_e32 v9, v4
.LBB3_9:                                ; =>This Inner Loop Header: Depth=1
	v_ashrrev_i32_e32 v6, 31, v5
	v_lshlrev_b64 v[15:16], 2, v[3:4]
	v_dual_mov_b32 v14, v4 :: v_dual_add_nc_u32 v13, 2, v3
	v_mov_b32_e32 v17, v4
	s_delay_alu instid0(VALU_DEP_4) | instskip(SKIP_1) | instid1(VALU_DEP_4)
	v_lshlrev_b64 v[11:12], 2, v[5:6]
	v_add_nc_u32_e32 v5, 32, v5
	v_lshlrev_b64 v[13:14], 2, v[13:14]
	s_delay_alu instid0(VALU_DEP_3) | instskip(NEXT) | instid1(VALU_DEP_4)
	v_add_co_u32 v11, vcc_lo, s6, v11
	v_add_co_ci_u32_e32 v12, vcc_lo, s7, v12, vcc_lo
	v_add_co_u32 v15, vcc_lo, s8, v15
	v_add_co_ci_u32_e32 v16, vcc_lo, s9, v16, vcc_lo
	global_load_b32 v6, v[11:12], off
	v_dual_mov_b32 v12, v4 :: v_dual_add_nc_u32 v11, 1, v3
	global_load_b32 v18, v[15:16], off
	v_add_nc_u32_e32 v3, 0x60, v3
	v_lshlrev_b64 v[11:12], 2, v[11:12]
	s_delay_alu instid0(VALU_DEP_1) | instskip(NEXT) | instid1(VALU_DEP_2)
	v_add_co_u32 v11, vcc_lo, s8, v11
	v_add_co_ci_u32_e32 v12, vcc_lo, s9, v12, vcc_lo
	v_add_co_u32 v13, vcc_lo, s8, v13
	v_add_co_ci_u32_e32 v14, vcc_lo, s9, v14, vcc_lo
	s_waitcnt vmcnt(1)
	v_subrev_nc_u32_e32 v16, s18, v6
	s_delay_alu instid0(VALU_DEP_1) | instskip(NEXT) | instid1(VALU_DEP_1)
	v_lshlrev_b64 v[15:16], 2, v[16:17]
	v_add_co_u32 v15, vcc_lo, s10, v15
	s_delay_alu instid0(VALU_DEP_2)
	v_add_co_ci_u32_e32 v16, vcc_lo, s11, v16, vcc_lo
	s_clause 0x1
	global_load_b32 v6, v[11:12], off
	global_load_b32 v11, v[13:14], off
	;; [unrolled: 1-line block ×3, first 2 shown]
	v_cmp_ge_i32_e32 vcc_lo, v5, v10
	s_or_b32 s5, vcc_lo, s5
	s_waitcnt vmcnt(0)
	v_fmac_f32_e32 v7, v18, v12
	v_fmac_f32_e32 v9, v6, v12
	v_fmac_f32_e32 v8, v11, v12
	s_and_not1_b32 exec_lo, exec_lo, s5
	s_cbranch_execnz .LBB3_9
; %bb.10:
	s_or_b32 exec_lo, exec_lo, s5
.LBB3_11:
	s_delay_alu instid0(SALU_CYCLE_1) | instskip(NEXT) | instid1(SALU_CYCLE_1)
	s_or_b32 exec_lo, exec_lo, s4
	s_and_not1_b32 vcc_lo, exec_lo, s3
	s_cbranch_vccz .LBB3_13
	s_branch .LBB3_18
.LBB3_12:
                                        ; implicit-def: $vgpr7
                                        ; implicit-def: $vgpr8
                                        ; implicit-def: $vgpr9
.LBB3_13:
	v_dual_mov_b32 v7, 0 :: v_dual_mov_b32 v8, 0
	v_mov_b32_e32 v9, 0
	s_delay_alu instid0(VALU_DEP_3)
	s_and_saveexec_b32 s3, s2
	s_cbranch_execz .LBB3_17
; %bb.14:
	v_mov_b32_e32 v5, 0
	v_lshl_add_u32 v4, v2, 1, v2
	s_mov_b32 s2, 0
	s_delay_alu instid0(VALU_DEP_2)
	v_mov_b32_e32 v7, v5
	v_mov_b32_e32 v8, v5
	;; [unrolled: 1-line block ×3, first 2 shown]
.LBB3_15:                               ; =>This Inner Loop Header: Depth=1
	v_ashrrev_i32_e32 v3, 31, v2
	v_lshlrev_b64 v[15:16], 2, v[4:5]
	v_dual_mov_b32 v14, v5 :: v_dual_add_nc_u32 v13, 2, v4
	v_mov_b32_e32 v17, v5
	s_delay_alu instid0(VALU_DEP_4) | instskip(SKIP_1) | instid1(VALU_DEP_4)
	v_lshlrev_b64 v[11:12], 2, v[2:3]
	v_add_nc_u32_e32 v2, 32, v2
	v_lshlrev_b64 v[13:14], 2, v[13:14]
	s_delay_alu instid0(VALU_DEP_3) | instskip(NEXT) | instid1(VALU_DEP_4)
	v_add_co_u32 v11, vcc_lo, s6, v11
	v_add_co_ci_u32_e32 v12, vcc_lo, s7, v12, vcc_lo
	v_add_co_u32 v15, vcc_lo, s8, v15
	v_add_co_ci_u32_e32 v16, vcc_lo, s9, v16, vcc_lo
	global_load_b32 v3, v[11:12], off
	v_dual_mov_b32 v12, v5 :: v_dual_add_nc_u32 v11, 1, v4
	global_load_b32 v6, v[15:16], off
	v_add_nc_u32_e32 v4, 0x60, v4
	v_lshlrev_b64 v[11:12], 2, v[11:12]
	s_delay_alu instid0(VALU_DEP_1) | instskip(NEXT) | instid1(VALU_DEP_2)
	v_add_co_u32 v11, vcc_lo, s8, v11
	v_add_co_ci_u32_e32 v12, vcc_lo, s9, v12, vcc_lo
	v_add_co_u32 v13, vcc_lo, s8, v13
	v_add_co_ci_u32_e32 v14, vcc_lo, s9, v14, vcc_lo
	s_waitcnt vmcnt(1)
	v_subrev_nc_u32_e32 v16, s18, v3
	s_delay_alu instid0(VALU_DEP_1) | instskip(NEXT) | instid1(VALU_DEP_1)
	v_lshlrev_b64 v[15:16], 2, v[16:17]
	v_add_co_u32 v15, vcc_lo, s10, v15
	s_delay_alu instid0(VALU_DEP_2)
	v_add_co_ci_u32_e32 v16, vcc_lo, s11, v16, vcc_lo
	s_clause 0x1
	global_load_b32 v3, v[11:12], off
	global_load_b32 v11, v[13:14], off
	;; [unrolled: 1-line block ×3, first 2 shown]
	v_cmp_ge_i32_e32 vcc_lo, v2, v10
	s_or_b32 s2, vcc_lo, s2
	s_waitcnt vmcnt(0)
	v_fmac_f32_e32 v7, v6, v12
	v_fmac_f32_e32 v9, v3, v12
	v_fmac_f32_e32 v8, v11, v12
	s_and_not1_b32 exec_lo, exec_lo, s2
	s_cbranch_execnz .LBB3_15
; %bb.16:
	s_or_b32 exec_lo, exec_lo, s2
.LBB3_17:
	s_delay_alu instid0(SALU_CYCLE_1)
	s_or_b32 exec_lo, exec_lo, s3
.LBB3_18:
	v_mbcnt_lo_u32_b32 v2, -1, 0
	s_mov_b32 s2, -1
	s_delay_alu instid0(VALU_DEP_1) | instskip(SKIP_1) | instid1(VALU_DEP_2)
	v_xor_b32_e32 v3, 16, v2
	v_xor_b32_e32 v6, 8, v2
	v_cmp_gt_i32_e32 vcc_lo, 32, v3
	v_cndmask_b32_e32 v3, v2, v3, vcc_lo
	s_delay_alu instid0(VALU_DEP_3) | instskip(SKIP_1) | instid1(VALU_DEP_1)
	v_cmp_gt_i32_e32 vcc_lo, 32, v6
	v_cndmask_b32_e32 v6, v2, v6, vcc_lo
	v_lshlrev_b32_e32 v6, 2, v6
	s_delay_alu instid0(VALU_DEP_4)
	v_lshlrev_b32_e32 v3, 2, v3
	ds_bpermute_b32 v4, v3, v7
	s_waitcnt lgkmcnt(0)
	v_add_f32_e32 v4, v7, v4
	ds_bpermute_b32 v5, v3, v9
	ds_bpermute_b32 v3, v3, v8
	;; [unrolled: 1-line block ×3, first 2 shown]
	s_waitcnt lgkmcnt(2)
	v_add_f32_e32 v5, v9, v5
	s_waitcnt lgkmcnt(1)
	v_add_f32_e32 v3, v8, v3
	v_xor_b32_e32 v9, 4, v2
	s_waitcnt lgkmcnt(0)
	v_add_f32_e32 v4, v4, v7
	ds_bpermute_b32 v8, v6, v5
	ds_bpermute_b32 v6, v6, v3
	v_cmp_gt_i32_e32 vcc_lo, 32, v9
	v_cndmask_b32_e32 v9, v2, v9, vcc_lo
	s_delay_alu instid0(VALU_DEP_1)
	v_lshlrev_b32_e32 v9, 2, v9
	s_waitcnt lgkmcnt(0)
	v_add_f32_e32 v3, v3, v6
	ds_bpermute_b32 v6, v9, v4
	s_waitcnt lgkmcnt(0)
	v_dual_add_f32 v4, v4, v6 :: v_dual_add_f32 v5, v5, v8
	ds_bpermute_b32 v8, v9, v3
	ds_bpermute_b32 v7, v9, v5
	v_xor_b32_e32 v9, 2, v2
	s_delay_alu instid0(VALU_DEP_1) | instskip(SKIP_2) | instid1(VALU_DEP_1)
	v_cmp_gt_i32_e32 vcc_lo, 32, v9
	s_waitcnt lgkmcnt(1)
	v_dual_cndmask_b32 v9, v2, v9 :: v_dual_add_f32 v6, v3, v8
	v_lshlrev_b32_e32 v9, 2, v9
	s_waitcnt lgkmcnt(0)
	v_add_f32_e32 v5, v5, v7
	ds_bpermute_b32 v3, v9, v4
	ds_bpermute_b32 v8, v9, v6
	;; [unrolled: 1-line block ×3, first 2 shown]
	v_xor_b32_e32 v9, 1, v2
	s_delay_alu instid0(VALU_DEP_1) | instskip(SKIP_3) | instid1(VALU_DEP_2)
	v_cmp_gt_i32_e32 vcc_lo, 32, v9
	v_cndmask_b32_e32 v2, v2, v9, vcc_lo
	v_cmp_eq_u32_e32 vcc_lo, 31, v0
	s_waitcnt lgkmcnt(2)
	v_dual_add_f32 v2, v4, v3 :: v_dual_lshlrev_b32 v9, 2, v2
	s_waitcnt lgkmcnt(0)
	v_dual_add_f32 v4, v6, v8 :: v_dual_add_f32 v3, v5, v7
	ds_bpermute_b32 v5, v9, v2
	ds_bpermute_b32 v7, v9, v4
	;; [unrolled: 1-line block ×3, first 2 shown]
	s_and_b32 exec_lo, exec_lo, vcc_lo
	s_cbranch_execz .LBB3_23
; %bb.19:
	s_load_b64 s[0:1], s[0:1], 0x38
	s_waitcnt lgkmcnt(0)
	v_add_f32_e32 v0, v2, v5
	v_add_f32_e32 v2, v3, v6
	;; [unrolled: 1-line block ×3, first 2 shown]
	v_lshl_add_u32 v3, v1, 1, v1
	v_cmp_eq_f32_e64 s3, s12, 0
	s_delay_alu instid0(VALU_DEP_4) | instskip(NEXT) | instid1(VALU_DEP_4)
	v_dual_mul_f32 v1, s16, v2 :: v_dual_mul_f32 v0, s16, v0
	v_mul_f32_e32 v2, s16, v4
	s_delay_alu instid0(VALU_DEP_4) | instskip(NEXT) | instid1(VALU_DEP_4)
	v_ashrrev_i32_e32 v4, 31, v3
	s_and_b32 vcc_lo, exec_lo, s3
	s_cbranch_vccz .LBB3_21
; %bb.20:
	s_delay_alu instid0(VALU_DEP_1) | instskip(SKIP_1) | instid1(VALU_DEP_1)
	v_lshlrev_b64 v[5:6], 2, v[3:4]
	s_mov_b32 s2, 0
	v_add_co_u32 v5, vcc_lo, s0, v5
	s_delay_alu instid0(VALU_DEP_2)
	v_add_co_ci_u32_e32 v6, vcc_lo, s1, v6, vcc_lo
	global_store_b96 v[5:6], v[0:2], off
.LBB3_21:
	s_and_not1_b32 vcc_lo, exec_lo, s2
	s_cbranch_vccnz .LBB3_23
; %bb.22:
	v_lshlrev_b64 v[3:4], 2, v[3:4]
	s_delay_alu instid0(VALU_DEP_1) | instskip(NEXT) | instid1(VALU_DEP_2)
	v_add_co_u32 v6, vcc_lo, s0, v3
	v_add_co_ci_u32_e32 v7, vcc_lo, s1, v4, vcc_lo
	global_load_b96 v[3:5], v[6:7], off
	s_waitcnt vmcnt(0)
	v_dual_fmac_f32 v0, s12, v3 :: v_dual_fmac_f32 v1, s12, v4
	v_fmac_f32_e32 v2, s12, v5
	global_store_b96 v[6:7], v[0:2], off
.LBB3_23:
	s_nop 0
	s_sendmsg sendmsg(MSG_DEALLOC_VGPRS)
	s_endpgm
	.section	.rodata,"a",@progbits
	.p2align	6, 0x0
	.amdhsa_kernel _ZN9rocsparseL19gebsrmvn_3xn_kernelILj128ELj1ELj32EfEEvi20rocsparse_direction_NS_24const_host_device_scalarIT2_EEPKiS6_PKS3_S8_S4_PS3_21rocsparse_index_base_b
		.amdhsa_group_segment_fixed_size 0
		.amdhsa_private_segment_fixed_size 0
		.amdhsa_kernarg_size 72
		.amdhsa_user_sgpr_count 15
		.amdhsa_user_sgpr_dispatch_ptr 0
		.amdhsa_user_sgpr_queue_ptr 0
		.amdhsa_user_sgpr_kernarg_segment_ptr 1
		.amdhsa_user_sgpr_dispatch_id 0
		.amdhsa_user_sgpr_private_segment_size 0
		.amdhsa_wavefront_size32 1
		.amdhsa_uses_dynamic_stack 0
		.amdhsa_enable_private_segment 0
		.amdhsa_system_sgpr_workgroup_id_x 1
		.amdhsa_system_sgpr_workgroup_id_y 0
		.amdhsa_system_sgpr_workgroup_id_z 0
		.amdhsa_system_sgpr_workgroup_info 0
		.amdhsa_system_vgpr_workitem_id 0
		.amdhsa_next_free_vgpr 19
		.amdhsa_next_free_sgpr 20
		.amdhsa_reserve_vcc 1
		.amdhsa_float_round_mode_32 0
		.amdhsa_float_round_mode_16_64 0
		.amdhsa_float_denorm_mode_32 3
		.amdhsa_float_denorm_mode_16_64 3
		.amdhsa_dx10_clamp 1
		.amdhsa_ieee_mode 1
		.amdhsa_fp16_overflow 0
		.amdhsa_workgroup_processor_mode 1
		.amdhsa_memory_ordered 1
		.amdhsa_forward_progress 0
		.amdhsa_shared_vgpr_count 0
		.amdhsa_exception_fp_ieee_invalid_op 0
		.amdhsa_exception_fp_denorm_src 0
		.amdhsa_exception_fp_ieee_div_zero 0
		.amdhsa_exception_fp_ieee_overflow 0
		.amdhsa_exception_fp_ieee_underflow 0
		.amdhsa_exception_fp_ieee_inexact 0
		.amdhsa_exception_int_div_zero 0
	.end_amdhsa_kernel
	.section	.text._ZN9rocsparseL19gebsrmvn_3xn_kernelILj128ELj1ELj32EfEEvi20rocsparse_direction_NS_24const_host_device_scalarIT2_EEPKiS6_PKS3_S8_S4_PS3_21rocsparse_index_base_b,"axG",@progbits,_ZN9rocsparseL19gebsrmvn_3xn_kernelILj128ELj1ELj32EfEEvi20rocsparse_direction_NS_24const_host_device_scalarIT2_EEPKiS6_PKS3_S8_S4_PS3_21rocsparse_index_base_b,comdat
.Lfunc_end3:
	.size	_ZN9rocsparseL19gebsrmvn_3xn_kernelILj128ELj1ELj32EfEEvi20rocsparse_direction_NS_24const_host_device_scalarIT2_EEPKiS6_PKS3_S8_S4_PS3_21rocsparse_index_base_b, .Lfunc_end3-_ZN9rocsparseL19gebsrmvn_3xn_kernelILj128ELj1ELj32EfEEvi20rocsparse_direction_NS_24const_host_device_scalarIT2_EEPKiS6_PKS3_S8_S4_PS3_21rocsparse_index_base_b
                                        ; -- End function
	.section	.AMDGPU.csdata,"",@progbits
; Kernel info:
; codeLenInByte = 1404
; NumSgprs: 22
; NumVgprs: 19
; ScratchSize: 0
; MemoryBound: 0
; FloatMode: 240
; IeeeMode: 1
; LDSByteSize: 0 bytes/workgroup (compile time only)
; SGPRBlocks: 2
; VGPRBlocks: 2
; NumSGPRsForWavesPerEU: 22
; NumVGPRsForWavesPerEU: 19
; Occupancy: 16
; WaveLimiterHint : 1
; COMPUTE_PGM_RSRC2:SCRATCH_EN: 0
; COMPUTE_PGM_RSRC2:USER_SGPR: 15
; COMPUTE_PGM_RSRC2:TRAP_HANDLER: 0
; COMPUTE_PGM_RSRC2:TGID_X_EN: 1
; COMPUTE_PGM_RSRC2:TGID_Y_EN: 0
; COMPUTE_PGM_RSRC2:TGID_Z_EN: 0
; COMPUTE_PGM_RSRC2:TIDIG_COMP_CNT: 0
	.section	.text._ZN9rocsparseL19gebsrmvn_3xn_kernelILj128ELj1ELj64EfEEvi20rocsparse_direction_NS_24const_host_device_scalarIT2_EEPKiS6_PKS3_S8_S4_PS3_21rocsparse_index_base_b,"axG",@progbits,_ZN9rocsparseL19gebsrmvn_3xn_kernelILj128ELj1ELj64EfEEvi20rocsparse_direction_NS_24const_host_device_scalarIT2_EEPKiS6_PKS3_S8_S4_PS3_21rocsparse_index_base_b,comdat
	.globl	_ZN9rocsparseL19gebsrmvn_3xn_kernelILj128ELj1ELj64EfEEvi20rocsparse_direction_NS_24const_host_device_scalarIT2_EEPKiS6_PKS3_S8_S4_PS3_21rocsparse_index_base_b ; -- Begin function _ZN9rocsparseL19gebsrmvn_3xn_kernelILj128ELj1ELj64EfEEvi20rocsparse_direction_NS_24const_host_device_scalarIT2_EEPKiS6_PKS3_S8_S4_PS3_21rocsparse_index_base_b
	.p2align	8
	.type	_ZN9rocsparseL19gebsrmvn_3xn_kernelILj128ELj1ELj64EfEEvi20rocsparse_direction_NS_24const_host_device_scalarIT2_EEPKiS6_PKS3_S8_S4_PS3_21rocsparse_index_base_b,@function
_ZN9rocsparseL19gebsrmvn_3xn_kernelILj128ELj1ELj64EfEEvi20rocsparse_direction_NS_24const_host_device_scalarIT2_EEPKiS6_PKS3_S8_S4_PS3_21rocsparse_index_base_b: ; @_ZN9rocsparseL19gebsrmvn_3xn_kernelILj128ELj1ELj64EfEEvi20rocsparse_direction_NS_24const_host_device_scalarIT2_EEPKiS6_PKS3_S8_S4_PS3_21rocsparse_index_base_b
; %bb.0:
	s_clause 0x2
	s_load_b64 s[18:19], s[0:1], 0x40
	s_load_b64 s[16:17], s[0:1], 0x8
	;; [unrolled: 1-line block ×3, first 2 shown]
	s_waitcnt lgkmcnt(0)
	s_bitcmp1_b32 s19, 0
	s_cselect_b32 s2, -1, 0
	s_delay_alu instid0(SALU_CYCLE_1)
	s_and_b32 vcc_lo, exec_lo, s2
	s_xor_b32 s2, s2, -1
	s_cbranch_vccnz .LBB4_2
; %bb.1:
	s_load_b32 s16, s[16:17], 0x0
.LBB4_2:
	s_and_not1_b32 vcc_lo, exec_lo, s2
	s_cbranch_vccnz .LBB4_4
; %bb.3:
	s_load_b32 s12, s[12:13], 0x0
.LBB4_4:
	s_waitcnt lgkmcnt(0)
	v_cmp_eq_f32_e64 s2, s16, 0
	v_cmp_eq_f32_e64 s3, s12, 1.0
	s_delay_alu instid0(VALU_DEP_1) | instskip(NEXT) | instid1(SALU_CYCLE_1)
	s_and_b32 s2, s2, s3
	s_and_b32 vcc_lo, exec_lo, s2
	s_cbranch_vccnz .LBB4_23
; %bb.5:
	s_load_b64 s[2:3], s[0:1], 0x0
	v_lshrrev_b32_e32 v1, 6, v0
	s_delay_alu instid0(VALU_DEP_1) | instskip(SKIP_1) | instid1(VALU_DEP_1)
	v_lshl_or_b32 v1, s15, 1, v1
	s_waitcnt lgkmcnt(0)
	v_cmp_gt_i32_e32 vcc_lo, s2, v1
	s_and_saveexec_b32 s2, vcc_lo
	s_cbranch_execz .LBB4_23
; %bb.6:
	s_load_b256 s[4:11], s[0:1], 0x10
	v_ashrrev_i32_e32 v2, 31, v1
	v_and_b32_e32 v0, 63, v0
	s_cmp_lg_u32 s3, 0
	s_delay_alu instid0(VALU_DEP_2) | instskip(SKIP_1) | instid1(VALU_DEP_1)
	v_lshlrev_b64 v[2:3], 2, v[1:2]
	s_waitcnt lgkmcnt(0)
	v_add_co_u32 v2, vcc_lo, s4, v2
	s_delay_alu instid0(VALU_DEP_2) | instskip(SKIP_4) | instid1(VALU_DEP_2)
	v_add_co_ci_u32_e32 v3, vcc_lo, s5, v3, vcc_lo
	global_load_b64 v[2:3], v[2:3], off
	s_waitcnt vmcnt(0)
	v_subrev_nc_u32_e32 v2, s18, v2
	v_subrev_nc_u32_e32 v10, s18, v3
	v_add_nc_u32_e32 v2, v2, v0
	s_delay_alu instid0(VALU_DEP_1)
	v_cmp_lt_i32_e64 s2, v2, v10
	s_cbranch_scc0 .LBB4_12
; %bb.7:
	v_dual_mov_b32 v7, 0 :: v_dual_mov_b32 v8, 0
	v_mov_b32_e32 v9, 0
	s_mov_b32 s3, 0
	s_and_saveexec_b32 s4, s2
	s_cbranch_execz .LBB4_11
; %bb.8:
	v_dual_mov_b32 v4, 0 :: v_dual_mov_b32 v5, v2
	v_lshl_add_u32 v3, v2, 1, v2
	s_mov_b32 s5, 0
	s_delay_alu instid0(VALU_DEP_2)
	v_mov_b32_e32 v7, v4
	v_mov_b32_e32 v8, v4
	;; [unrolled: 1-line block ×3, first 2 shown]
.LBB4_9:                                ; =>This Inner Loop Header: Depth=1
	v_ashrrev_i32_e32 v6, 31, v5
	v_lshlrev_b64 v[15:16], 2, v[3:4]
	v_dual_mov_b32 v14, v4 :: v_dual_add_nc_u32 v13, 2, v3
	v_mov_b32_e32 v17, v4
	s_delay_alu instid0(VALU_DEP_4) | instskip(SKIP_1) | instid1(VALU_DEP_4)
	v_lshlrev_b64 v[11:12], 2, v[5:6]
	v_add_nc_u32_e32 v5, 64, v5
	v_lshlrev_b64 v[13:14], 2, v[13:14]
	s_delay_alu instid0(VALU_DEP_3) | instskip(NEXT) | instid1(VALU_DEP_4)
	v_add_co_u32 v11, vcc_lo, s6, v11
	v_add_co_ci_u32_e32 v12, vcc_lo, s7, v12, vcc_lo
	v_add_co_u32 v15, vcc_lo, s8, v15
	v_add_co_ci_u32_e32 v16, vcc_lo, s9, v16, vcc_lo
	global_load_b32 v6, v[11:12], off
	v_dual_mov_b32 v12, v4 :: v_dual_add_nc_u32 v11, 1, v3
	global_load_b32 v18, v[15:16], off
	v_add_nc_u32_e32 v3, 0xc0, v3
	v_lshlrev_b64 v[11:12], 2, v[11:12]
	s_delay_alu instid0(VALU_DEP_1) | instskip(NEXT) | instid1(VALU_DEP_2)
	v_add_co_u32 v11, vcc_lo, s8, v11
	v_add_co_ci_u32_e32 v12, vcc_lo, s9, v12, vcc_lo
	v_add_co_u32 v13, vcc_lo, s8, v13
	v_add_co_ci_u32_e32 v14, vcc_lo, s9, v14, vcc_lo
	s_waitcnt vmcnt(1)
	v_subrev_nc_u32_e32 v16, s18, v6
	s_delay_alu instid0(VALU_DEP_1) | instskip(NEXT) | instid1(VALU_DEP_1)
	v_lshlrev_b64 v[15:16], 2, v[16:17]
	v_add_co_u32 v15, vcc_lo, s10, v15
	s_delay_alu instid0(VALU_DEP_2)
	v_add_co_ci_u32_e32 v16, vcc_lo, s11, v16, vcc_lo
	s_clause 0x1
	global_load_b32 v6, v[11:12], off
	global_load_b32 v11, v[13:14], off
	;; [unrolled: 1-line block ×3, first 2 shown]
	v_cmp_ge_i32_e32 vcc_lo, v5, v10
	s_or_b32 s5, vcc_lo, s5
	s_waitcnt vmcnt(0)
	v_fmac_f32_e32 v7, v18, v12
	v_fmac_f32_e32 v9, v6, v12
	;; [unrolled: 1-line block ×3, first 2 shown]
	s_and_not1_b32 exec_lo, exec_lo, s5
	s_cbranch_execnz .LBB4_9
; %bb.10:
	s_or_b32 exec_lo, exec_lo, s5
.LBB4_11:
	s_delay_alu instid0(SALU_CYCLE_1) | instskip(NEXT) | instid1(SALU_CYCLE_1)
	s_or_b32 exec_lo, exec_lo, s4
	s_and_not1_b32 vcc_lo, exec_lo, s3
	s_cbranch_vccz .LBB4_13
	s_branch .LBB4_18
.LBB4_12:
                                        ; implicit-def: $vgpr7
                                        ; implicit-def: $vgpr8
                                        ; implicit-def: $vgpr9
.LBB4_13:
	v_dual_mov_b32 v7, 0 :: v_dual_mov_b32 v8, 0
	v_mov_b32_e32 v9, 0
	s_delay_alu instid0(VALU_DEP_3)
	s_and_saveexec_b32 s3, s2
	s_cbranch_execz .LBB4_17
; %bb.14:
	v_mov_b32_e32 v5, 0
	v_lshl_add_u32 v4, v2, 1, v2
	s_mov_b32 s2, 0
	s_delay_alu instid0(VALU_DEP_2)
	v_mov_b32_e32 v7, v5
	v_mov_b32_e32 v8, v5
	;; [unrolled: 1-line block ×3, first 2 shown]
.LBB4_15:                               ; =>This Inner Loop Header: Depth=1
	v_ashrrev_i32_e32 v3, 31, v2
	v_lshlrev_b64 v[15:16], 2, v[4:5]
	v_dual_mov_b32 v14, v5 :: v_dual_add_nc_u32 v13, 2, v4
	v_mov_b32_e32 v17, v5
	s_delay_alu instid0(VALU_DEP_4) | instskip(SKIP_1) | instid1(VALU_DEP_4)
	v_lshlrev_b64 v[11:12], 2, v[2:3]
	v_add_nc_u32_e32 v2, 64, v2
	v_lshlrev_b64 v[13:14], 2, v[13:14]
	s_delay_alu instid0(VALU_DEP_3) | instskip(NEXT) | instid1(VALU_DEP_4)
	v_add_co_u32 v11, vcc_lo, s6, v11
	v_add_co_ci_u32_e32 v12, vcc_lo, s7, v12, vcc_lo
	v_add_co_u32 v15, vcc_lo, s8, v15
	v_add_co_ci_u32_e32 v16, vcc_lo, s9, v16, vcc_lo
	global_load_b32 v3, v[11:12], off
	v_dual_mov_b32 v12, v5 :: v_dual_add_nc_u32 v11, 1, v4
	global_load_b32 v6, v[15:16], off
	v_add_nc_u32_e32 v4, 0xc0, v4
	v_lshlrev_b64 v[11:12], 2, v[11:12]
	s_delay_alu instid0(VALU_DEP_1) | instskip(NEXT) | instid1(VALU_DEP_2)
	v_add_co_u32 v11, vcc_lo, s8, v11
	v_add_co_ci_u32_e32 v12, vcc_lo, s9, v12, vcc_lo
	v_add_co_u32 v13, vcc_lo, s8, v13
	v_add_co_ci_u32_e32 v14, vcc_lo, s9, v14, vcc_lo
	s_waitcnt vmcnt(1)
	v_subrev_nc_u32_e32 v16, s18, v3
	s_delay_alu instid0(VALU_DEP_1) | instskip(NEXT) | instid1(VALU_DEP_1)
	v_lshlrev_b64 v[15:16], 2, v[16:17]
	v_add_co_u32 v15, vcc_lo, s10, v15
	s_delay_alu instid0(VALU_DEP_2)
	v_add_co_ci_u32_e32 v16, vcc_lo, s11, v16, vcc_lo
	s_clause 0x1
	global_load_b32 v3, v[11:12], off
	global_load_b32 v11, v[13:14], off
	;; [unrolled: 1-line block ×3, first 2 shown]
	v_cmp_ge_i32_e32 vcc_lo, v2, v10
	s_or_b32 s2, vcc_lo, s2
	s_waitcnt vmcnt(0)
	v_fmac_f32_e32 v7, v6, v12
	v_fmac_f32_e32 v9, v3, v12
	;; [unrolled: 1-line block ×3, first 2 shown]
	s_and_not1_b32 exec_lo, exec_lo, s2
	s_cbranch_execnz .LBB4_15
; %bb.16:
	s_or_b32 exec_lo, exec_lo, s2
.LBB4_17:
	s_delay_alu instid0(SALU_CYCLE_1)
	s_or_b32 exec_lo, exec_lo, s3
.LBB4_18:
	v_mbcnt_lo_u32_b32 v2, -1, 0
	s_mov_b32 s2, -1
	s_delay_alu instid0(VALU_DEP_1) | instskip(SKIP_1) | instid1(VALU_DEP_2)
	v_or_b32_e32 v3, 32, v2
	v_xor_b32_e32 v6, 16, v2
	v_cmp_gt_i32_e32 vcc_lo, 32, v3
	v_cndmask_b32_e32 v3, v2, v3, vcc_lo
	s_delay_alu instid0(VALU_DEP_3) | instskip(SKIP_1) | instid1(VALU_DEP_1)
	v_cmp_gt_i32_e32 vcc_lo, 32, v6
	v_cndmask_b32_e32 v6, v2, v6, vcc_lo
	v_lshlrev_b32_e32 v6, 2, v6
	s_delay_alu instid0(VALU_DEP_4)
	v_lshlrev_b32_e32 v3, 2, v3
	ds_bpermute_b32 v4, v3, v7
	s_waitcnt lgkmcnt(0)
	v_add_f32_e32 v4, v7, v4
	ds_bpermute_b32 v5, v3, v9
	ds_bpermute_b32 v3, v3, v8
	;; [unrolled: 1-line block ×3, first 2 shown]
	s_waitcnt lgkmcnt(2)
	v_add_f32_e32 v5, v9, v5
	s_waitcnt lgkmcnt(1)
	v_add_f32_e32 v3, v8, v3
	v_xor_b32_e32 v9, 8, v2
	s_waitcnt lgkmcnt(0)
	v_add_f32_e32 v4, v4, v7
	ds_bpermute_b32 v8, v6, v5
	ds_bpermute_b32 v6, v6, v3
	v_cmp_gt_i32_e32 vcc_lo, 32, v9
	v_cndmask_b32_e32 v9, v2, v9, vcc_lo
	s_delay_alu instid0(VALU_DEP_1)
	v_lshlrev_b32_e32 v9, 2, v9
	s_waitcnt lgkmcnt(0)
	v_add_f32_e32 v3, v3, v6
	ds_bpermute_b32 v6, v9, v4
	s_waitcnt lgkmcnt(0)
	v_dual_add_f32 v4, v4, v6 :: v_dual_add_f32 v5, v5, v8
	ds_bpermute_b32 v8, v9, v3
	ds_bpermute_b32 v7, v9, v5
	v_xor_b32_e32 v9, 4, v2
	s_delay_alu instid0(VALU_DEP_1) | instskip(SKIP_3) | instid1(VALU_DEP_1)
	v_cmp_gt_i32_e32 vcc_lo, 32, v9
	s_waitcnt lgkmcnt(1)
	v_add_f32_e32 v3, v3, v8
	v_cndmask_b32_e32 v9, v2, v9, vcc_lo
	v_lshlrev_b32_e32 v9, 2, v9
	ds_bpermute_b32 v6, v9, v4
	ds_bpermute_b32 v8, v9, v3
	s_waitcnt lgkmcnt(1)
	v_dual_add_f32 v4, v4, v6 :: v_dual_add_f32 v5, v5, v7
	s_waitcnt lgkmcnt(0)
	v_add_f32_e32 v6, v3, v8
	ds_bpermute_b32 v7, v9, v5
	v_xor_b32_e32 v9, 2, v2
	s_delay_alu instid0(VALU_DEP_1) | instskip(SKIP_1) | instid1(VALU_DEP_1)
	v_cmp_gt_i32_e32 vcc_lo, 32, v9
	v_cndmask_b32_e32 v9, v2, v9, vcc_lo
	v_lshlrev_b32_e32 v9, 2, v9
	s_waitcnt lgkmcnt(0)
	v_add_f32_e32 v5, v5, v7
	ds_bpermute_b32 v3, v9, v4
	ds_bpermute_b32 v8, v9, v6
	;; [unrolled: 1-line block ×3, first 2 shown]
	v_xor_b32_e32 v9, 1, v2
	s_delay_alu instid0(VALU_DEP_1) | instskip(SKIP_3) | instid1(VALU_DEP_2)
	v_cmp_gt_i32_e32 vcc_lo, 32, v9
	v_cndmask_b32_e32 v2, v2, v9, vcc_lo
	v_cmp_eq_u32_e32 vcc_lo, 63, v0
	s_waitcnt lgkmcnt(2)
	v_dual_add_f32 v2, v4, v3 :: v_dual_lshlrev_b32 v9, 2, v2
	s_waitcnt lgkmcnt(0)
	v_dual_add_f32 v4, v6, v8 :: v_dual_add_f32 v3, v5, v7
	ds_bpermute_b32 v5, v9, v2
	ds_bpermute_b32 v7, v9, v4
	;; [unrolled: 1-line block ×3, first 2 shown]
	s_and_b32 exec_lo, exec_lo, vcc_lo
	s_cbranch_execz .LBB4_23
; %bb.19:
	s_load_b64 s[0:1], s[0:1], 0x38
	s_waitcnt lgkmcnt(0)
	v_add_f32_e32 v0, v2, v5
	v_add_f32_e32 v2, v3, v6
	;; [unrolled: 1-line block ×3, first 2 shown]
	v_lshl_add_u32 v3, v1, 1, v1
	v_cmp_eq_f32_e64 s3, s12, 0
	s_delay_alu instid0(VALU_DEP_4) | instskip(NEXT) | instid1(VALU_DEP_4)
	v_dual_mul_f32 v1, s16, v2 :: v_dual_mul_f32 v0, s16, v0
	v_mul_f32_e32 v2, s16, v4
	s_delay_alu instid0(VALU_DEP_4) | instskip(NEXT) | instid1(VALU_DEP_4)
	v_ashrrev_i32_e32 v4, 31, v3
	s_and_b32 vcc_lo, exec_lo, s3
	s_cbranch_vccz .LBB4_21
; %bb.20:
	s_delay_alu instid0(VALU_DEP_1) | instskip(SKIP_1) | instid1(VALU_DEP_1)
	v_lshlrev_b64 v[5:6], 2, v[3:4]
	s_mov_b32 s2, 0
	v_add_co_u32 v5, vcc_lo, s0, v5
	s_delay_alu instid0(VALU_DEP_2)
	v_add_co_ci_u32_e32 v6, vcc_lo, s1, v6, vcc_lo
	global_store_b96 v[5:6], v[0:2], off
.LBB4_21:
	s_and_not1_b32 vcc_lo, exec_lo, s2
	s_cbranch_vccnz .LBB4_23
; %bb.22:
	v_lshlrev_b64 v[3:4], 2, v[3:4]
	s_delay_alu instid0(VALU_DEP_1) | instskip(NEXT) | instid1(VALU_DEP_2)
	v_add_co_u32 v6, vcc_lo, s0, v3
	v_add_co_ci_u32_e32 v7, vcc_lo, s1, v4, vcc_lo
	global_load_b96 v[3:5], v[6:7], off
	s_waitcnt vmcnt(0)
	v_dual_fmac_f32 v0, s12, v3 :: v_dual_fmac_f32 v1, s12, v4
	v_fmac_f32_e32 v2, s12, v5
	global_store_b96 v[6:7], v[0:2], off
.LBB4_23:
	s_nop 0
	s_sendmsg sendmsg(MSG_DEALLOC_VGPRS)
	s_endpgm
	.section	.rodata,"a",@progbits
	.p2align	6, 0x0
	.amdhsa_kernel _ZN9rocsparseL19gebsrmvn_3xn_kernelILj128ELj1ELj64EfEEvi20rocsparse_direction_NS_24const_host_device_scalarIT2_EEPKiS6_PKS3_S8_S4_PS3_21rocsparse_index_base_b
		.amdhsa_group_segment_fixed_size 0
		.amdhsa_private_segment_fixed_size 0
		.amdhsa_kernarg_size 72
		.amdhsa_user_sgpr_count 15
		.amdhsa_user_sgpr_dispatch_ptr 0
		.amdhsa_user_sgpr_queue_ptr 0
		.amdhsa_user_sgpr_kernarg_segment_ptr 1
		.amdhsa_user_sgpr_dispatch_id 0
		.amdhsa_user_sgpr_private_segment_size 0
		.amdhsa_wavefront_size32 1
		.amdhsa_uses_dynamic_stack 0
		.amdhsa_enable_private_segment 0
		.amdhsa_system_sgpr_workgroup_id_x 1
		.amdhsa_system_sgpr_workgroup_id_y 0
		.amdhsa_system_sgpr_workgroup_id_z 0
		.amdhsa_system_sgpr_workgroup_info 0
		.amdhsa_system_vgpr_workitem_id 0
		.amdhsa_next_free_vgpr 19
		.amdhsa_next_free_sgpr 20
		.amdhsa_reserve_vcc 1
		.amdhsa_float_round_mode_32 0
		.amdhsa_float_round_mode_16_64 0
		.amdhsa_float_denorm_mode_32 3
		.amdhsa_float_denorm_mode_16_64 3
		.amdhsa_dx10_clamp 1
		.amdhsa_ieee_mode 1
		.amdhsa_fp16_overflow 0
		.amdhsa_workgroup_processor_mode 1
		.amdhsa_memory_ordered 1
		.amdhsa_forward_progress 0
		.amdhsa_shared_vgpr_count 0
		.amdhsa_exception_fp_ieee_invalid_op 0
		.amdhsa_exception_fp_denorm_src 0
		.amdhsa_exception_fp_ieee_div_zero 0
		.amdhsa_exception_fp_ieee_overflow 0
		.amdhsa_exception_fp_ieee_underflow 0
		.amdhsa_exception_fp_ieee_inexact 0
		.amdhsa_exception_int_div_zero 0
	.end_amdhsa_kernel
	.section	.text._ZN9rocsparseL19gebsrmvn_3xn_kernelILj128ELj1ELj64EfEEvi20rocsparse_direction_NS_24const_host_device_scalarIT2_EEPKiS6_PKS3_S8_S4_PS3_21rocsparse_index_base_b,"axG",@progbits,_ZN9rocsparseL19gebsrmvn_3xn_kernelILj128ELj1ELj64EfEEvi20rocsparse_direction_NS_24const_host_device_scalarIT2_EEPKiS6_PKS3_S8_S4_PS3_21rocsparse_index_base_b,comdat
.Lfunc_end4:
	.size	_ZN9rocsparseL19gebsrmvn_3xn_kernelILj128ELj1ELj64EfEEvi20rocsparse_direction_NS_24const_host_device_scalarIT2_EEPKiS6_PKS3_S8_S4_PS3_21rocsparse_index_base_b, .Lfunc_end4-_ZN9rocsparseL19gebsrmvn_3xn_kernelILj128ELj1ELj64EfEEvi20rocsparse_direction_NS_24const_host_device_scalarIT2_EEPKiS6_PKS3_S8_S4_PS3_21rocsparse_index_base_b
                                        ; -- End function
	.section	.AMDGPU.csdata,"",@progbits
; Kernel info:
; codeLenInByte = 1468
; NumSgprs: 22
; NumVgprs: 19
; ScratchSize: 0
; MemoryBound: 0
; FloatMode: 240
; IeeeMode: 1
; LDSByteSize: 0 bytes/workgroup (compile time only)
; SGPRBlocks: 2
; VGPRBlocks: 2
; NumSGPRsForWavesPerEU: 22
; NumVGPRsForWavesPerEU: 19
; Occupancy: 16
; WaveLimiterHint : 1
; COMPUTE_PGM_RSRC2:SCRATCH_EN: 0
; COMPUTE_PGM_RSRC2:USER_SGPR: 15
; COMPUTE_PGM_RSRC2:TRAP_HANDLER: 0
; COMPUTE_PGM_RSRC2:TGID_X_EN: 1
; COMPUTE_PGM_RSRC2:TGID_Y_EN: 0
; COMPUTE_PGM_RSRC2:TGID_Z_EN: 0
; COMPUTE_PGM_RSRC2:TIDIG_COMP_CNT: 0
	.section	.text._ZN9rocsparseL19gebsrmvn_3xn_kernelILj128ELj2ELj4EfEEvi20rocsparse_direction_NS_24const_host_device_scalarIT2_EEPKiS6_PKS3_S8_S4_PS3_21rocsparse_index_base_b,"axG",@progbits,_ZN9rocsparseL19gebsrmvn_3xn_kernelILj128ELj2ELj4EfEEvi20rocsparse_direction_NS_24const_host_device_scalarIT2_EEPKiS6_PKS3_S8_S4_PS3_21rocsparse_index_base_b,comdat
	.globl	_ZN9rocsparseL19gebsrmvn_3xn_kernelILj128ELj2ELj4EfEEvi20rocsparse_direction_NS_24const_host_device_scalarIT2_EEPKiS6_PKS3_S8_S4_PS3_21rocsparse_index_base_b ; -- Begin function _ZN9rocsparseL19gebsrmvn_3xn_kernelILj128ELj2ELj4EfEEvi20rocsparse_direction_NS_24const_host_device_scalarIT2_EEPKiS6_PKS3_S8_S4_PS3_21rocsparse_index_base_b
	.p2align	8
	.type	_ZN9rocsparseL19gebsrmvn_3xn_kernelILj128ELj2ELj4EfEEvi20rocsparse_direction_NS_24const_host_device_scalarIT2_EEPKiS6_PKS3_S8_S4_PS3_21rocsparse_index_base_b,@function
_ZN9rocsparseL19gebsrmvn_3xn_kernelILj128ELj2ELj4EfEEvi20rocsparse_direction_NS_24const_host_device_scalarIT2_EEPKiS6_PKS3_S8_S4_PS3_21rocsparse_index_base_b: ; @_ZN9rocsparseL19gebsrmvn_3xn_kernelILj128ELj2ELj4EfEEvi20rocsparse_direction_NS_24const_host_device_scalarIT2_EEPKiS6_PKS3_S8_S4_PS3_21rocsparse_index_base_b
; %bb.0:
	s_clause 0x2
	s_load_b64 s[18:19], s[0:1], 0x40
	s_load_b64 s[16:17], s[0:1], 0x8
	;; [unrolled: 1-line block ×3, first 2 shown]
	s_waitcnt lgkmcnt(0)
	s_bitcmp1_b32 s19, 0
	s_cselect_b32 s2, -1, 0
	s_delay_alu instid0(SALU_CYCLE_1)
	s_and_b32 vcc_lo, exec_lo, s2
	s_xor_b32 s2, s2, -1
	s_cbranch_vccnz .LBB5_2
; %bb.1:
	s_load_b32 s16, s[16:17], 0x0
.LBB5_2:
	s_and_not1_b32 vcc_lo, exec_lo, s2
	s_cbranch_vccnz .LBB5_4
; %bb.3:
	s_load_b32 s12, s[12:13], 0x0
.LBB5_4:
	s_waitcnt lgkmcnt(0)
	v_cmp_eq_f32_e64 s2, s16, 0
	v_cmp_eq_f32_e64 s3, s12, 1.0
	s_delay_alu instid0(VALU_DEP_1) | instskip(NEXT) | instid1(SALU_CYCLE_1)
	s_and_b32 s2, s2, s3
	s_and_b32 vcc_lo, exec_lo, s2
	s_cbranch_vccnz .LBB5_23
; %bb.5:
	s_load_b64 s[2:3], s[0:1], 0x0
	v_lshrrev_b32_e32 v1, 2, v0
	s_delay_alu instid0(VALU_DEP_1) | instskip(SKIP_1) | instid1(VALU_DEP_1)
	v_lshl_or_b32 v1, s15, 5, v1
	s_waitcnt lgkmcnt(0)
	v_cmp_gt_i32_e32 vcc_lo, s2, v1
	s_and_saveexec_b32 s2, vcc_lo
	s_cbranch_execz .LBB5_23
; %bb.6:
	s_load_b256 s[4:11], s[0:1], 0x10
	v_ashrrev_i32_e32 v2, 31, v1
	v_and_b32_e32 v0, 3, v0
	s_cmp_lg_u32 s3, 0
	s_delay_alu instid0(VALU_DEP_2) | instskip(SKIP_1) | instid1(VALU_DEP_1)
	v_lshlrev_b64 v[2:3], 2, v[1:2]
	s_waitcnt lgkmcnt(0)
	v_add_co_u32 v2, vcc_lo, s4, v2
	s_delay_alu instid0(VALU_DEP_2) | instskip(SKIP_4) | instid1(VALU_DEP_2)
	v_add_co_ci_u32_e32 v3, vcc_lo, s5, v3, vcc_lo
	global_load_b64 v[2:3], v[2:3], off
	s_waitcnt vmcnt(0)
	v_subrev_nc_u32_e32 v2, s18, v2
	v_subrev_nc_u32_e32 v12, s18, v3
	v_add_nc_u32_e32 v2, v2, v0
	s_delay_alu instid0(VALU_DEP_1)
	v_cmp_lt_i32_e64 s2, v2, v12
	s_cbranch_scc0 .LBB5_12
; %bb.7:
	v_dual_mov_b32 v9, 0 :: v_dual_mov_b32 v10, 0
	v_mov_b32_e32 v11, 0
	s_mov_b32 s4, 0
	s_and_saveexec_b32 s5, s2
	s_cbranch_execz .LBB5_11
; %bb.8:
	v_mad_u64_u32 v[3:4], null, v2, 6, 5
	v_dual_mov_b32 v6, 0 :: v_dual_mov_b32 v7, v2
	v_dual_mov_b32 v9, 0 :: v_dual_mov_b32 v10, 0
	v_mov_b32_e32 v11, 0
	s_mov_b32 s13, 0
.LBB5_9:                                ; =>This Inner Loop Header: Depth=1
	s_delay_alu instid0(VALU_DEP_3) | instskip(SKIP_1) | instid1(VALU_DEP_2)
	v_ashrrev_i32_e32 v8, 31, v7
	v_mov_b32_e32 v14, v6
	v_lshlrev_b64 v[4:5], 2, v[7:8]
	v_add_nc_u32_e32 v7, 4, v7
	s_delay_alu instid0(VALU_DEP_2) | instskip(NEXT) | instid1(VALU_DEP_3)
	v_add_co_u32 v4, vcc_lo, s6, v4
	v_add_co_ci_u32_e32 v5, vcc_lo, s7, v5, vcc_lo
	global_load_b32 v8, v[4:5], off
	v_dual_mov_b32 v4, v6 :: v_dual_add_nc_u32 v5, -5, v3
	s_delay_alu instid0(VALU_DEP_1) | instskip(SKIP_1) | instid1(VALU_DEP_3)
	v_lshlrev_b64 v[15:16], 2, v[5:6]
	v_add_nc_u32_e32 v5, -3, v3
	v_lshlrev_b64 v[17:18], 2, v[3:4]
	s_delay_alu instid0(VALU_DEP_2) | instskip(NEXT) | instid1(VALU_DEP_4)
	v_lshlrev_b64 v[19:20], 2, v[5:6]
	v_add_co_u32 v15, vcc_lo, s8, v15
	v_add_co_ci_u32_e32 v16, vcc_lo, s9, v16, vcc_lo
	s_delay_alu instid0(VALU_DEP_4)
	v_add_co_u32 v17, vcc_lo, s8, v17
	v_add_co_ci_u32_e32 v18, vcc_lo, s9, v18, vcc_lo
	v_add_co_u32 v19, vcc_lo, s8, v19
	v_add_co_ci_u32_e32 v20, vcc_lo, s9, v20, vcc_lo
	s_clause 0x1
	global_load_b64 v[15:16], v[15:16], off
	global_load_b32 v23, v[19:20], off
	v_add_nc_u32_e32 v5, -2, v3
	s_delay_alu instid0(VALU_DEP_1) | instskip(SKIP_2) | instid1(VALU_DEP_2)
	v_lshlrev_b64 v[21:22], 2, v[5:6]
	v_add_nc_u32_e32 v5, -1, v3
	v_add_nc_u32_e32 v3, 24, v3
	v_lshlrev_b64 v[4:5], 2, v[5:6]
	s_delay_alu instid0(VALU_DEP_4) | instskip(SKIP_1) | instid1(VALU_DEP_3)
	v_add_co_u32 v19, vcc_lo, s8, v21
	v_add_co_ci_u32_e32 v20, vcc_lo, s9, v22, vcc_lo
	v_add_co_u32 v4, vcc_lo, s8, v4
	s_delay_alu instid0(VALU_DEP_4) | instskip(SKIP_4) | instid1(VALU_DEP_1)
	v_add_co_ci_u32_e32 v5, vcc_lo, s9, v5, vcc_lo
	v_cmp_ge_i32_e32 vcc_lo, v7, v12
	s_or_b32 s13, vcc_lo, s13
	s_waitcnt vmcnt(2)
	v_subrev_nc_u32_e32 v8, s18, v8
	v_lshlrev_b32_e32 v13, 1, v8
	s_delay_alu instid0(VALU_DEP_1) | instskip(NEXT) | instid1(VALU_DEP_1)
	v_lshlrev_b64 v[13:14], 2, v[13:14]
	v_add_co_u32 v13, s3, s10, v13
	s_delay_alu instid0(VALU_DEP_1)
	v_add_co_ci_u32_e64 v14, s3, s11, v14, s3
	global_load_b64 v[13:14], v[13:14], off
	s_clause 0x2
	global_load_b32 v8, v[19:20], off
	global_load_b32 v4, v[4:5], off
	;; [unrolled: 1-line block ×3, first 2 shown]
	s_waitcnt vmcnt(3)
	v_fmac_f32_e32 v9, v15, v13
	v_fmac_f32_e32 v11, v16, v13
	s_waitcnt vmcnt(2)
	s_delay_alu instid0(VALU_DEP_2) | instskip(SKIP_1) | instid1(VALU_DEP_2)
	v_dual_fmac_f32 v10, v23, v13 :: v_dual_fmac_f32 v9, v8, v14
	s_waitcnt vmcnt(1)
	v_fmac_f32_e32 v11, v4, v14
	s_waitcnt vmcnt(0)
	s_delay_alu instid0(VALU_DEP_2)
	v_fmac_f32_e32 v10, v5, v14
	s_and_not1_b32 exec_lo, exec_lo, s13
	s_cbranch_execnz .LBB5_9
; %bb.10:
	s_or_b32 exec_lo, exec_lo, s13
.LBB5_11:
	s_delay_alu instid0(SALU_CYCLE_1) | instskip(NEXT) | instid1(SALU_CYCLE_1)
	s_or_b32 exec_lo, exec_lo, s5
	s_and_not1_b32 vcc_lo, exec_lo, s4
	s_cbranch_vccz .LBB5_13
	s_branch .LBB5_18
.LBB5_12:
                                        ; implicit-def: $vgpr9
                                        ; implicit-def: $vgpr10
                                        ; implicit-def: $vgpr11
.LBB5_13:
	v_dual_mov_b32 v9, 0 :: v_dual_mov_b32 v10, 0
	v_mov_b32_e32 v11, 0
	s_delay_alu instid0(VALU_DEP_3)
	s_and_saveexec_b32 s3, s2
	s_cbranch_execz .LBB5_17
; %bb.14:
	v_mad_u64_u32 v[4:5], null, v2, 6, 5
	v_dual_mov_b32 v7, 0 :: v_dual_mov_b32 v10, 0
	v_mov_b32_e32 v9, 0
	v_mov_b32_e32 v11, 0
	s_mov_b32 s2, 0
.LBB5_15:                               ; =>This Inner Loop Header: Depth=1
	v_ashrrev_i32_e32 v3, 31, v2
	v_dual_mov_b32 v14, v7 :: v_dual_add_nc_u32 v13, -3, v4
	v_dual_mov_b32 v16, v7 :: v_dual_add_nc_u32 v15, -1, v4
	s_delay_alu instid0(VALU_DEP_3) | instskip(SKIP_1) | instid1(VALU_DEP_4)
	v_lshlrev_b64 v[5:6], 2, v[2:3]
	v_mov_b32_e32 v17, v7
	v_lshlrev_b64 v[13:14], 2, v[13:14]
	s_delay_alu instid0(VALU_DEP_4) | instskip(NEXT) | instid1(VALU_DEP_4)
	v_lshlrev_b64 v[15:16], 2, v[15:16]
	v_add_co_u32 v5, vcc_lo, s6, v5
	v_add_co_ci_u32_e32 v6, vcc_lo, s7, v6, vcc_lo
	global_load_b32 v3, v[5:6], off
	v_dual_mov_b32 v5, v7 :: v_dual_add_nc_u32 v6, -5, v4
	s_delay_alu instid0(VALU_DEP_1) | instskip(SKIP_1) | instid1(VALU_DEP_3)
	v_lshlrev_b64 v[18:19], 2, v[6:7]
	v_add_nc_u32_e32 v6, -2, v4
	v_lshlrev_b64 v[20:21], 2, v[4:5]
	s_delay_alu instid0(VALU_DEP_2) | instskip(NEXT) | instid1(VALU_DEP_4)
	v_lshlrev_b64 v[5:6], 2, v[6:7]
	v_add_co_u32 v18, vcc_lo, s8, v18
	v_add_co_ci_u32_e32 v19, vcc_lo, s9, v19, vcc_lo
	v_add_co_u32 v13, vcc_lo, s8, v13
	v_add_co_ci_u32_e32 v14, vcc_lo, s9, v14, vcc_lo
	;; [unrolled: 2-line block ×3, first 2 shown]
	global_load_b64 v[18:19], v[18:19], off
	v_add_co_u32 v20, vcc_lo, s8, v20
	v_add_co_ci_u32_e32 v21, vcc_lo, s9, v21, vcc_lo
	v_add_co_u32 v5, vcc_lo, s8, v5
	v_add_co_ci_u32_e32 v6, vcc_lo, s9, v6, vcc_lo
	s_waitcnt vmcnt(1)
	v_subrev_nc_u32_e32 v3, s18, v3
	s_delay_alu instid0(VALU_DEP_1) | instskip(NEXT) | instid1(VALU_DEP_1)
	v_lshlrev_b32_e32 v16, 1, v3
	v_lshlrev_b64 v[15:16], 2, v[16:17]
	s_delay_alu instid0(VALU_DEP_1) | instskip(NEXT) | instid1(VALU_DEP_2)
	v_add_co_u32 v15, vcc_lo, s10, v15
	v_add_co_ci_u32_e32 v16, vcc_lo, s11, v16, vcc_lo
	s_clause 0x1
	global_load_b32 v3, v[13:14], off
	global_load_b32 v8, v[22:23], off
	global_load_b64 v[13:14], v[15:16], off
	s_clause 0x1
	global_load_b32 v5, v[5:6], off
	global_load_b32 v6, v[20:21], off
	s_waitcnt vmcnt(2)
	v_dual_fmac_f32 v11, v3, v13 :: v_dual_add_nc_u32 v2, 4, v2
	v_fmac_f32_e32 v9, v18, v13
	v_fmac_f32_e32 v10, v8, v13
	s_delay_alu instid0(VALU_DEP_3)
	v_cmp_ge_i32_e32 vcc_lo, v2, v12
	s_waitcnt vmcnt(1)
	v_dual_fmac_f32 v11, v5, v14 :: v_dual_add_nc_u32 v4, 24, v4
	v_fmac_f32_e32 v9, v19, v14
	s_waitcnt vmcnt(0)
	v_fmac_f32_e32 v10, v6, v14
	s_or_b32 s2, vcc_lo, s2
	s_delay_alu instid0(SALU_CYCLE_1)
	s_and_not1_b32 exec_lo, exec_lo, s2
	s_cbranch_execnz .LBB5_15
; %bb.16:
	s_or_b32 exec_lo, exec_lo, s2
.LBB5_17:
	s_delay_alu instid0(SALU_CYCLE_1)
	s_or_b32 exec_lo, exec_lo, s3
.LBB5_18:
	v_mbcnt_lo_u32_b32 v2, -1, 0
	s_mov_b32 s2, -1
	s_delay_alu instid0(VALU_DEP_1) | instskip(NEXT) | instid1(VALU_DEP_1)
	v_xor_b32_e32 v3, 2, v2
	v_cmp_gt_i32_e32 vcc_lo, 32, v3
	v_cndmask_b32_e32 v3, v2, v3, vcc_lo
	s_delay_alu instid0(VALU_DEP_1) | instskip(SKIP_4) | instid1(VALU_DEP_1)
	v_lshlrev_b32_e32 v3, 2, v3
	ds_bpermute_b32 v4, v3, v9
	ds_bpermute_b32 v5, v3, v11
	;; [unrolled: 1-line block ×3, first 2 shown]
	v_xor_b32_e32 v3, 1, v2
	v_cmp_gt_i32_e32 vcc_lo, 32, v3
	v_cndmask_b32_e32 v2, v2, v3, vcc_lo
	v_cmp_eq_u32_e32 vcc_lo, 3, v0
	s_waitcnt lgkmcnt(1)
	v_add_f32_e32 v3, v11, v5
	s_delay_alu instid0(VALU_DEP_3)
	v_dual_add_f32 v2, v9, v4 :: v_dual_lshlrev_b32 v7, 2, v2
	s_waitcnt lgkmcnt(0)
	v_add_f32_e32 v4, v10, v6
	ds_bpermute_b32 v6, v7, v3
	ds_bpermute_b32 v5, v7, v2
	;; [unrolled: 1-line block ×3, first 2 shown]
	s_and_b32 exec_lo, exec_lo, vcc_lo
	s_cbranch_execz .LBB5_23
; %bb.19:
	s_load_b64 s[0:1], s[0:1], 0x38
	s_waitcnt lgkmcnt(0)
	v_add_f32_e32 v0, v2, v5
	v_add_f32_e32 v2, v3, v6
	v_add_f32_e32 v4, v4, v7
	v_lshl_add_u32 v3, v1, 1, v1
	v_cmp_eq_f32_e64 s3, s12, 0
	s_delay_alu instid0(VALU_DEP_4) | instskip(NEXT) | instid1(VALU_DEP_4)
	v_dual_mul_f32 v1, s16, v2 :: v_dual_mul_f32 v0, s16, v0
	v_mul_f32_e32 v2, s16, v4
	s_delay_alu instid0(VALU_DEP_4) | instskip(NEXT) | instid1(VALU_DEP_4)
	v_ashrrev_i32_e32 v4, 31, v3
	s_and_b32 vcc_lo, exec_lo, s3
	s_cbranch_vccz .LBB5_21
; %bb.20:
	s_delay_alu instid0(VALU_DEP_1) | instskip(SKIP_1) | instid1(VALU_DEP_1)
	v_lshlrev_b64 v[5:6], 2, v[3:4]
	s_mov_b32 s2, 0
	v_add_co_u32 v5, vcc_lo, s0, v5
	s_delay_alu instid0(VALU_DEP_2)
	v_add_co_ci_u32_e32 v6, vcc_lo, s1, v6, vcc_lo
	global_store_b96 v[5:6], v[0:2], off
.LBB5_21:
	s_and_not1_b32 vcc_lo, exec_lo, s2
	s_cbranch_vccnz .LBB5_23
; %bb.22:
	v_lshlrev_b64 v[3:4], 2, v[3:4]
	s_delay_alu instid0(VALU_DEP_1) | instskip(NEXT) | instid1(VALU_DEP_2)
	v_add_co_u32 v6, vcc_lo, s0, v3
	v_add_co_ci_u32_e32 v7, vcc_lo, s1, v4, vcc_lo
	global_load_b96 v[3:5], v[6:7], off
	s_waitcnt vmcnt(0)
	v_dual_fmac_f32 v0, s12, v3 :: v_dual_fmac_f32 v1, s12, v4
	v_fmac_f32_e32 v2, s12, v5
	global_store_b96 v[6:7], v[0:2], off
.LBB5_23:
	s_nop 0
	s_sendmsg sendmsg(MSG_DEALLOC_VGPRS)
	s_endpgm
	.section	.rodata,"a",@progbits
	.p2align	6, 0x0
	.amdhsa_kernel _ZN9rocsparseL19gebsrmvn_3xn_kernelILj128ELj2ELj4EfEEvi20rocsparse_direction_NS_24const_host_device_scalarIT2_EEPKiS6_PKS3_S8_S4_PS3_21rocsparse_index_base_b
		.amdhsa_group_segment_fixed_size 0
		.amdhsa_private_segment_fixed_size 0
		.amdhsa_kernarg_size 72
		.amdhsa_user_sgpr_count 15
		.amdhsa_user_sgpr_dispatch_ptr 0
		.amdhsa_user_sgpr_queue_ptr 0
		.amdhsa_user_sgpr_kernarg_segment_ptr 1
		.amdhsa_user_sgpr_dispatch_id 0
		.amdhsa_user_sgpr_private_segment_size 0
		.amdhsa_wavefront_size32 1
		.amdhsa_uses_dynamic_stack 0
		.amdhsa_enable_private_segment 0
		.amdhsa_system_sgpr_workgroup_id_x 1
		.amdhsa_system_sgpr_workgroup_id_y 0
		.amdhsa_system_sgpr_workgroup_id_z 0
		.amdhsa_system_sgpr_workgroup_info 0
		.amdhsa_system_vgpr_workitem_id 0
		.amdhsa_next_free_vgpr 24
		.amdhsa_next_free_sgpr 20
		.amdhsa_reserve_vcc 1
		.amdhsa_float_round_mode_32 0
		.amdhsa_float_round_mode_16_64 0
		.amdhsa_float_denorm_mode_32 3
		.amdhsa_float_denorm_mode_16_64 3
		.amdhsa_dx10_clamp 1
		.amdhsa_ieee_mode 1
		.amdhsa_fp16_overflow 0
		.amdhsa_workgroup_processor_mode 1
		.amdhsa_memory_ordered 1
		.amdhsa_forward_progress 0
		.amdhsa_shared_vgpr_count 0
		.amdhsa_exception_fp_ieee_invalid_op 0
		.amdhsa_exception_fp_denorm_src 0
		.amdhsa_exception_fp_ieee_div_zero 0
		.amdhsa_exception_fp_ieee_overflow 0
		.amdhsa_exception_fp_ieee_underflow 0
		.amdhsa_exception_fp_ieee_inexact 0
		.amdhsa_exception_int_div_zero 0
	.end_amdhsa_kernel
	.section	.text._ZN9rocsparseL19gebsrmvn_3xn_kernelILj128ELj2ELj4EfEEvi20rocsparse_direction_NS_24const_host_device_scalarIT2_EEPKiS6_PKS3_S8_S4_PS3_21rocsparse_index_base_b,"axG",@progbits,_ZN9rocsparseL19gebsrmvn_3xn_kernelILj128ELj2ELj4EfEEvi20rocsparse_direction_NS_24const_host_device_scalarIT2_EEPKiS6_PKS3_S8_S4_PS3_21rocsparse_index_base_b,comdat
.Lfunc_end5:
	.size	_ZN9rocsparseL19gebsrmvn_3xn_kernelILj128ELj2ELj4EfEEvi20rocsparse_direction_NS_24const_host_device_scalarIT2_EEPKiS6_PKS3_S8_S4_PS3_21rocsparse_index_base_b, .Lfunc_end5-_ZN9rocsparseL19gebsrmvn_3xn_kernelILj128ELj2ELj4EfEEvi20rocsparse_direction_NS_24const_host_device_scalarIT2_EEPKiS6_PKS3_S8_S4_PS3_21rocsparse_index_base_b
                                        ; -- End function
	.section	.AMDGPU.csdata,"",@progbits
; Kernel info:
; codeLenInByte = 1420
; NumSgprs: 22
; NumVgprs: 24
; ScratchSize: 0
; MemoryBound: 0
; FloatMode: 240
; IeeeMode: 1
; LDSByteSize: 0 bytes/workgroup (compile time only)
; SGPRBlocks: 2
; VGPRBlocks: 2
; NumSGPRsForWavesPerEU: 22
; NumVGPRsForWavesPerEU: 24
; Occupancy: 16
; WaveLimiterHint : 1
; COMPUTE_PGM_RSRC2:SCRATCH_EN: 0
; COMPUTE_PGM_RSRC2:USER_SGPR: 15
; COMPUTE_PGM_RSRC2:TRAP_HANDLER: 0
; COMPUTE_PGM_RSRC2:TGID_X_EN: 1
; COMPUTE_PGM_RSRC2:TGID_Y_EN: 0
; COMPUTE_PGM_RSRC2:TGID_Z_EN: 0
; COMPUTE_PGM_RSRC2:TIDIG_COMP_CNT: 0
	.section	.text._ZN9rocsparseL19gebsrmvn_3xn_kernelILj128ELj2ELj8EfEEvi20rocsparse_direction_NS_24const_host_device_scalarIT2_EEPKiS6_PKS3_S8_S4_PS3_21rocsparse_index_base_b,"axG",@progbits,_ZN9rocsparseL19gebsrmvn_3xn_kernelILj128ELj2ELj8EfEEvi20rocsparse_direction_NS_24const_host_device_scalarIT2_EEPKiS6_PKS3_S8_S4_PS3_21rocsparse_index_base_b,comdat
	.globl	_ZN9rocsparseL19gebsrmvn_3xn_kernelILj128ELj2ELj8EfEEvi20rocsparse_direction_NS_24const_host_device_scalarIT2_EEPKiS6_PKS3_S8_S4_PS3_21rocsparse_index_base_b ; -- Begin function _ZN9rocsparseL19gebsrmvn_3xn_kernelILj128ELj2ELj8EfEEvi20rocsparse_direction_NS_24const_host_device_scalarIT2_EEPKiS6_PKS3_S8_S4_PS3_21rocsparse_index_base_b
	.p2align	8
	.type	_ZN9rocsparseL19gebsrmvn_3xn_kernelILj128ELj2ELj8EfEEvi20rocsparse_direction_NS_24const_host_device_scalarIT2_EEPKiS6_PKS3_S8_S4_PS3_21rocsparse_index_base_b,@function
_ZN9rocsparseL19gebsrmvn_3xn_kernelILj128ELj2ELj8EfEEvi20rocsparse_direction_NS_24const_host_device_scalarIT2_EEPKiS6_PKS3_S8_S4_PS3_21rocsparse_index_base_b: ; @_ZN9rocsparseL19gebsrmvn_3xn_kernelILj128ELj2ELj8EfEEvi20rocsparse_direction_NS_24const_host_device_scalarIT2_EEPKiS6_PKS3_S8_S4_PS3_21rocsparse_index_base_b
; %bb.0:
	s_clause 0x2
	s_load_b64 s[18:19], s[0:1], 0x40
	s_load_b64 s[16:17], s[0:1], 0x8
	;; [unrolled: 1-line block ×3, first 2 shown]
	s_waitcnt lgkmcnt(0)
	s_bitcmp1_b32 s19, 0
	s_cselect_b32 s2, -1, 0
	s_delay_alu instid0(SALU_CYCLE_1)
	s_and_b32 vcc_lo, exec_lo, s2
	s_xor_b32 s2, s2, -1
	s_cbranch_vccnz .LBB6_2
; %bb.1:
	s_load_b32 s16, s[16:17], 0x0
.LBB6_2:
	s_and_not1_b32 vcc_lo, exec_lo, s2
	s_cbranch_vccnz .LBB6_4
; %bb.3:
	s_load_b32 s12, s[12:13], 0x0
.LBB6_4:
	s_waitcnt lgkmcnt(0)
	v_cmp_eq_f32_e64 s2, s16, 0
	v_cmp_eq_f32_e64 s3, s12, 1.0
	s_delay_alu instid0(VALU_DEP_1) | instskip(NEXT) | instid1(SALU_CYCLE_1)
	s_and_b32 s2, s2, s3
	s_and_b32 vcc_lo, exec_lo, s2
	s_cbranch_vccnz .LBB6_23
; %bb.5:
	s_load_b64 s[2:3], s[0:1], 0x0
	v_lshrrev_b32_e32 v1, 3, v0
	s_delay_alu instid0(VALU_DEP_1) | instskip(SKIP_1) | instid1(VALU_DEP_1)
	v_lshl_or_b32 v1, s15, 4, v1
	s_waitcnt lgkmcnt(0)
	v_cmp_gt_i32_e32 vcc_lo, s2, v1
	s_and_saveexec_b32 s2, vcc_lo
	s_cbranch_execz .LBB6_23
; %bb.6:
	s_load_b256 s[4:11], s[0:1], 0x10
	v_ashrrev_i32_e32 v2, 31, v1
	v_and_b32_e32 v0, 7, v0
	s_cmp_lg_u32 s3, 0
	s_delay_alu instid0(VALU_DEP_2) | instskip(SKIP_1) | instid1(VALU_DEP_1)
	v_lshlrev_b64 v[2:3], 2, v[1:2]
	s_waitcnt lgkmcnt(0)
	v_add_co_u32 v2, vcc_lo, s4, v2
	s_delay_alu instid0(VALU_DEP_2) | instskip(SKIP_4) | instid1(VALU_DEP_2)
	v_add_co_ci_u32_e32 v3, vcc_lo, s5, v3, vcc_lo
	global_load_b64 v[2:3], v[2:3], off
	s_waitcnt vmcnt(0)
	v_subrev_nc_u32_e32 v2, s18, v2
	v_subrev_nc_u32_e32 v12, s18, v3
	v_add_nc_u32_e32 v2, v2, v0
	s_delay_alu instid0(VALU_DEP_1)
	v_cmp_lt_i32_e64 s2, v2, v12
	s_cbranch_scc0 .LBB6_12
; %bb.7:
	v_dual_mov_b32 v9, 0 :: v_dual_mov_b32 v10, 0
	v_mov_b32_e32 v11, 0
	s_mov_b32 s4, 0
	s_and_saveexec_b32 s5, s2
	s_cbranch_execz .LBB6_11
; %bb.8:
	v_mad_u64_u32 v[3:4], null, v2, 6, 5
	v_dual_mov_b32 v6, 0 :: v_dual_mov_b32 v7, v2
	v_dual_mov_b32 v9, 0 :: v_dual_mov_b32 v10, 0
	v_mov_b32_e32 v11, 0
	s_mov_b32 s13, 0
.LBB6_9:                                ; =>This Inner Loop Header: Depth=1
	s_delay_alu instid0(VALU_DEP_3) | instskip(SKIP_1) | instid1(VALU_DEP_2)
	v_ashrrev_i32_e32 v8, 31, v7
	v_mov_b32_e32 v14, v6
	v_lshlrev_b64 v[4:5], 2, v[7:8]
	v_add_nc_u32_e32 v7, 8, v7
	s_delay_alu instid0(VALU_DEP_2) | instskip(NEXT) | instid1(VALU_DEP_3)
	v_add_co_u32 v4, vcc_lo, s6, v4
	v_add_co_ci_u32_e32 v5, vcc_lo, s7, v5, vcc_lo
	global_load_b32 v8, v[4:5], off
	v_dual_mov_b32 v4, v6 :: v_dual_add_nc_u32 v5, -5, v3
	s_delay_alu instid0(VALU_DEP_1) | instskip(SKIP_1) | instid1(VALU_DEP_3)
	v_lshlrev_b64 v[15:16], 2, v[5:6]
	v_add_nc_u32_e32 v5, -3, v3
	v_lshlrev_b64 v[17:18], 2, v[3:4]
	s_delay_alu instid0(VALU_DEP_2) | instskip(NEXT) | instid1(VALU_DEP_4)
	v_lshlrev_b64 v[19:20], 2, v[5:6]
	v_add_co_u32 v15, vcc_lo, s8, v15
	v_add_co_ci_u32_e32 v16, vcc_lo, s9, v16, vcc_lo
	s_delay_alu instid0(VALU_DEP_4)
	v_add_co_u32 v17, vcc_lo, s8, v17
	v_add_co_ci_u32_e32 v18, vcc_lo, s9, v18, vcc_lo
	v_add_co_u32 v19, vcc_lo, s8, v19
	v_add_co_ci_u32_e32 v20, vcc_lo, s9, v20, vcc_lo
	s_clause 0x1
	global_load_b64 v[15:16], v[15:16], off
	global_load_b32 v23, v[19:20], off
	v_add_nc_u32_e32 v5, -2, v3
	s_delay_alu instid0(VALU_DEP_1) | instskip(SKIP_2) | instid1(VALU_DEP_2)
	v_lshlrev_b64 v[21:22], 2, v[5:6]
	v_add_nc_u32_e32 v5, -1, v3
	v_add_nc_u32_e32 v3, 48, v3
	v_lshlrev_b64 v[4:5], 2, v[5:6]
	s_delay_alu instid0(VALU_DEP_4) | instskip(SKIP_1) | instid1(VALU_DEP_3)
	v_add_co_u32 v19, vcc_lo, s8, v21
	v_add_co_ci_u32_e32 v20, vcc_lo, s9, v22, vcc_lo
	v_add_co_u32 v4, vcc_lo, s8, v4
	s_delay_alu instid0(VALU_DEP_4) | instskip(SKIP_4) | instid1(VALU_DEP_1)
	v_add_co_ci_u32_e32 v5, vcc_lo, s9, v5, vcc_lo
	v_cmp_ge_i32_e32 vcc_lo, v7, v12
	s_or_b32 s13, vcc_lo, s13
	s_waitcnt vmcnt(2)
	v_subrev_nc_u32_e32 v8, s18, v8
	v_lshlrev_b32_e32 v13, 1, v8
	s_delay_alu instid0(VALU_DEP_1) | instskip(NEXT) | instid1(VALU_DEP_1)
	v_lshlrev_b64 v[13:14], 2, v[13:14]
	v_add_co_u32 v13, s3, s10, v13
	s_delay_alu instid0(VALU_DEP_1)
	v_add_co_ci_u32_e64 v14, s3, s11, v14, s3
	global_load_b64 v[13:14], v[13:14], off
	s_clause 0x2
	global_load_b32 v8, v[19:20], off
	global_load_b32 v4, v[4:5], off
	global_load_b32 v5, v[17:18], off
	s_waitcnt vmcnt(3)
	v_fmac_f32_e32 v9, v15, v13
	v_fmac_f32_e32 v11, v16, v13
	s_waitcnt vmcnt(2)
	s_delay_alu instid0(VALU_DEP_2) | instskip(SKIP_1) | instid1(VALU_DEP_2)
	v_dual_fmac_f32 v10, v23, v13 :: v_dual_fmac_f32 v9, v8, v14
	s_waitcnt vmcnt(1)
	v_fmac_f32_e32 v11, v4, v14
	s_waitcnt vmcnt(0)
	s_delay_alu instid0(VALU_DEP_2)
	v_fmac_f32_e32 v10, v5, v14
	s_and_not1_b32 exec_lo, exec_lo, s13
	s_cbranch_execnz .LBB6_9
; %bb.10:
	s_or_b32 exec_lo, exec_lo, s13
.LBB6_11:
	s_delay_alu instid0(SALU_CYCLE_1) | instskip(NEXT) | instid1(SALU_CYCLE_1)
	s_or_b32 exec_lo, exec_lo, s5
	s_and_not1_b32 vcc_lo, exec_lo, s4
	s_cbranch_vccz .LBB6_13
	s_branch .LBB6_18
.LBB6_12:
                                        ; implicit-def: $vgpr9
                                        ; implicit-def: $vgpr10
                                        ; implicit-def: $vgpr11
.LBB6_13:
	v_dual_mov_b32 v9, 0 :: v_dual_mov_b32 v10, 0
	v_mov_b32_e32 v11, 0
	s_delay_alu instid0(VALU_DEP_3)
	s_and_saveexec_b32 s3, s2
	s_cbranch_execz .LBB6_17
; %bb.14:
	v_mad_u64_u32 v[4:5], null, v2, 6, 5
	v_dual_mov_b32 v7, 0 :: v_dual_mov_b32 v10, 0
	v_mov_b32_e32 v9, 0
	v_mov_b32_e32 v11, 0
	s_mov_b32 s2, 0
.LBB6_15:                               ; =>This Inner Loop Header: Depth=1
	v_ashrrev_i32_e32 v3, 31, v2
	v_dual_mov_b32 v14, v7 :: v_dual_add_nc_u32 v13, -3, v4
	v_dual_mov_b32 v16, v7 :: v_dual_add_nc_u32 v15, -1, v4
	s_delay_alu instid0(VALU_DEP_3) | instskip(SKIP_1) | instid1(VALU_DEP_4)
	v_lshlrev_b64 v[5:6], 2, v[2:3]
	v_mov_b32_e32 v17, v7
	v_lshlrev_b64 v[13:14], 2, v[13:14]
	s_delay_alu instid0(VALU_DEP_4) | instskip(NEXT) | instid1(VALU_DEP_4)
	v_lshlrev_b64 v[15:16], 2, v[15:16]
	v_add_co_u32 v5, vcc_lo, s6, v5
	v_add_co_ci_u32_e32 v6, vcc_lo, s7, v6, vcc_lo
	global_load_b32 v3, v[5:6], off
	v_dual_mov_b32 v5, v7 :: v_dual_add_nc_u32 v6, -5, v4
	s_delay_alu instid0(VALU_DEP_1) | instskip(SKIP_1) | instid1(VALU_DEP_3)
	v_lshlrev_b64 v[18:19], 2, v[6:7]
	v_add_nc_u32_e32 v6, -2, v4
	v_lshlrev_b64 v[20:21], 2, v[4:5]
	s_delay_alu instid0(VALU_DEP_2) | instskip(NEXT) | instid1(VALU_DEP_4)
	v_lshlrev_b64 v[5:6], 2, v[6:7]
	v_add_co_u32 v18, vcc_lo, s8, v18
	v_add_co_ci_u32_e32 v19, vcc_lo, s9, v19, vcc_lo
	v_add_co_u32 v13, vcc_lo, s8, v13
	v_add_co_ci_u32_e32 v14, vcc_lo, s9, v14, vcc_lo
	;; [unrolled: 2-line block ×3, first 2 shown]
	global_load_b64 v[18:19], v[18:19], off
	v_add_co_u32 v20, vcc_lo, s8, v20
	v_add_co_ci_u32_e32 v21, vcc_lo, s9, v21, vcc_lo
	v_add_co_u32 v5, vcc_lo, s8, v5
	v_add_co_ci_u32_e32 v6, vcc_lo, s9, v6, vcc_lo
	s_waitcnt vmcnt(1)
	v_subrev_nc_u32_e32 v3, s18, v3
	s_delay_alu instid0(VALU_DEP_1) | instskip(NEXT) | instid1(VALU_DEP_1)
	v_lshlrev_b32_e32 v16, 1, v3
	v_lshlrev_b64 v[15:16], 2, v[16:17]
	s_delay_alu instid0(VALU_DEP_1) | instskip(NEXT) | instid1(VALU_DEP_2)
	v_add_co_u32 v15, vcc_lo, s10, v15
	v_add_co_ci_u32_e32 v16, vcc_lo, s11, v16, vcc_lo
	s_clause 0x1
	global_load_b32 v3, v[13:14], off
	global_load_b32 v8, v[22:23], off
	global_load_b64 v[13:14], v[15:16], off
	s_clause 0x1
	global_load_b32 v5, v[5:6], off
	global_load_b32 v6, v[20:21], off
	s_waitcnt vmcnt(2)
	v_dual_fmac_f32 v11, v3, v13 :: v_dual_add_nc_u32 v2, 8, v2
	v_fmac_f32_e32 v9, v18, v13
	v_fmac_f32_e32 v10, v8, v13
	s_delay_alu instid0(VALU_DEP_3)
	v_cmp_ge_i32_e32 vcc_lo, v2, v12
	s_waitcnt vmcnt(1)
	v_dual_fmac_f32 v11, v5, v14 :: v_dual_add_nc_u32 v4, 48, v4
	v_fmac_f32_e32 v9, v19, v14
	s_waitcnt vmcnt(0)
	v_fmac_f32_e32 v10, v6, v14
	s_or_b32 s2, vcc_lo, s2
	s_delay_alu instid0(SALU_CYCLE_1)
	s_and_not1_b32 exec_lo, exec_lo, s2
	s_cbranch_execnz .LBB6_15
; %bb.16:
	s_or_b32 exec_lo, exec_lo, s2
.LBB6_17:
	s_delay_alu instid0(SALU_CYCLE_1)
	s_or_b32 exec_lo, exec_lo, s3
.LBB6_18:
	v_mbcnt_lo_u32_b32 v2, -1, 0
	s_mov_b32 s2, -1
	s_delay_alu instid0(VALU_DEP_1) | instskip(SKIP_1) | instid1(VALU_DEP_2)
	v_xor_b32_e32 v3, 4, v2
	v_xor_b32_e32 v6, 2, v2
	v_cmp_gt_i32_e32 vcc_lo, 32, v3
	v_cndmask_b32_e32 v3, v2, v3, vcc_lo
	s_delay_alu instid0(VALU_DEP_3) | instskip(SKIP_1) | instid1(VALU_DEP_1)
	v_cmp_gt_i32_e32 vcc_lo, 32, v6
	v_cndmask_b32_e32 v6, v2, v6, vcc_lo
	v_lshlrev_b32_e32 v6, 2, v6
	s_delay_alu instid0(VALU_DEP_4)
	v_lshlrev_b32_e32 v3, 2, v3
	ds_bpermute_b32 v4, v3, v9
	s_waitcnt lgkmcnt(0)
	v_add_f32_e32 v4, v9, v4
	ds_bpermute_b32 v5, v3, v11
	ds_bpermute_b32 v3, v3, v10
	v_xor_b32_e32 v9, 1, v2
	s_delay_alu instid0(VALU_DEP_1)
	v_cmp_gt_i32_e32 vcc_lo, 32, v9
	s_waitcnt lgkmcnt(1)
	v_add_f32_e32 v5, v11, v5
	s_waitcnt lgkmcnt(0)
	v_add_f32_e32 v7, v10, v3
	ds_bpermute_b32 v3, v6, v4
	ds_bpermute_b32 v8, v6, v5
	;; [unrolled: 1-line block ×3, first 2 shown]
	v_cndmask_b32_e32 v2, v2, v9, vcc_lo
	v_cmp_eq_u32_e32 vcc_lo, 7, v0
	s_waitcnt lgkmcnt(2)
	s_delay_alu instid0(VALU_DEP_2)
	v_dual_add_f32 v2, v4, v3 :: v_dual_lshlrev_b32 v9, 2, v2
	s_waitcnt lgkmcnt(0)
	v_dual_add_f32 v3, v5, v8 :: v_dual_add_f32 v4, v7, v6
	ds_bpermute_b32 v5, v9, v2
	ds_bpermute_b32 v6, v9, v3
	;; [unrolled: 1-line block ×3, first 2 shown]
	s_and_b32 exec_lo, exec_lo, vcc_lo
	s_cbranch_execz .LBB6_23
; %bb.19:
	s_load_b64 s[0:1], s[0:1], 0x38
	s_waitcnt lgkmcnt(0)
	v_add_f32_e32 v0, v2, v5
	v_add_f32_e32 v2, v3, v6
	;; [unrolled: 1-line block ×3, first 2 shown]
	v_lshl_add_u32 v3, v1, 1, v1
	v_cmp_eq_f32_e64 s3, s12, 0
	s_delay_alu instid0(VALU_DEP_4) | instskip(NEXT) | instid1(VALU_DEP_4)
	v_dual_mul_f32 v1, s16, v2 :: v_dual_mul_f32 v0, s16, v0
	v_mul_f32_e32 v2, s16, v4
	s_delay_alu instid0(VALU_DEP_4) | instskip(NEXT) | instid1(VALU_DEP_4)
	v_ashrrev_i32_e32 v4, 31, v3
	s_and_b32 vcc_lo, exec_lo, s3
	s_cbranch_vccz .LBB6_21
; %bb.20:
	s_delay_alu instid0(VALU_DEP_1) | instskip(SKIP_1) | instid1(VALU_DEP_1)
	v_lshlrev_b64 v[5:6], 2, v[3:4]
	s_mov_b32 s2, 0
	v_add_co_u32 v5, vcc_lo, s0, v5
	s_delay_alu instid0(VALU_DEP_2)
	v_add_co_ci_u32_e32 v6, vcc_lo, s1, v6, vcc_lo
	global_store_b96 v[5:6], v[0:2], off
.LBB6_21:
	s_and_not1_b32 vcc_lo, exec_lo, s2
	s_cbranch_vccnz .LBB6_23
; %bb.22:
	v_lshlrev_b64 v[3:4], 2, v[3:4]
	s_delay_alu instid0(VALU_DEP_1) | instskip(NEXT) | instid1(VALU_DEP_2)
	v_add_co_u32 v6, vcc_lo, s0, v3
	v_add_co_ci_u32_e32 v7, vcc_lo, s1, v4, vcc_lo
	global_load_b96 v[3:5], v[6:7], off
	s_waitcnt vmcnt(0)
	v_dual_fmac_f32 v0, s12, v3 :: v_dual_fmac_f32 v1, s12, v4
	v_fmac_f32_e32 v2, s12, v5
	global_store_b96 v[6:7], v[0:2], off
.LBB6_23:
	s_nop 0
	s_sendmsg sendmsg(MSG_DEALLOC_VGPRS)
	s_endpgm
	.section	.rodata,"a",@progbits
	.p2align	6, 0x0
	.amdhsa_kernel _ZN9rocsparseL19gebsrmvn_3xn_kernelILj128ELj2ELj8EfEEvi20rocsparse_direction_NS_24const_host_device_scalarIT2_EEPKiS6_PKS3_S8_S4_PS3_21rocsparse_index_base_b
		.amdhsa_group_segment_fixed_size 0
		.amdhsa_private_segment_fixed_size 0
		.amdhsa_kernarg_size 72
		.amdhsa_user_sgpr_count 15
		.amdhsa_user_sgpr_dispatch_ptr 0
		.amdhsa_user_sgpr_queue_ptr 0
		.amdhsa_user_sgpr_kernarg_segment_ptr 1
		.amdhsa_user_sgpr_dispatch_id 0
		.amdhsa_user_sgpr_private_segment_size 0
		.amdhsa_wavefront_size32 1
		.amdhsa_uses_dynamic_stack 0
		.amdhsa_enable_private_segment 0
		.amdhsa_system_sgpr_workgroup_id_x 1
		.amdhsa_system_sgpr_workgroup_id_y 0
		.amdhsa_system_sgpr_workgroup_id_z 0
		.amdhsa_system_sgpr_workgroup_info 0
		.amdhsa_system_vgpr_workitem_id 0
		.amdhsa_next_free_vgpr 24
		.amdhsa_next_free_sgpr 20
		.amdhsa_reserve_vcc 1
		.amdhsa_float_round_mode_32 0
		.amdhsa_float_round_mode_16_64 0
		.amdhsa_float_denorm_mode_32 3
		.amdhsa_float_denorm_mode_16_64 3
		.amdhsa_dx10_clamp 1
		.amdhsa_ieee_mode 1
		.amdhsa_fp16_overflow 0
		.amdhsa_workgroup_processor_mode 1
		.amdhsa_memory_ordered 1
		.amdhsa_forward_progress 0
		.amdhsa_shared_vgpr_count 0
		.amdhsa_exception_fp_ieee_invalid_op 0
		.amdhsa_exception_fp_denorm_src 0
		.amdhsa_exception_fp_ieee_div_zero 0
		.amdhsa_exception_fp_ieee_overflow 0
		.amdhsa_exception_fp_ieee_underflow 0
		.amdhsa_exception_fp_ieee_inexact 0
		.amdhsa_exception_int_div_zero 0
	.end_amdhsa_kernel
	.section	.text._ZN9rocsparseL19gebsrmvn_3xn_kernelILj128ELj2ELj8EfEEvi20rocsparse_direction_NS_24const_host_device_scalarIT2_EEPKiS6_PKS3_S8_S4_PS3_21rocsparse_index_base_b,"axG",@progbits,_ZN9rocsparseL19gebsrmvn_3xn_kernelILj128ELj2ELj8EfEEvi20rocsparse_direction_NS_24const_host_device_scalarIT2_EEPKiS6_PKS3_S8_S4_PS3_21rocsparse_index_base_b,comdat
.Lfunc_end6:
	.size	_ZN9rocsparseL19gebsrmvn_3xn_kernelILj128ELj2ELj8EfEEvi20rocsparse_direction_NS_24const_host_device_scalarIT2_EEPKiS6_PKS3_S8_S4_PS3_21rocsparse_index_base_b, .Lfunc_end6-_ZN9rocsparseL19gebsrmvn_3xn_kernelILj128ELj2ELj8EfEEvi20rocsparse_direction_NS_24const_host_device_scalarIT2_EEPKiS6_PKS3_S8_S4_PS3_21rocsparse_index_base_b
                                        ; -- End function
	.section	.AMDGPU.csdata,"",@progbits
; Kernel info:
; codeLenInByte = 1492
; NumSgprs: 22
; NumVgprs: 24
; ScratchSize: 0
; MemoryBound: 0
; FloatMode: 240
; IeeeMode: 1
; LDSByteSize: 0 bytes/workgroup (compile time only)
; SGPRBlocks: 2
; VGPRBlocks: 2
; NumSGPRsForWavesPerEU: 22
; NumVGPRsForWavesPerEU: 24
; Occupancy: 16
; WaveLimiterHint : 1
; COMPUTE_PGM_RSRC2:SCRATCH_EN: 0
; COMPUTE_PGM_RSRC2:USER_SGPR: 15
; COMPUTE_PGM_RSRC2:TRAP_HANDLER: 0
; COMPUTE_PGM_RSRC2:TGID_X_EN: 1
; COMPUTE_PGM_RSRC2:TGID_Y_EN: 0
; COMPUTE_PGM_RSRC2:TGID_Z_EN: 0
; COMPUTE_PGM_RSRC2:TIDIG_COMP_CNT: 0
	.section	.text._ZN9rocsparseL19gebsrmvn_3xn_kernelILj128ELj2ELj16EfEEvi20rocsparse_direction_NS_24const_host_device_scalarIT2_EEPKiS6_PKS3_S8_S4_PS3_21rocsparse_index_base_b,"axG",@progbits,_ZN9rocsparseL19gebsrmvn_3xn_kernelILj128ELj2ELj16EfEEvi20rocsparse_direction_NS_24const_host_device_scalarIT2_EEPKiS6_PKS3_S8_S4_PS3_21rocsparse_index_base_b,comdat
	.globl	_ZN9rocsparseL19gebsrmvn_3xn_kernelILj128ELj2ELj16EfEEvi20rocsparse_direction_NS_24const_host_device_scalarIT2_EEPKiS6_PKS3_S8_S4_PS3_21rocsparse_index_base_b ; -- Begin function _ZN9rocsparseL19gebsrmvn_3xn_kernelILj128ELj2ELj16EfEEvi20rocsparse_direction_NS_24const_host_device_scalarIT2_EEPKiS6_PKS3_S8_S4_PS3_21rocsparse_index_base_b
	.p2align	8
	.type	_ZN9rocsparseL19gebsrmvn_3xn_kernelILj128ELj2ELj16EfEEvi20rocsparse_direction_NS_24const_host_device_scalarIT2_EEPKiS6_PKS3_S8_S4_PS3_21rocsparse_index_base_b,@function
_ZN9rocsparseL19gebsrmvn_3xn_kernelILj128ELj2ELj16EfEEvi20rocsparse_direction_NS_24const_host_device_scalarIT2_EEPKiS6_PKS3_S8_S4_PS3_21rocsparse_index_base_b: ; @_ZN9rocsparseL19gebsrmvn_3xn_kernelILj128ELj2ELj16EfEEvi20rocsparse_direction_NS_24const_host_device_scalarIT2_EEPKiS6_PKS3_S8_S4_PS3_21rocsparse_index_base_b
; %bb.0:
	s_clause 0x2
	s_load_b64 s[18:19], s[0:1], 0x40
	s_load_b64 s[16:17], s[0:1], 0x8
	;; [unrolled: 1-line block ×3, first 2 shown]
	s_waitcnt lgkmcnt(0)
	s_bitcmp1_b32 s19, 0
	s_cselect_b32 s2, -1, 0
	s_delay_alu instid0(SALU_CYCLE_1)
	s_and_b32 vcc_lo, exec_lo, s2
	s_xor_b32 s2, s2, -1
	s_cbranch_vccnz .LBB7_2
; %bb.1:
	s_load_b32 s16, s[16:17], 0x0
.LBB7_2:
	s_and_not1_b32 vcc_lo, exec_lo, s2
	s_cbranch_vccnz .LBB7_4
; %bb.3:
	s_load_b32 s12, s[12:13], 0x0
.LBB7_4:
	s_waitcnt lgkmcnt(0)
	v_cmp_eq_f32_e64 s2, s16, 0
	v_cmp_eq_f32_e64 s3, s12, 1.0
	s_delay_alu instid0(VALU_DEP_1) | instskip(NEXT) | instid1(SALU_CYCLE_1)
	s_and_b32 s2, s2, s3
	s_and_b32 vcc_lo, exec_lo, s2
	s_cbranch_vccnz .LBB7_23
; %bb.5:
	s_load_b64 s[2:3], s[0:1], 0x0
	v_lshrrev_b32_e32 v1, 4, v0
	s_delay_alu instid0(VALU_DEP_1) | instskip(SKIP_1) | instid1(VALU_DEP_1)
	v_lshl_or_b32 v1, s15, 3, v1
	s_waitcnt lgkmcnt(0)
	v_cmp_gt_i32_e32 vcc_lo, s2, v1
	s_and_saveexec_b32 s2, vcc_lo
	s_cbranch_execz .LBB7_23
; %bb.6:
	s_load_b256 s[4:11], s[0:1], 0x10
	v_ashrrev_i32_e32 v2, 31, v1
	v_and_b32_e32 v0, 15, v0
	s_cmp_lg_u32 s3, 0
	s_delay_alu instid0(VALU_DEP_2) | instskip(SKIP_1) | instid1(VALU_DEP_1)
	v_lshlrev_b64 v[2:3], 2, v[1:2]
	s_waitcnt lgkmcnt(0)
	v_add_co_u32 v2, vcc_lo, s4, v2
	s_delay_alu instid0(VALU_DEP_2) | instskip(SKIP_4) | instid1(VALU_DEP_2)
	v_add_co_ci_u32_e32 v3, vcc_lo, s5, v3, vcc_lo
	global_load_b64 v[2:3], v[2:3], off
	s_waitcnt vmcnt(0)
	v_subrev_nc_u32_e32 v2, s18, v2
	v_subrev_nc_u32_e32 v12, s18, v3
	v_add_nc_u32_e32 v2, v2, v0
	s_delay_alu instid0(VALU_DEP_1)
	v_cmp_lt_i32_e64 s2, v2, v12
	s_cbranch_scc0 .LBB7_12
; %bb.7:
	v_dual_mov_b32 v9, 0 :: v_dual_mov_b32 v10, 0
	v_mov_b32_e32 v11, 0
	s_mov_b32 s4, 0
	s_and_saveexec_b32 s5, s2
	s_cbranch_execz .LBB7_11
; %bb.8:
	v_mad_u64_u32 v[3:4], null, v2, 6, 5
	v_dual_mov_b32 v6, 0 :: v_dual_mov_b32 v7, v2
	v_dual_mov_b32 v9, 0 :: v_dual_mov_b32 v10, 0
	v_mov_b32_e32 v11, 0
	s_mov_b32 s13, 0
.LBB7_9:                                ; =>This Inner Loop Header: Depth=1
	s_delay_alu instid0(VALU_DEP_3) | instskip(SKIP_1) | instid1(VALU_DEP_2)
	v_ashrrev_i32_e32 v8, 31, v7
	v_mov_b32_e32 v14, v6
	v_lshlrev_b64 v[4:5], 2, v[7:8]
	v_add_nc_u32_e32 v7, 16, v7
	s_delay_alu instid0(VALU_DEP_2) | instskip(NEXT) | instid1(VALU_DEP_3)
	v_add_co_u32 v4, vcc_lo, s6, v4
	v_add_co_ci_u32_e32 v5, vcc_lo, s7, v5, vcc_lo
	global_load_b32 v8, v[4:5], off
	v_dual_mov_b32 v4, v6 :: v_dual_add_nc_u32 v5, -5, v3
	s_delay_alu instid0(VALU_DEP_1) | instskip(SKIP_1) | instid1(VALU_DEP_3)
	v_lshlrev_b64 v[15:16], 2, v[5:6]
	v_add_nc_u32_e32 v5, -3, v3
	v_lshlrev_b64 v[17:18], 2, v[3:4]
	s_delay_alu instid0(VALU_DEP_2) | instskip(NEXT) | instid1(VALU_DEP_4)
	v_lshlrev_b64 v[19:20], 2, v[5:6]
	v_add_co_u32 v15, vcc_lo, s8, v15
	v_add_co_ci_u32_e32 v16, vcc_lo, s9, v16, vcc_lo
	s_delay_alu instid0(VALU_DEP_4)
	v_add_co_u32 v17, vcc_lo, s8, v17
	v_add_co_ci_u32_e32 v18, vcc_lo, s9, v18, vcc_lo
	v_add_co_u32 v19, vcc_lo, s8, v19
	v_add_co_ci_u32_e32 v20, vcc_lo, s9, v20, vcc_lo
	s_clause 0x1
	global_load_b64 v[15:16], v[15:16], off
	global_load_b32 v23, v[19:20], off
	v_add_nc_u32_e32 v5, -2, v3
	s_delay_alu instid0(VALU_DEP_1) | instskip(SKIP_2) | instid1(VALU_DEP_2)
	v_lshlrev_b64 v[21:22], 2, v[5:6]
	v_add_nc_u32_e32 v5, -1, v3
	v_add_nc_u32_e32 v3, 0x60, v3
	v_lshlrev_b64 v[4:5], 2, v[5:6]
	s_delay_alu instid0(VALU_DEP_4) | instskip(SKIP_1) | instid1(VALU_DEP_3)
	v_add_co_u32 v19, vcc_lo, s8, v21
	v_add_co_ci_u32_e32 v20, vcc_lo, s9, v22, vcc_lo
	v_add_co_u32 v4, vcc_lo, s8, v4
	s_delay_alu instid0(VALU_DEP_4) | instskip(SKIP_4) | instid1(VALU_DEP_1)
	v_add_co_ci_u32_e32 v5, vcc_lo, s9, v5, vcc_lo
	v_cmp_ge_i32_e32 vcc_lo, v7, v12
	s_or_b32 s13, vcc_lo, s13
	s_waitcnt vmcnt(2)
	v_subrev_nc_u32_e32 v8, s18, v8
	v_lshlrev_b32_e32 v13, 1, v8
	s_delay_alu instid0(VALU_DEP_1) | instskip(NEXT) | instid1(VALU_DEP_1)
	v_lshlrev_b64 v[13:14], 2, v[13:14]
	v_add_co_u32 v13, s3, s10, v13
	s_delay_alu instid0(VALU_DEP_1)
	v_add_co_ci_u32_e64 v14, s3, s11, v14, s3
	global_load_b64 v[13:14], v[13:14], off
	s_clause 0x2
	global_load_b32 v8, v[19:20], off
	global_load_b32 v4, v[4:5], off
	;; [unrolled: 1-line block ×3, first 2 shown]
	s_waitcnt vmcnt(3)
	v_fmac_f32_e32 v9, v15, v13
	v_fmac_f32_e32 v11, v16, v13
	s_waitcnt vmcnt(2)
	s_delay_alu instid0(VALU_DEP_2) | instskip(SKIP_1) | instid1(VALU_DEP_2)
	v_dual_fmac_f32 v10, v23, v13 :: v_dual_fmac_f32 v9, v8, v14
	s_waitcnt vmcnt(1)
	v_fmac_f32_e32 v11, v4, v14
	s_waitcnt vmcnt(0)
	s_delay_alu instid0(VALU_DEP_2)
	v_fmac_f32_e32 v10, v5, v14
	s_and_not1_b32 exec_lo, exec_lo, s13
	s_cbranch_execnz .LBB7_9
; %bb.10:
	s_or_b32 exec_lo, exec_lo, s13
.LBB7_11:
	s_delay_alu instid0(SALU_CYCLE_1) | instskip(NEXT) | instid1(SALU_CYCLE_1)
	s_or_b32 exec_lo, exec_lo, s5
	s_and_not1_b32 vcc_lo, exec_lo, s4
	s_cbranch_vccz .LBB7_13
	s_branch .LBB7_18
.LBB7_12:
                                        ; implicit-def: $vgpr9
                                        ; implicit-def: $vgpr10
                                        ; implicit-def: $vgpr11
.LBB7_13:
	v_dual_mov_b32 v9, 0 :: v_dual_mov_b32 v10, 0
	v_mov_b32_e32 v11, 0
	s_delay_alu instid0(VALU_DEP_3)
	s_and_saveexec_b32 s3, s2
	s_cbranch_execz .LBB7_17
; %bb.14:
	v_mad_u64_u32 v[4:5], null, v2, 6, 5
	v_dual_mov_b32 v7, 0 :: v_dual_mov_b32 v10, 0
	v_mov_b32_e32 v9, 0
	v_mov_b32_e32 v11, 0
	s_mov_b32 s2, 0
.LBB7_15:                               ; =>This Inner Loop Header: Depth=1
	v_ashrrev_i32_e32 v3, 31, v2
	v_dual_mov_b32 v14, v7 :: v_dual_add_nc_u32 v13, -3, v4
	v_dual_mov_b32 v16, v7 :: v_dual_add_nc_u32 v15, -1, v4
	s_delay_alu instid0(VALU_DEP_3) | instskip(SKIP_1) | instid1(VALU_DEP_4)
	v_lshlrev_b64 v[5:6], 2, v[2:3]
	v_mov_b32_e32 v17, v7
	v_lshlrev_b64 v[13:14], 2, v[13:14]
	s_delay_alu instid0(VALU_DEP_4) | instskip(NEXT) | instid1(VALU_DEP_4)
	v_lshlrev_b64 v[15:16], 2, v[15:16]
	v_add_co_u32 v5, vcc_lo, s6, v5
	v_add_co_ci_u32_e32 v6, vcc_lo, s7, v6, vcc_lo
	global_load_b32 v3, v[5:6], off
	v_dual_mov_b32 v5, v7 :: v_dual_add_nc_u32 v6, -5, v4
	s_delay_alu instid0(VALU_DEP_1) | instskip(SKIP_1) | instid1(VALU_DEP_3)
	v_lshlrev_b64 v[18:19], 2, v[6:7]
	v_add_nc_u32_e32 v6, -2, v4
	v_lshlrev_b64 v[20:21], 2, v[4:5]
	s_delay_alu instid0(VALU_DEP_2) | instskip(NEXT) | instid1(VALU_DEP_4)
	v_lshlrev_b64 v[5:6], 2, v[6:7]
	v_add_co_u32 v18, vcc_lo, s8, v18
	v_add_co_ci_u32_e32 v19, vcc_lo, s9, v19, vcc_lo
	v_add_co_u32 v13, vcc_lo, s8, v13
	v_add_co_ci_u32_e32 v14, vcc_lo, s9, v14, vcc_lo
	;; [unrolled: 2-line block ×3, first 2 shown]
	global_load_b64 v[18:19], v[18:19], off
	v_add_co_u32 v20, vcc_lo, s8, v20
	v_add_co_ci_u32_e32 v21, vcc_lo, s9, v21, vcc_lo
	v_add_co_u32 v5, vcc_lo, s8, v5
	v_add_co_ci_u32_e32 v6, vcc_lo, s9, v6, vcc_lo
	s_waitcnt vmcnt(1)
	v_subrev_nc_u32_e32 v3, s18, v3
	s_delay_alu instid0(VALU_DEP_1) | instskip(NEXT) | instid1(VALU_DEP_1)
	v_lshlrev_b32_e32 v16, 1, v3
	v_lshlrev_b64 v[15:16], 2, v[16:17]
	s_delay_alu instid0(VALU_DEP_1) | instskip(NEXT) | instid1(VALU_DEP_2)
	v_add_co_u32 v15, vcc_lo, s10, v15
	v_add_co_ci_u32_e32 v16, vcc_lo, s11, v16, vcc_lo
	s_clause 0x1
	global_load_b32 v3, v[13:14], off
	global_load_b32 v8, v[22:23], off
	global_load_b64 v[13:14], v[15:16], off
	s_clause 0x1
	global_load_b32 v5, v[5:6], off
	global_load_b32 v6, v[20:21], off
	s_waitcnt vmcnt(2)
	v_dual_fmac_f32 v11, v3, v13 :: v_dual_add_nc_u32 v2, 16, v2
	v_fmac_f32_e32 v9, v18, v13
	v_fmac_f32_e32 v10, v8, v13
	s_delay_alu instid0(VALU_DEP_3)
	v_cmp_ge_i32_e32 vcc_lo, v2, v12
	s_waitcnt vmcnt(1)
	v_dual_fmac_f32 v11, v5, v14 :: v_dual_add_nc_u32 v4, 0x60, v4
	v_fmac_f32_e32 v9, v19, v14
	s_waitcnt vmcnt(0)
	v_fmac_f32_e32 v10, v6, v14
	s_or_b32 s2, vcc_lo, s2
	s_delay_alu instid0(SALU_CYCLE_1)
	s_and_not1_b32 exec_lo, exec_lo, s2
	s_cbranch_execnz .LBB7_15
; %bb.16:
	s_or_b32 exec_lo, exec_lo, s2
.LBB7_17:
	s_delay_alu instid0(SALU_CYCLE_1)
	s_or_b32 exec_lo, exec_lo, s3
.LBB7_18:
	v_mbcnt_lo_u32_b32 v2, -1, 0
	s_mov_b32 s2, -1
	s_delay_alu instid0(VALU_DEP_1) | instskip(SKIP_1) | instid1(VALU_DEP_2)
	v_xor_b32_e32 v3, 8, v2
	v_xor_b32_e32 v6, 4, v2
	v_cmp_gt_i32_e32 vcc_lo, 32, v3
	v_cndmask_b32_e32 v3, v2, v3, vcc_lo
	s_delay_alu instid0(VALU_DEP_3) | instskip(SKIP_1) | instid1(VALU_DEP_1)
	v_cmp_gt_i32_e32 vcc_lo, 32, v6
	v_cndmask_b32_e32 v6, v2, v6, vcc_lo
	v_lshlrev_b32_e32 v6, 2, v6
	s_delay_alu instid0(VALU_DEP_4)
	v_lshlrev_b32_e32 v3, 2, v3
	ds_bpermute_b32 v4, v3, v9
	s_waitcnt lgkmcnt(0)
	v_add_f32_e32 v4, v9, v4
	ds_bpermute_b32 v5, v3, v11
	ds_bpermute_b32 v3, v3, v10
	v_xor_b32_e32 v9, 2, v2
	ds_bpermute_b32 v7, v6, v4
	v_cmp_gt_i32_e32 vcc_lo, 32, v9
	v_cndmask_b32_e32 v9, v2, v9, vcc_lo
	s_waitcnt lgkmcnt(2)
	v_add_f32_e32 v5, v11, v5
	s_waitcnt lgkmcnt(1)
	v_add_f32_e32 v3, v10, v3
	;; [unrolled: 2-line block ×3, first 2 shown]
	ds_bpermute_b32 v8, v6, v5
	ds_bpermute_b32 v6, v6, v3
	v_lshlrev_b32_e32 v9, 2, v9
	s_waitcnt lgkmcnt(0)
	v_dual_add_f32 v5, v5, v8 :: v_dual_add_f32 v6, v3, v6
	ds_bpermute_b32 v3, v9, v4
	ds_bpermute_b32 v7, v9, v5
	;; [unrolled: 1-line block ×3, first 2 shown]
	v_xor_b32_e32 v9, 1, v2
	s_delay_alu instid0(VALU_DEP_1) | instskip(SKIP_3) | instid1(VALU_DEP_2)
	v_cmp_gt_i32_e32 vcc_lo, 32, v9
	v_cndmask_b32_e32 v2, v2, v9, vcc_lo
	v_cmp_eq_u32_e32 vcc_lo, 15, v0
	s_waitcnt lgkmcnt(2)
	v_dual_add_f32 v2, v4, v3 :: v_dual_lshlrev_b32 v9, 2, v2
	s_waitcnt lgkmcnt(0)
	v_dual_add_f32 v3, v5, v7 :: v_dual_add_f32 v4, v6, v8
	ds_bpermute_b32 v5, v9, v2
	ds_bpermute_b32 v6, v9, v3
	;; [unrolled: 1-line block ×3, first 2 shown]
	s_and_b32 exec_lo, exec_lo, vcc_lo
	s_cbranch_execz .LBB7_23
; %bb.19:
	s_load_b64 s[0:1], s[0:1], 0x38
	s_waitcnt lgkmcnt(0)
	v_add_f32_e32 v0, v2, v5
	v_add_f32_e32 v2, v3, v6
	;; [unrolled: 1-line block ×3, first 2 shown]
	v_lshl_add_u32 v3, v1, 1, v1
	v_cmp_eq_f32_e64 s3, s12, 0
	s_delay_alu instid0(VALU_DEP_4) | instskip(NEXT) | instid1(VALU_DEP_4)
	v_dual_mul_f32 v1, s16, v2 :: v_dual_mul_f32 v0, s16, v0
	v_mul_f32_e32 v2, s16, v4
	s_delay_alu instid0(VALU_DEP_4) | instskip(NEXT) | instid1(VALU_DEP_4)
	v_ashrrev_i32_e32 v4, 31, v3
	s_and_b32 vcc_lo, exec_lo, s3
	s_cbranch_vccz .LBB7_21
; %bb.20:
	s_delay_alu instid0(VALU_DEP_1) | instskip(SKIP_1) | instid1(VALU_DEP_1)
	v_lshlrev_b64 v[5:6], 2, v[3:4]
	s_mov_b32 s2, 0
	v_add_co_u32 v5, vcc_lo, s0, v5
	s_delay_alu instid0(VALU_DEP_2)
	v_add_co_ci_u32_e32 v6, vcc_lo, s1, v6, vcc_lo
	global_store_b96 v[5:6], v[0:2], off
.LBB7_21:
	s_and_not1_b32 vcc_lo, exec_lo, s2
	s_cbranch_vccnz .LBB7_23
; %bb.22:
	v_lshlrev_b64 v[3:4], 2, v[3:4]
	s_delay_alu instid0(VALU_DEP_1) | instskip(NEXT) | instid1(VALU_DEP_2)
	v_add_co_u32 v6, vcc_lo, s0, v3
	v_add_co_ci_u32_e32 v7, vcc_lo, s1, v4, vcc_lo
	global_load_b96 v[3:5], v[6:7], off
	s_waitcnt vmcnt(0)
	v_dual_fmac_f32 v0, s12, v3 :: v_dual_fmac_f32 v1, s12, v4
	v_fmac_f32_e32 v2, s12, v5
	global_store_b96 v[6:7], v[0:2], off
.LBB7_23:
	s_nop 0
	s_sendmsg sendmsg(MSG_DEALLOC_VGPRS)
	s_endpgm
	.section	.rodata,"a",@progbits
	.p2align	6, 0x0
	.amdhsa_kernel _ZN9rocsparseL19gebsrmvn_3xn_kernelILj128ELj2ELj16EfEEvi20rocsparse_direction_NS_24const_host_device_scalarIT2_EEPKiS6_PKS3_S8_S4_PS3_21rocsparse_index_base_b
		.amdhsa_group_segment_fixed_size 0
		.amdhsa_private_segment_fixed_size 0
		.amdhsa_kernarg_size 72
		.amdhsa_user_sgpr_count 15
		.amdhsa_user_sgpr_dispatch_ptr 0
		.amdhsa_user_sgpr_queue_ptr 0
		.amdhsa_user_sgpr_kernarg_segment_ptr 1
		.amdhsa_user_sgpr_dispatch_id 0
		.amdhsa_user_sgpr_private_segment_size 0
		.amdhsa_wavefront_size32 1
		.amdhsa_uses_dynamic_stack 0
		.amdhsa_enable_private_segment 0
		.amdhsa_system_sgpr_workgroup_id_x 1
		.amdhsa_system_sgpr_workgroup_id_y 0
		.amdhsa_system_sgpr_workgroup_id_z 0
		.amdhsa_system_sgpr_workgroup_info 0
		.amdhsa_system_vgpr_workitem_id 0
		.amdhsa_next_free_vgpr 24
		.amdhsa_next_free_sgpr 20
		.amdhsa_reserve_vcc 1
		.amdhsa_float_round_mode_32 0
		.amdhsa_float_round_mode_16_64 0
		.amdhsa_float_denorm_mode_32 3
		.amdhsa_float_denorm_mode_16_64 3
		.amdhsa_dx10_clamp 1
		.amdhsa_ieee_mode 1
		.amdhsa_fp16_overflow 0
		.amdhsa_workgroup_processor_mode 1
		.amdhsa_memory_ordered 1
		.amdhsa_forward_progress 0
		.amdhsa_shared_vgpr_count 0
		.amdhsa_exception_fp_ieee_invalid_op 0
		.amdhsa_exception_fp_denorm_src 0
		.amdhsa_exception_fp_ieee_div_zero 0
		.amdhsa_exception_fp_ieee_overflow 0
		.amdhsa_exception_fp_ieee_underflow 0
		.amdhsa_exception_fp_ieee_inexact 0
		.amdhsa_exception_int_div_zero 0
	.end_amdhsa_kernel
	.section	.text._ZN9rocsparseL19gebsrmvn_3xn_kernelILj128ELj2ELj16EfEEvi20rocsparse_direction_NS_24const_host_device_scalarIT2_EEPKiS6_PKS3_S8_S4_PS3_21rocsparse_index_base_b,"axG",@progbits,_ZN9rocsparseL19gebsrmvn_3xn_kernelILj128ELj2ELj16EfEEvi20rocsparse_direction_NS_24const_host_device_scalarIT2_EEPKiS6_PKS3_S8_S4_PS3_21rocsparse_index_base_b,comdat
.Lfunc_end7:
	.size	_ZN9rocsparseL19gebsrmvn_3xn_kernelILj128ELj2ELj16EfEEvi20rocsparse_direction_NS_24const_host_device_scalarIT2_EEPKiS6_PKS3_S8_S4_PS3_21rocsparse_index_base_b, .Lfunc_end7-_ZN9rocsparseL19gebsrmvn_3xn_kernelILj128ELj2ELj16EfEEvi20rocsparse_direction_NS_24const_host_device_scalarIT2_EEPKiS6_PKS3_S8_S4_PS3_21rocsparse_index_base_b
                                        ; -- End function
	.section	.AMDGPU.csdata,"",@progbits
; Kernel info:
; codeLenInByte = 1556
; NumSgprs: 22
; NumVgprs: 24
; ScratchSize: 0
; MemoryBound: 0
; FloatMode: 240
; IeeeMode: 1
; LDSByteSize: 0 bytes/workgroup (compile time only)
; SGPRBlocks: 2
; VGPRBlocks: 2
; NumSGPRsForWavesPerEU: 22
; NumVGPRsForWavesPerEU: 24
; Occupancy: 16
; WaveLimiterHint : 1
; COMPUTE_PGM_RSRC2:SCRATCH_EN: 0
; COMPUTE_PGM_RSRC2:USER_SGPR: 15
; COMPUTE_PGM_RSRC2:TRAP_HANDLER: 0
; COMPUTE_PGM_RSRC2:TGID_X_EN: 1
; COMPUTE_PGM_RSRC2:TGID_Y_EN: 0
; COMPUTE_PGM_RSRC2:TGID_Z_EN: 0
; COMPUTE_PGM_RSRC2:TIDIG_COMP_CNT: 0
	.section	.text._ZN9rocsparseL19gebsrmvn_3xn_kernelILj128ELj2ELj32EfEEvi20rocsparse_direction_NS_24const_host_device_scalarIT2_EEPKiS6_PKS3_S8_S4_PS3_21rocsparse_index_base_b,"axG",@progbits,_ZN9rocsparseL19gebsrmvn_3xn_kernelILj128ELj2ELj32EfEEvi20rocsparse_direction_NS_24const_host_device_scalarIT2_EEPKiS6_PKS3_S8_S4_PS3_21rocsparse_index_base_b,comdat
	.globl	_ZN9rocsparseL19gebsrmvn_3xn_kernelILj128ELj2ELj32EfEEvi20rocsparse_direction_NS_24const_host_device_scalarIT2_EEPKiS6_PKS3_S8_S4_PS3_21rocsparse_index_base_b ; -- Begin function _ZN9rocsparseL19gebsrmvn_3xn_kernelILj128ELj2ELj32EfEEvi20rocsparse_direction_NS_24const_host_device_scalarIT2_EEPKiS6_PKS3_S8_S4_PS3_21rocsparse_index_base_b
	.p2align	8
	.type	_ZN9rocsparseL19gebsrmvn_3xn_kernelILj128ELj2ELj32EfEEvi20rocsparse_direction_NS_24const_host_device_scalarIT2_EEPKiS6_PKS3_S8_S4_PS3_21rocsparse_index_base_b,@function
_ZN9rocsparseL19gebsrmvn_3xn_kernelILj128ELj2ELj32EfEEvi20rocsparse_direction_NS_24const_host_device_scalarIT2_EEPKiS6_PKS3_S8_S4_PS3_21rocsparse_index_base_b: ; @_ZN9rocsparseL19gebsrmvn_3xn_kernelILj128ELj2ELj32EfEEvi20rocsparse_direction_NS_24const_host_device_scalarIT2_EEPKiS6_PKS3_S8_S4_PS3_21rocsparse_index_base_b
; %bb.0:
	s_clause 0x2
	s_load_b64 s[18:19], s[0:1], 0x40
	s_load_b64 s[16:17], s[0:1], 0x8
	;; [unrolled: 1-line block ×3, first 2 shown]
	s_waitcnt lgkmcnt(0)
	s_bitcmp1_b32 s19, 0
	s_cselect_b32 s2, -1, 0
	s_delay_alu instid0(SALU_CYCLE_1)
	s_and_b32 vcc_lo, exec_lo, s2
	s_xor_b32 s2, s2, -1
	s_cbranch_vccnz .LBB8_2
; %bb.1:
	s_load_b32 s16, s[16:17], 0x0
.LBB8_2:
	s_and_not1_b32 vcc_lo, exec_lo, s2
	s_cbranch_vccnz .LBB8_4
; %bb.3:
	s_load_b32 s12, s[12:13], 0x0
.LBB8_4:
	s_waitcnt lgkmcnt(0)
	v_cmp_eq_f32_e64 s2, s16, 0
	v_cmp_eq_f32_e64 s3, s12, 1.0
	s_delay_alu instid0(VALU_DEP_1) | instskip(NEXT) | instid1(SALU_CYCLE_1)
	s_and_b32 s2, s2, s3
	s_and_b32 vcc_lo, exec_lo, s2
	s_cbranch_vccnz .LBB8_23
; %bb.5:
	s_load_b64 s[2:3], s[0:1], 0x0
	v_lshrrev_b32_e32 v1, 5, v0
	s_delay_alu instid0(VALU_DEP_1) | instskip(SKIP_1) | instid1(VALU_DEP_1)
	v_lshl_or_b32 v1, s15, 2, v1
	s_waitcnt lgkmcnt(0)
	v_cmp_gt_i32_e32 vcc_lo, s2, v1
	s_and_saveexec_b32 s2, vcc_lo
	s_cbranch_execz .LBB8_23
; %bb.6:
	s_load_b256 s[4:11], s[0:1], 0x10
	v_ashrrev_i32_e32 v2, 31, v1
	v_and_b32_e32 v0, 31, v0
	s_cmp_lg_u32 s3, 0
	s_delay_alu instid0(VALU_DEP_2) | instskip(SKIP_1) | instid1(VALU_DEP_1)
	v_lshlrev_b64 v[2:3], 2, v[1:2]
	s_waitcnt lgkmcnt(0)
	v_add_co_u32 v2, vcc_lo, s4, v2
	s_delay_alu instid0(VALU_DEP_2) | instskip(SKIP_4) | instid1(VALU_DEP_2)
	v_add_co_ci_u32_e32 v3, vcc_lo, s5, v3, vcc_lo
	global_load_b64 v[2:3], v[2:3], off
	s_waitcnt vmcnt(0)
	v_subrev_nc_u32_e32 v2, s18, v2
	v_subrev_nc_u32_e32 v12, s18, v3
	v_add_nc_u32_e32 v2, v2, v0
	s_delay_alu instid0(VALU_DEP_1)
	v_cmp_lt_i32_e64 s2, v2, v12
	s_cbranch_scc0 .LBB8_12
; %bb.7:
	v_dual_mov_b32 v9, 0 :: v_dual_mov_b32 v10, 0
	v_mov_b32_e32 v11, 0
	s_mov_b32 s4, 0
	s_and_saveexec_b32 s5, s2
	s_cbranch_execz .LBB8_11
; %bb.8:
	v_mad_u64_u32 v[3:4], null, v2, 6, 5
	v_dual_mov_b32 v6, 0 :: v_dual_mov_b32 v7, v2
	v_dual_mov_b32 v9, 0 :: v_dual_mov_b32 v10, 0
	v_mov_b32_e32 v11, 0
	s_mov_b32 s13, 0
.LBB8_9:                                ; =>This Inner Loop Header: Depth=1
	s_delay_alu instid0(VALU_DEP_3) | instskip(SKIP_1) | instid1(VALU_DEP_2)
	v_ashrrev_i32_e32 v8, 31, v7
	v_mov_b32_e32 v14, v6
	v_lshlrev_b64 v[4:5], 2, v[7:8]
	v_add_nc_u32_e32 v7, 32, v7
	s_delay_alu instid0(VALU_DEP_2) | instskip(NEXT) | instid1(VALU_DEP_3)
	v_add_co_u32 v4, vcc_lo, s6, v4
	v_add_co_ci_u32_e32 v5, vcc_lo, s7, v5, vcc_lo
	global_load_b32 v8, v[4:5], off
	v_dual_mov_b32 v4, v6 :: v_dual_add_nc_u32 v5, -5, v3
	s_delay_alu instid0(VALU_DEP_1) | instskip(SKIP_1) | instid1(VALU_DEP_3)
	v_lshlrev_b64 v[15:16], 2, v[5:6]
	v_add_nc_u32_e32 v5, -3, v3
	v_lshlrev_b64 v[17:18], 2, v[3:4]
	s_delay_alu instid0(VALU_DEP_2) | instskip(NEXT) | instid1(VALU_DEP_4)
	v_lshlrev_b64 v[19:20], 2, v[5:6]
	v_add_co_u32 v15, vcc_lo, s8, v15
	v_add_co_ci_u32_e32 v16, vcc_lo, s9, v16, vcc_lo
	s_delay_alu instid0(VALU_DEP_4)
	v_add_co_u32 v17, vcc_lo, s8, v17
	v_add_co_ci_u32_e32 v18, vcc_lo, s9, v18, vcc_lo
	v_add_co_u32 v19, vcc_lo, s8, v19
	v_add_co_ci_u32_e32 v20, vcc_lo, s9, v20, vcc_lo
	s_clause 0x1
	global_load_b64 v[15:16], v[15:16], off
	global_load_b32 v23, v[19:20], off
	v_add_nc_u32_e32 v5, -2, v3
	s_delay_alu instid0(VALU_DEP_1) | instskip(SKIP_2) | instid1(VALU_DEP_2)
	v_lshlrev_b64 v[21:22], 2, v[5:6]
	v_add_nc_u32_e32 v5, -1, v3
	v_add_nc_u32_e32 v3, 0xc0, v3
	v_lshlrev_b64 v[4:5], 2, v[5:6]
	s_delay_alu instid0(VALU_DEP_4) | instskip(SKIP_1) | instid1(VALU_DEP_3)
	v_add_co_u32 v19, vcc_lo, s8, v21
	v_add_co_ci_u32_e32 v20, vcc_lo, s9, v22, vcc_lo
	v_add_co_u32 v4, vcc_lo, s8, v4
	s_delay_alu instid0(VALU_DEP_4) | instskip(SKIP_4) | instid1(VALU_DEP_1)
	v_add_co_ci_u32_e32 v5, vcc_lo, s9, v5, vcc_lo
	v_cmp_ge_i32_e32 vcc_lo, v7, v12
	s_or_b32 s13, vcc_lo, s13
	s_waitcnt vmcnt(2)
	v_subrev_nc_u32_e32 v8, s18, v8
	v_lshlrev_b32_e32 v13, 1, v8
	s_delay_alu instid0(VALU_DEP_1) | instskip(NEXT) | instid1(VALU_DEP_1)
	v_lshlrev_b64 v[13:14], 2, v[13:14]
	v_add_co_u32 v13, s3, s10, v13
	s_delay_alu instid0(VALU_DEP_1)
	v_add_co_ci_u32_e64 v14, s3, s11, v14, s3
	global_load_b64 v[13:14], v[13:14], off
	s_clause 0x2
	global_load_b32 v8, v[19:20], off
	global_load_b32 v4, v[4:5], off
	;; [unrolled: 1-line block ×3, first 2 shown]
	s_waitcnt vmcnt(3)
	v_fmac_f32_e32 v9, v15, v13
	v_fmac_f32_e32 v11, v16, v13
	s_waitcnt vmcnt(2)
	s_delay_alu instid0(VALU_DEP_2) | instskip(SKIP_1) | instid1(VALU_DEP_2)
	v_dual_fmac_f32 v10, v23, v13 :: v_dual_fmac_f32 v9, v8, v14
	s_waitcnt vmcnt(1)
	v_fmac_f32_e32 v11, v4, v14
	s_waitcnt vmcnt(0)
	s_delay_alu instid0(VALU_DEP_2)
	v_fmac_f32_e32 v10, v5, v14
	s_and_not1_b32 exec_lo, exec_lo, s13
	s_cbranch_execnz .LBB8_9
; %bb.10:
	s_or_b32 exec_lo, exec_lo, s13
.LBB8_11:
	s_delay_alu instid0(SALU_CYCLE_1) | instskip(NEXT) | instid1(SALU_CYCLE_1)
	s_or_b32 exec_lo, exec_lo, s5
	s_and_not1_b32 vcc_lo, exec_lo, s4
	s_cbranch_vccz .LBB8_13
	s_branch .LBB8_18
.LBB8_12:
                                        ; implicit-def: $vgpr9
                                        ; implicit-def: $vgpr10
                                        ; implicit-def: $vgpr11
.LBB8_13:
	v_dual_mov_b32 v9, 0 :: v_dual_mov_b32 v10, 0
	v_mov_b32_e32 v11, 0
	s_delay_alu instid0(VALU_DEP_3)
	s_and_saveexec_b32 s3, s2
	s_cbranch_execz .LBB8_17
; %bb.14:
	v_mad_u64_u32 v[4:5], null, v2, 6, 5
	v_dual_mov_b32 v7, 0 :: v_dual_mov_b32 v10, 0
	v_mov_b32_e32 v9, 0
	v_mov_b32_e32 v11, 0
	s_mov_b32 s2, 0
.LBB8_15:                               ; =>This Inner Loop Header: Depth=1
	v_ashrrev_i32_e32 v3, 31, v2
	v_dual_mov_b32 v14, v7 :: v_dual_add_nc_u32 v13, -3, v4
	v_dual_mov_b32 v16, v7 :: v_dual_add_nc_u32 v15, -1, v4
	s_delay_alu instid0(VALU_DEP_3) | instskip(SKIP_1) | instid1(VALU_DEP_4)
	v_lshlrev_b64 v[5:6], 2, v[2:3]
	v_mov_b32_e32 v17, v7
	v_lshlrev_b64 v[13:14], 2, v[13:14]
	s_delay_alu instid0(VALU_DEP_4) | instskip(NEXT) | instid1(VALU_DEP_4)
	v_lshlrev_b64 v[15:16], 2, v[15:16]
	v_add_co_u32 v5, vcc_lo, s6, v5
	v_add_co_ci_u32_e32 v6, vcc_lo, s7, v6, vcc_lo
	global_load_b32 v3, v[5:6], off
	v_dual_mov_b32 v5, v7 :: v_dual_add_nc_u32 v6, -5, v4
	s_delay_alu instid0(VALU_DEP_1) | instskip(SKIP_1) | instid1(VALU_DEP_3)
	v_lshlrev_b64 v[18:19], 2, v[6:7]
	v_add_nc_u32_e32 v6, -2, v4
	v_lshlrev_b64 v[20:21], 2, v[4:5]
	s_delay_alu instid0(VALU_DEP_2) | instskip(NEXT) | instid1(VALU_DEP_4)
	v_lshlrev_b64 v[5:6], 2, v[6:7]
	v_add_co_u32 v18, vcc_lo, s8, v18
	v_add_co_ci_u32_e32 v19, vcc_lo, s9, v19, vcc_lo
	v_add_co_u32 v13, vcc_lo, s8, v13
	v_add_co_ci_u32_e32 v14, vcc_lo, s9, v14, vcc_lo
	;; [unrolled: 2-line block ×3, first 2 shown]
	global_load_b64 v[18:19], v[18:19], off
	v_add_co_u32 v20, vcc_lo, s8, v20
	v_add_co_ci_u32_e32 v21, vcc_lo, s9, v21, vcc_lo
	v_add_co_u32 v5, vcc_lo, s8, v5
	v_add_co_ci_u32_e32 v6, vcc_lo, s9, v6, vcc_lo
	s_waitcnt vmcnt(1)
	v_subrev_nc_u32_e32 v3, s18, v3
	s_delay_alu instid0(VALU_DEP_1) | instskip(NEXT) | instid1(VALU_DEP_1)
	v_lshlrev_b32_e32 v16, 1, v3
	v_lshlrev_b64 v[15:16], 2, v[16:17]
	s_delay_alu instid0(VALU_DEP_1) | instskip(NEXT) | instid1(VALU_DEP_2)
	v_add_co_u32 v15, vcc_lo, s10, v15
	v_add_co_ci_u32_e32 v16, vcc_lo, s11, v16, vcc_lo
	s_clause 0x1
	global_load_b32 v3, v[13:14], off
	global_load_b32 v8, v[22:23], off
	global_load_b64 v[13:14], v[15:16], off
	s_clause 0x1
	global_load_b32 v5, v[5:6], off
	global_load_b32 v6, v[20:21], off
	s_waitcnt vmcnt(2)
	v_dual_fmac_f32 v11, v3, v13 :: v_dual_add_nc_u32 v2, 32, v2
	v_fmac_f32_e32 v9, v18, v13
	v_fmac_f32_e32 v10, v8, v13
	s_delay_alu instid0(VALU_DEP_3)
	v_cmp_ge_i32_e32 vcc_lo, v2, v12
	s_waitcnt vmcnt(1)
	v_dual_fmac_f32 v11, v5, v14 :: v_dual_add_nc_u32 v4, 0xc0, v4
	v_fmac_f32_e32 v9, v19, v14
	s_waitcnt vmcnt(0)
	v_fmac_f32_e32 v10, v6, v14
	s_or_b32 s2, vcc_lo, s2
	s_delay_alu instid0(SALU_CYCLE_1)
	s_and_not1_b32 exec_lo, exec_lo, s2
	s_cbranch_execnz .LBB8_15
; %bb.16:
	s_or_b32 exec_lo, exec_lo, s2
.LBB8_17:
	s_delay_alu instid0(SALU_CYCLE_1)
	s_or_b32 exec_lo, exec_lo, s3
.LBB8_18:
	v_mbcnt_lo_u32_b32 v2, -1, 0
	s_mov_b32 s2, -1
	s_delay_alu instid0(VALU_DEP_1) | instskip(SKIP_1) | instid1(VALU_DEP_2)
	v_xor_b32_e32 v3, 16, v2
	v_xor_b32_e32 v6, 8, v2
	v_cmp_gt_i32_e32 vcc_lo, 32, v3
	v_cndmask_b32_e32 v3, v2, v3, vcc_lo
	s_delay_alu instid0(VALU_DEP_3) | instskip(SKIP_1) | instid1(VALU_DEP_1)
	v_cmp_gt_i32_e32 vcc_lo, 32, v6
	v_cndmask_b32_e32 v6, v2, v6, vcc_lo
	v_lshlrev_b32_e32 v6, 2, v6
	s_delay_alu instid0(VALU_DEP_4)
	v_lshlrev_b32_e32 v3, 2, v3
	ds_bpermute_b32 v4, v3, v9
	s_waitcnt lgkmcnt(0)
	v_add_f32_e32 v4, v9, v4
	ds_bpermute_b32 v5, v3, v11
	ds_bpermute_b32 v3, v3, v10
	v_xor_b32_e32 v9, 4, v2
	ds_bpermute_b32 v7, v6, v4
	v_cmp_gt_i32_e32 vcc_lo, 32, v9
	v_cndmask_b32_e32 v9, v2, v9, vcc_lo
	s_waitcnt lgkmcnt(0)
	v_dual_add_f32 v5, v11, v5 :: v_dual_add_f32 v4, v4, v7
	v_add_f32_e32 v3, v10, v3
	ds_bpermute_b32 v8, v6, v5
	ds_bpermute_b32 v6, v6, v3
	s_waitcnt lgkmcnt(1)
	v_add_f32_e32 v5, v5, v8
	s_waitcnt lgkmcnt(0)
	v_add_f32_e32 v3, v3, v6
	v_lshlrev_b32_e32 v9, 2, v9
	ds_bpermute_b32 v6, v9, v4
	ds_bpermute_b32 v8, v9, v3
	s_waitcnt lgkmcnt(1)
	v_add_f32_e32 v4, v4, v6
	s_waitcnt lgkmcnt(0)
	v_add_f32_e32 v6, v3, v8
	ds_bpermute_b32 v7, v9, v5
	v_xor_b32_e32 v9, 2, v2
	s_delay_alu instid0(VALU_DEP_1) | instskip(SKIP_1) | instid1(VALU_DEP_1)
	v_cmp_gt_i32_e32 vcc_lo, 32, v9
	v_cndmask_b32_e32 v9, v2, v9, vcc_lo
	v_lshlrev_b32_e32 v9, 2, v9
	s_waitcnt lgkmcnt(0)
	v_add_f32_e32 v5, v5, v7
	ds_bpermute_b32 v3, v9, v4
	ds_bpermute_b32 v8, v9, v6
	;; [unrolled: 1-line block ×3, first 2 shown]
	v_xor_b32_e32 v9, 1, v2
	s_delay_alu instid0(VALU_DEP_1) | instskip(SKIP_3) | instid1(VALU_DEP_2)
	v_cmp_gt_i32_e32 vcc_lo, 32, v9
	v_cndmask_b32_e32 v2, v2, v9, vcc_lo
	v_cmp_eq_u32_e32 vcc_lo, 31, v0
	s_waitcnt lgkmcnt(2)
	v_dual_add_f32 v2, v4, v3 :: v_dual_lshlrev_b32 v9, 2, v2
	s_waitcnt lgkmcnt(0)
	v_dual_add_f32 v4, v6, v8 :: v_dual_add_f32 v3, v5, v7
	ds_bpermute_b32 v5, v9, v2
	ds_bpermute_b32 v7, v9, v4
	;; [unrolled: 1-line block ×3, first 2 shown]
	s_and_b32 exec_lo, exec_lo, vcc_lo
	s_cbranch_execz .LBB8_23
; %bb.19:
	s_load_b64 s[0:1], s[0:1], 0x38
	s_waitcnt lgkmcnt(0)
	v_add_f32_e32 v0, v2, v5
	v_add_f32_e32 v2, v3, v6
	;; [unrolled: 1-line block ×3, first 2 shown]
	v_lshl_add_u32 v3, v1, 1, v1
	v_cmp_eq_f32_e64 s3, s12, 0
	s_delay_alu instid0(VALU_DEP_4) | instskip(NEXT) | instid1(VALU_DEP_4)
	v_dual_mul_f32 v1, s16, v2 :: v_dual_mul_f32 v0, s16, v0
	v_mul_f32_e32 v2, s16, v4
	s_delay_alu instid0(VALU_DEP_4) | instskip(NEXT) | instid1(VALU_DEP_4)
	v_ashrrev_i32_e32 v4, 31, v3
	s_and_b32 vcc_lo, exec_lo, s3
	s_cbranch_vccz .LBB8_21
; %bb.20:
	s_delay_alu instid0(VALU_DEP_1) | instskip(SKIP_1) | instid1(VALU_DEP_1)
	v_lshlrev_b64 v[5:6], 2, v[3:4]
	s_mov_b32 s2, 0
	v_add_co_u32 v5, vcc_lo, s0, v5
	s_delay_alu instid0(VALU_DEP_2)
	v_add_co_ci_u32_e32 v6, vcc_lo, s1, v6, vcc_lo
	global_store_b96 v[5:6], v[0:2], off
.LBB8_21:
	s_and_not1_b32 vcc_lo, exec_lo, s2
	s_cbranch_vccnz .LBB8_23
; %bb.22:
	v_lshlrev_b64 v[3:4], 2, v[3:4]
	s_delay_alu instid0(VALU_DEP_1) | instskip(NEXT) | instid1(VALU_DEP_2)
	v_add_co_u32 v6, vcc_lo, s0, v3
	v_add_co_ci_u32_e32 v7, vcc_lo, s1, v4, vcc_lo
	global_load_b96 v[3:5], v[6:7], off
	s_waitcnt vmcnt(0)
	v_dual_fmac_f32 v0, s12, v3 :: v_dual_fmac_f32 v1, s12, v4
	v_fmac_f32_e32 v2, s12, v5
	global_store_b96 v[6:7], v[0:2], off
.LBB8_23:
	s_nop 0
	s_sendmsg sendmsg(MSG_DEALLOC_VGPRS)
	s_endpgm
	.section	.rodata,"a",@progbits
	.p2align	6, 0x0
	.amdhsa_kernel _ZN9rocsparseL19gebsrmvn_3xn_kernelILj128ELj2ELj32EfEEvi20rocsparse_direction_NS_24const_host_device_scalarIT2_EEPKiS6_PKS3_S8_S4_PS3_21rocsparse_index_base_b
		.amdhsa_group_segment_fixed_size 0
		.amdhsa_private_segment_fixed_size 0
		.amdhsa_kernarg_size 72
		.amdhsa_user_sgpr_count 15
		.amdhsa_user_sgpr_dispatch_ptr 0
		.amdhsa_user_sgpr_queue_ptr 0
		.amdhsa_user_sgpr_kernarg_segment_ptr 1
		.amdhsa_user_sgpr_dispatch_id 0
		.amdhsa_user_sgpr_private_segment_size 0
		.amdhsa_wavefront_size32 1
		.amdhsa_uses_dynamic_stack 0
		.amdhsa_enable_private_segment 0
		.amdhsa_system_sgpr_workgroup_id_x 1
		.amdhsa_system_sgpr_workgroup_id_y 0
		.amdhsa_system_sgpr_workgroup_id_z 0
		.amdhsa_system_sgpr_workgroup_info 0
		.amdhsa_system_vgpr_workitem_id 0
		.amdhsa_next_free_vgpr 24
		.amdhsa_next_free_sgpr 20
		.amdhsa_reserve_vcc 1
		.amdhsa_float_round_mode_32 0
		.amdhsa_float_round_mode_16_64 0
		.amdhsa_float_denorm_mode_32 3
		.amdhsa_float_denorm_mode_16_64 3
		.amdhsa_dx10_clamp 1
		.amdhsa_ieee_mode 1
		.amdhsa_fp16_overflow 0
		.amdhsa_workgroup_processor_mode 1
		.amdhsa_memory_ordered 1
		.amdhsa_forward_progress 0
		.amdhsa_shared_vgpr_count 0
		.amdhsa_exception_fp_ieee_invalid_op 0
		.amdhsa_exception_fp_denorm_src 0
		.amdhsa_exception_fp_ieee_div_zero 0
		.amdhsa_exception_fp_ieee_overflow 0
		.amdhsa_exception_fp_ieee_underflow 0
		.amdhsa_exception_fp_ieee_inexact 0
		.amdhsa_exception_int_div_zero 0
	.end_amdhsa_kernel
	.section	.text._ZN9rocsparseL19gebsrmvn_3xn_kernelILj128ELj2ELj32EfEEvi20rocsparse_direction_NS_24const_host_device_scalarIT2_EEPKiS6_PKS3_S8_S4_PS3_21rocsparse_index_base_b,"axG",@progbits,_ZN9rocsparseL19gebsrmvn_3xn_kernelILj128ELj2ELj32EfEEvi20rocsparse_direction_NS_24const_host_device_scalarIT2_EEPKiS6_PKS3_S8_S4_PS3_21rocsparse_index_base_b,comdat
.Lfunc_end8:
	.size	_ZN9rocsparseL19gebsrmvn_3xn_kernelILj128ELj2ELj32EfEEvi20rocsparse_direction_NS_24const_host_device_scalarIT2_EEPKiS6_PKS3_S8_S4_PS3_21rocsparse_index_base_b, .Lfunc_end8-_ZN9rocsparseL19gebsrmvn_3xn_kernelILj128ELj2ELj32EfEEvi20rocsparse_direction_NS_24const_host_device_scalarIT2_EEPKiS6_PKS3_S8_S4_PS3_21rocsparse_index_base_b
                                        ; -- End function
	.section	.AMDGPU.csdata,"",@progbits
; Kernel info:
; codeLenInByte = 1620
; NumSgprs: 22
; NumVgprs: 24
; ScratchSize: 0
; MemoryBound: 0
; FloatMode: 240
; IeeeMode: 1
; LDSByteSize: 0 bytes/workgroup (compile time only)
; SGPRBlocks: 2
; VGPRBlocks: 2
; NumSGPRsForWavesPerEU: 22
; NumVGPRsForWavesPerEU: 24
; Occupancy: 16
; WaveLimiterHint : 1
; COMPUTE_PGM_RSRC2:SCRATCH_EN: 0
; COMPUTE_PGM_RSRC2:USER_SGPR: 15
; COMPUTE_PGM_RSRC2:TRAP_HANDLER: 0
; COMPUTE_PGM_RSRC2:TGID_X_EN: 1
; COMPUTE_PGM_RSRC2:TGID_Y_EN: 0
; COMPUTE_PGM_RSRC2:TGID_Z_EN: 0
; COMPUTE_PGM_RSRC2:TIDIG_COMP_CNT: 0
	.section	.text._ZN9rocsparseL19gebsrmvn_3xn_kernelILj128ELj2ELj64EfEEvi20rocsparse_direction_NS_24const_host_device_scalarIT2_EEPKiS6_PKS3_S8_S4_PS3_21rocsparse_index_base_b,"axG",@progbits,_ZN9rocsparseL19gebsrmvn_3xn_kernelILj128ELj2ELj64EfEEvi20rocsparse_direction_NS_24const_host_device_scalarIT2_EEPKiS6_PKS3_S8_S4_PS3_21rocsparse_index_base_b,comdat
	.globl	_ZN9rocsparseL19gebsrmvn_3xn_kernelILj128ELj2ELj64EfEEvi20rocsparse_direction_NS_24const_host_device_scalarIT2_EEPKiS6_PKS3_S8_S4_PS3_21rocsparse_index_base_b ; -- Begin function _ZN9rocsparseL19gebsrmvn_3xn_kernelILj128ELj2ELj64EfEEvi20rocsparse_direction_NS_24const_host_device_scalarIT2_EEPKiS6_PKS3_S8_S4_PS3_21rocsparse_index_base_b
	.p2align	8
	.type	_ZN9rocsparseL19gebsrmvn_3xn_kernelILj128ELj2ELj64EfEEvi20rocsparse_direction_NS_24const_host_device_scalarIT2_EEPKiS6_PKS3_S8_S4_PS3_21rocsparse_index_base_b,@function
_ZN9rocsparseL19gebsrmvn_3xn_kernelILj128ELj2ELj64EfEEvi20rocsparse_direction_NS_24const_host_device_scalarIT2_EEPKiS6_PKS3_S8_S4_PS3_21rocsparse_index_base_b: ; @_ZN9rocsparseL19gebsrmvn_3xn_kernelILj128ELj2ELj64EfEEvi20rocsparse_direction_NS_24const_host_device_scalarIT2_EEPKiS6_PKS3_S8_S4_PS3_21rocsparse_index_base_b
; %bb.0:
	s_clause 0x2
	s_load_b64 s[18:19], s[0:1], 0x40
	s_load_b64 s[16:17], s[0:1], 0x8
	;; [unrolled: 1-line block ×3, first 2 shown]
	s_waitcnt lgkmcnt(0)
	s_bitcmp1_b32 s19, 0
	s_cselect_b32 s2, -1, 0
	s_delay_alu instid0(SALU_CYCLE_1)
	s_and_b32 vcc_lo, exec_lo, s2
	s_xor_b32 s2, s2, -1
	s_cbranch_vccnz .LBB9_2
; %bb.1:
	s_load_b32 s16, s[16:17], 0x0
.LBB9_2:
	s_and_not1_b32 vcc_lo, exec_lo, s2
	s_cbranch_vccnz .LBB9_4
; %bb.3:
	s_load_b32 s12, s[12:13], 0x0
.LBB9_4:
	s_waitcnt lgkmcnt(0)
	v_cmp_eq_f32_e64 s2, s16, 0
	v_cmp_eq_f32_e64 s3, s12, 1.0
	s_delay_alu instid0(VALU_DEP_1) | instskip(NEXT) | instid1(SALU_CYCLE_1)
	s_and_b32 s2, s2, s3
	s_and_b32 vcc_lo, exec_lo, s2
	s_cbranch_vccnz .LBB9_23
; %bb.5:
	s_load_b64 s[2:3], s[0:1], 0x0
	v_lshrrev_b32_e32 v1, 6, v0
	s_delay_alu instid0(VALU_DEP_1) | instskip(SKIP_1) | instid1(VALU_DEP_1)
	v_lshl_or_b32 v1, s15, 1, v1
	s_waitcnt lgkmcnt(0)
	v_cmp_gt_i32_e32 vcc_lo, s2, v1
	s_and_saveexec_b32 s2, vcc_lo
	s_cbranch_execz .LBB9_23
; %bb.6:
	s_load_b256 s[4:11], s[0:1], 0x10
	v_ashrrev_i32_e32 v2, 31, v1
	v_and_b32_e32 v0, 63, v0
	s_cmp_lg_u32 s3, 0
	s_delay_alu instid0(VALU_DEP_2) | instskip(SKIP_1) | instid1(VALU_DEP_1)
	v_lshlrev_b64 v[2:3], 2, v[1:2]
	s_waitcnt lgkmcnt(0)
	v_add_co_u32 v2, vcc_lo, s4, v2
	s_delay_alu instid0(VALU_DEP_2) | instskip(SKIP_4) | instid1(VALU_DEP_2)
	v_add_co_ci_u32_e32 v3, vcc_lo, s5, v3, vcc_lo
	global_load_b64 v[2:3], v[2:3], off
	s_waitcnt vmcnt(0)
	v_subrev_nc_u32_e32 v2, s18, v2
	v_subrev_nc_u32_e32 v12, s18, v3
	v_add_nc_u32_e32 v2, v2, v0
	s_delay_alu instid0(VALU_DEP_1)
	v_cmp_lt_i32_e64 s2, v2, v12
	s_cbranch_scc0 .LBB9_12
; %bb.7:
	v_dual_mov_b32 v9, 0 :: v_dual_mov_b32 v10, 0
	v_mov_b32_e32 v11, 0
	s_mov_b32 s4, 0
	s_and_saveexec_b32 s5, s2
	s_cbranch_execz .LBB9_11
; %bb.8:
	v_mad_u64_u32 v[3:4], null, v2, 6, 5
	v_dual_mov_b32 v6, 0 :: v_dual_mov_b32 v7, v2
	v_dual_mov_b32 v9, 0 :: v_dual_mov_b32 v10, 0
	v_mov_b32_e32 v11, 0
	s_mov_b32 s13, 0
.LBB9_9:                                ; =>This Inner Loop Header: Depth=1
	s_delay_alu instid0(VALU_DEP_3) | instskip(SKIP_1) | instid1(VALU_DEP_2)
	v_ashrrev_i32_e32 v8, 31, v7
	v_mov_b32_e32 v14, v6
	v_lshlrev_b64 v[4:5], 2, v[7:8]
	v_add_nc_u32_e32 v7, 64, v7
	s_delay_alu instid0(VALU_DEP_2) | instskip(NEXT) | instid1(VALU_DEP_3)
	v_add_co_u32 v4, vcc_lo, s6, v4
	v_add_co_ci_u32_e32 v5, vcc_lo, s7, v5, vcc_lo
	global_load_b32 v8, v[4:5], off
	v_dual_mov_b32 v4, v6 :: v_dual_add_nc_u32 v5, -5, v3
	s_delay_alu instid0(VALU_DEP_1) | instskip(SKIP_1) | instid1(VALU_DEP_3)
	v_lshlrev_b64 v[15:16], 2, v[5:6]
	v_add_nc_u32_e32 v5, -3, v3
	v_lshlrev_b64 v[17:18], 2, v[3:4]
	s_delay_alu instid0(VALU_DEP_2) | instskip(NEXT) | instid1(VALU_DEP_4)
	v_lshlrev_b64 v[19:20], 2, v[5:6]
	v_add_co_u32 v15, vcc_lo, s8, v15
	v_add_co_ci_u32_e32 v16, vcc_lo, s9, v16, vcc_lo
	s_delay_alu instid0(VALU_DEP_4)
	v_add_co_u32 v17, vcc_lo, s8, v17
	v_add_co_ci_u32_e32 v18, vcc_lo, s9, v18, vcc_lo
	v_add_co_u32 v19, vcc_lo, s8, v19
	v_add_co_ci_u32_e32 v20, vcc_lo, s9, v20, vcc_lo
	s_clause 0x1
	global_load_b64 v[15:16], v[15:16], off
	global_load_b32 v23, v[19:20], off
	v_add_nc_u32_e32 v5, -2, v3
	s_delay_alu instid0(VALU_DEP_1) | instskip(SKIP_2) | instid1(VALU_DEP_2)
	v_lshlrev_b64 v[21:22], 2, v[5:6]
	v_add_nc_u32_e32 v5, -1, v3
	v_add_nc_u32_e32 v3, 0x180, v3
	v_lshlrev_b64 v[4:5], 2, v[5:6]
	s_delay_alu instid0(VALU_DEP_4) | instskip(SKIP_1) | instid1(VALU_DEP_3)
	v_add_co_u32 v19, vcc_lo, s8, v21
	v_add_co_ci_u32_e32 v20, vcc_lo, s9, v22, vcc_lo
	v_add_co_u32 v4, vcc_lo, s8, v4
	s_delay_alu instid0(VALU_DEP_4) | instskip(SKIP_4) | instid1(VALU_DEP_1)
	v_add_co_ci_u32_e32 v5, vcc_lo, s9, v5, vcc_lo
	v_cmp_ge_i32_e32 vcc_lo, v7, v12
	s_or_b32 s13, vcc_lo, s13
	s_waitcnt vmcnt(2)
	v_subrev_nc_u32_e32 v8, s18, v8
	v_lshlrev_b32_e32 v13, 1, v8
	s_delay_alu instid0(VALU_DEP_1) | instskip(NEXT) | instid1(VALU_DEP_1)
	v_lshlrev_b64 v[13:14], 2, v[13:14]
	v_add_co_u32 v13, s3, s10, v13
	s_delay_alu instid0(VALU_DEP_1)
	v_add_co_ci_u32_e64 v14, s3, s11, v14, s3
	global_load_b64 v[13:14], v[13:14], off
	s_clause 0x2
	global_load_b32 v8, v[19:20], off
	global_load_b32 v4, v[4:5], off
	;; [unrolled: 1-line block ×3, first 2 shown]
	s_waitcnt vmcnt(3)
	v_fmac_f32_e32 v9, v15, v13
	v_fmac_f32_e32 v11, v16, v13
	s_waitcnt vmcnt(2)
	s_delay_alu instid0(VALU_DEP_2) | instskip(SKIP_1) | instid1(VALU_DEP_2)
	v_dual_fmac_f32 v10, v23, v13 :: v_dual_fmac_f32 v9, v8, v14
	s_waitcnt vmcnt(1)
	v_fmac_f32_e32 v11, v4, v14
	s_waitcnt vmcnt(0)
	s_delay_alu instid0(VALU_DEP_2)
	v_fmac_f32_e32 v10, v5, v14
	s_and_not1_b32 exec_lo, exec_lo, s13
	s_cbranch_execnz .LBB9_9
; %bb.10:
	s_or_b32 exec_lo, exec_lo, s13
.LBB9_11:
	s_delay_alu instid0(SALU_CYCLE_1) | instskip(NEXT) | instid1(SALU_CYCLE_1)
	s_or_b32 exec_lo, exec_lo, s5
	s_and_not1_b32 vcc_lo, exec_lo, s4
	s_cbranch_vccz .LBB9_13
	s_branch .LBB9_18
.LBB9_12:
                                        ; implicit-def: $vgpr9
                                        ; implicit-def: $vgpr10
                                        ; implicit-def: $vgpr11
.LBB9_13:
	v_dual_mov_b32 v9, 0 :: v_dual_mov_b32 v10, 0
	v_mov_b32_e32 v11, 0
	s_delay_alu instid0(VALU_DEP_3)
	s_and_saveexec_b32 s3, s2
	s_cbranch_execz .LBB9_17
; %bb.14:
	v_mad_u64_u32 v[4:5], null, v2, 6, 5
	v_dual_mov_b32 v7, 0 :: v_dual_mov_b32 v10, 0
	v_mov_b32_e32 v9, 0
	v_mov_b32_e32 v11, 0
	s_mov_b32 s2, 0
.LBB9_15:                               ; =>This Inner Loop Header: Depth=1
	v_ashrrev_i32_e32 v3, 31, v2
	v_dual_mov_b32 v14, v7 :: v_dual_add_nc_u32 v13, -3, v4
	v_dual_mov_b32 v16, v7 :: v_dual_add_nc_u32 v15, -1, v4
	s_delay_alu instid0(VALU_DEP_3) | instskip(SKIP_1) | instid1(VALU_DEP_4)
	v_lshlrev_b64 v[5:6], 2, v[2:3]
	v_mov_b32_e32 v17, v7
	v_lshlrev_b64 v[13:14], 2, v[13:14]
	s_delay_alu instid0(VALU_DEP_4) | instskip(NEXT) | instid1(VALU_DEP_4)
	v_lshlrev_b64 v[15:16], 2, v[15:16]
	v_add_co_u32 v5, vcc_lo, s6, v5
	v_add_co_ci_u32_e32 v6, vcc_lo, s7, v6, vcc_lo
	global_load_b32 v3, v[5:6], off
	v_dual_mov_b32 v5, v7 :: v_dual_add_nc_u32 v6, -5, v4
	s_delay_alu instid0(VALU_DEP_1) | instskip(SKIP_1) | instid1(VALU_DEP_3)
	v_lshlrev_b64 v[18:19], 2, v[6:7]
	v_add_nc_u32_e32 v6, -2, v4
	v_lshlrev_b64 v[20:21], 2, v[4:5]
	s_delay_alu instid0(VALU_DEP_2) | instskip(NEXT) | instid1(VALU_DEP_4)
	v_lshlrev_b64 v[5:6], 2, v[6:7]
	v_add_co_u32 v18, vcc_lo, s8, v18
	v_add_co_ci_u32_e32 v19, vcc_lo, s9, v19, vcc_lo
	v_add_co_u32 v13, vcc_lo, s8, v13
	v_add_co_ci_u32_e32 v14, vcc_lo, s9, v14, vcc_lo
	;; [unrolled: 2-line block ×3, first 2 shown]
	global_load_b64 v[18:19], v[18:19], off
	v_add_co_u32 v20, vcc_lo, s8, v20
	v_add_co_ci_u32_e32 v21, vcc_lo, s9, v21, vcc_lo
	v_add_co_u32 v5, vcc_lo, s8, v5
	v_add_co_ci_u32_e32 v6, vcc_lo, s9, v6, vcc_lo
	s_waitcnt vmcnt(1)
	v_subrev_nc_u32_e32 v3, s18, v3
	s_delay_alu instid0(VALU_DEP_1) | instskip(NEXT) | instid1(VALU_DEP_1)
	v_lshlrev_b32_e32 v16, 1, v3
	v_lshlrev_b64 v[15:16], 2, v[16:17]
	s_delay_alu instid0(VALU_DEP_1) | instskip(NEXT) | instid1(VALU_DEP_2)
	v_add_co_u32 v15, vcc_lo, s10, v15
	v_add_co_ci_u32_e32 v16, vcc_lo, s11, v16, vcc_lo
	s_clause 0x1
	global_load_b32 v3, v[13:14], off
	global_load_b32 v8, v[22:23], off
	global_load_b64 v[13:14], v[15:16], off
	s_clause 0x1
	global_load_b32 v5, v[5:6], off
	global_load_b32 v6, v[20:21], off
	s_waitcnt vmcnt(2)
	v_dual_fmac_f32 v11, v3, v13 :: v_dual_add_nc_u32 v2, 64, v2
	v_fmac_f32_e32 v9, v18, v13
	v_fmac_f32_e32 v10, v8, v13
	s_delay_alu instid0(VALU_DEP_3)
	v_cmp_ge_i32_e32 vcc_lo, v2, v12
	s_waitcnt vmcnt(1)
	v_dual_fmac_f32 v11, v5, v14 :: v_dual_add_nc_u32 v4, 0x180, v4
	v_fmac_f32_e32 v9, v19, v14
	s_waitcnt vmcnt(0)
	v_fmac_f32_e32 v10, v6, v14
	s_or_b32 s2, vcc_lo, s2
	s_delay_alu instid0(SALU_CYCLE_1)
	s_and_not1_b32 exec_lo, exec_lo, s2
	s_cbranch_execnz .LBB9_15
; %bb.16:
	s_or_b32 exec_lo, exec_lo, s2
.LBB9_17:
	s_delay_alu instid0(SALU_CYCLE_1)
	s_or_b32 exec_lo, exec_lo, s3
.LBB9_18:
	v_mbcnt_lo_u32_b32 v2, -1, 0
	s_mov_b32 s2, -1
	s_delay_alu instid0(VALU_DEP_1) | instskip(SKIP_1) | instid1(VALU_DEP_2)
	v_or_b32_e32 v3, 32, v2
	v_xor_b32_e32 v6, 16, v2
	v_cmp_gt_i32_e32 vcc_lo, 32, v3
	v_cndmask_b32_e32 v3, v2, v3, vcc_lo
	s_delay_alu instid0(VALU_DEP_3) | instskip(SKIP_1) | instid1(VALU_DEP_1)
	v_cmp_gt_i32_e32 vcc_lo, 32, v6
	v_cndmask_b32_e32 v6, v2, v6, vcc_lo
	v_lshlrev_b32_e32 v6, 2, v6
	s_delay_alu instid0(VALU_DEP_4)
	v_lshlrev_b32_e32 v3, 2, v3
	ds_bpermute_b32 v4, v3, v9
	s_waitcnt lgkmcnt(0)
	v_add_f32_e32 v4, v9, v4
	ds_bpermute_b32 v5, v3, v11
	ds_bpermute_b32 v3, v3, v10
	v_xor_b32_e32 v9, 8, v2
	ds_bpermute_b32 v7, v6, v4
	v_cmp_gt_i32_e32 vcc_lo, 32, v9
	v_cndmask_b32_e32 v9, v2, v9, vcc_lo
	s_waitcnt lgkmcnt(0)
	v_dual_add_f32 v5, v11, v5 :: v_dual_add_f32 v4, v4, v7
	v_add_f32_e32 v3, v10, v3
	ds_bpermute_b32 v8, v6, v5
	v_lshlrev_b32_e32 v9, 2, v9
	ds_bpermute_b32 v6, v6, v3
	s_waitcnt lgkmcnt(1)
	v_add_f32_e32 v5, v5, v8
	s_waitcnt lgkmcnt(0)
	v_add_f32_e32 v3, v3, v6
	ds_bpermute_b32 v6, v9, v4
	ds_bpermute_b32 v7, v9, v5
	;; [unrolled: 1-line block ×3, first 2 shown]
	v_xor_b32_e32 v9, 4, v2
	s_delay_alu instid0(VALU_DEP_1)
	v_cmp_gt_i32_e32 vcc_lo, 32, v9
	s_waitcnt lgkmcnt(1)
	v_dual_add_f32 v4, v4, v6 :: v_dual_add_f32 v5, v5, v7
	s_waitcnt lgkmcnt(0)
	v_add_f32_e32 v3, v3, v8
	v_cndmask_b32_e32 v9, v2, v9, vcc_lo
	s_delay_alu instid0(VALU_DEP_1) | instskip(SKIP_4) | instid1(VALU_DEP_1)
	v_lshlrev_b32_e32 v9, 2, v9
	ds_bpermute_b32 v6, v9, v4
	ds_bpermute_b32 v7, v9, v5
	;; [unrolled: 1-line block ×3, first 2 shown]
	v_xor_b32_e32 v9, 2, v2
	v_cmp_gt_i32_e32 vcc_lo, 32, v9
	v_cndmask_b32_e32 v9, v2, v9, vcc_lo
	s_waitcnt lgkmcnt(2)
	s_delay_alu instid0(VALU_DEP_1)
	v_dual_add_f32 v4, v4, v6 :: v_dual_lshlrev_b32 v9, 2, v9
	s_waitcnt lgkmcnt(0)
	v_dual_add_f32 v5, v5, v7 :: v_dual_add_f32 v6, v3, v8
	ds_bpermute_b32 v3, v9, v4
	ds_bpermute_b32 v7, v9, v5
	;; [unrolled: 1-line block ×3, first 2 shown]
	v_xor_b32_e32 v9, 1, v2
	s_delay_alu instid0(VALU_DEP_1) | instskip(SKIP_3) | instid1(VALU_DEP_2)
	v_cmp_gt_i32_e32 vcc_lo, 32, v9
	v_cndmask_b32_e32 v2, v2, v9, vcc_lo
	v_cmp_eq_u32_e32 vcc_lo, 63, v0
	s_waitcnt lgkmcnt(2)
	v_dual_add_f32 v2, v4, v3 :: v_dual_lshlrev_b32 v9, 2, v2
	s_waitcnt lgkmcnt(0)
	v_dual_add_f32 v3, v5, v7 :: v_dual_add_f32 v4, v6, v8
	ds_bpermute_b32 v5, v9, v2
	ds_bpermute_b32 v6, v9, v3
	;; [unrolled: 1-line block ×3, first 2 shown]
	s_and_b32 exec_lo, exec_lo, vcc_lo
	s_cbranch_execz .LBB9_23
; %bb.19:
	s_load_b64 s[0:1], s[0:1], 0x38
	s_waitcnt lgkmcnt(0)
	v_add_f32_e32 v0, v2, v5
	v_add_f32_e32 v2, v3, v6
	;; [unrolled: 1-line block ×3, first 2 shown]
	v_lshl_add_u32 v3, v1, 1, v1
	v_cmp_eq_f32_e64 s3, s12, 0
	s_delay_alu instid0(VALU_DEP_4) | instskip(NEXT) | instid1(VALU_DEP_4)
	v_dual_mul_f32 v1, s16, v2 :: v_dual_mul_f32 v0, s16, v0
	v_mul_f32_e32 v2, s16, v4
	s_delay_alu instid0(VALU_DEP_4) | instskip(NEXT) | instid1(VALU_DEP_4)
	v_ashrrev_i32_e32 v4, 31, v3
	s_and_b32 vcc_lo, exec_lo, s3
	s_cbranch_vccz .LBB9_21
; %bb.20:
	s_delay_alu instid0(VALU_DEP_1) | instskip(SKIP_1) | instid1(VALU_DEP_1)
	v_lshlrev_b64 v[5:6], 2, v[3:4]
	s_mov_b32 s2, 0
	v_add_co_u32 v5, vcc_lo, s0, v5
	s_delay_alu instid0(VALU_DEP_2)
	v_add_co_ci_u32_e32 v6, vcc_lo, s1, v6, vcc_lo
	global_store_b96 v[5:6], v[0:2], off
.LBB9_21:
	s_and_not1_b32 vcc_lo, exec_lo, s2
	s_cbranch_vccnz .LBB9_23
; %bb.22:
	v_lshlrev_b64 v[3:4], 2, v[3:4]
	s_delay_alu instid0(VALU_DEP_1) | instskip(NEXT) | instid1(VALU_DEP_2)
	v_add_co_u32 v6, vcc_lo, s0, v3
	v_add_co_ci_u32_e32 v7, vcc_lo, s1, v4, vcc_lo
	global_load_b96 v[3:5], v[6:7], off
	s_waitcnt vmcnt(0)
	v_dual_fmac_f32 v0, s12, v3 :: v_dual_fmac_f32 v1, s12, v4
	v_fmac_f32_e32 v2, s12, v5
	global_store_b96 v[6:7], v[0:2], off
.LBB9_23:
	s_nop 0
	s_sendmsg sendmsg(MSG_DEALLOC_VGPRS)
	s_endpgm
	.section	.rodata,"a",@progbits
	.p2align	6, 0x0
	.amdhsa_kernel _ZN9rocsparseL19gebsrmvn_3xn_kernelILj128ELj2ELj64EfEEvi20rocsparse_direction_NS_24const_host_device_scalarIT2_EEPKiS6_PKS3_S8_S4_PS3_21rocsparse_index_base_b
		.amdhsa_group_segment_fixed_size 0
		.amdhsa_private_segment_fixed_size 0
		.amdhsa_kernarg_size 72
		.amdhsa_user_sgpr_count 15
		.amdhsa_user_sgpr_dispatch_ptr 0
		.amdhsa_user_sgpr_queue_ptr 0
		.amdhsa_user_sgpr_kernarg_segment_ptr 1
		.amdhsa_user_sgpr_dispatch_id 0
		.amdhsa_user_sgpr_private_segment_size 0
		.amdhsa_wavefront_size32 1
		.amdhsa_uses_dynamic_stack 0
		.amdhsa_enable_private_segment 0
		.amdhsa_system_sgpr_workgroup_id_x 1
		.amdhsa_system_sgpr_workgroup_id_y 0
		.amdhsa_system_sgpr_workgroup_id_z 0
		.amdhsa_system_sgpr_workgroup_info 0
		.amdhsa_system_vgpr_workitem_id 0
		.amdhsa_next_free_vgpr 24
		.amdhsa_next_free_sgpr 20
		.amdhsa_reserve_vcc 1
		.amdhsa_float_round_mode_32 0
		.amdhsa_float_round_mode_16_64 0
		.amdhsa_float_denorm_mode_32 3
		.amdhsa_float_denorm_mode_16_64 3
		.amdhsa_dx10_clamp 1
		.amdhsa_ieee_mode 1
		.amdhsa_fp16_overflow 0
		.amdhsa_workgroup_processor_mode 1
		.amdhsa_memory_ordered 1
		.amdhsa_forward_progress 0
		.amdhsa_shared_vgpr_count 0
		.amdhsa_exception_fp_ieee_invalid_op 0
		.amdhsa_exception_fp_denorm_src 0
		.amdhsa_exception_fp_ieee_div_zero 0
		.amdhsa_exception_fp_ieee_overflow 0
		.amdhsa_exception_fp_ieee_underflow 0
		.amdhsa_exception_fp_ieee_inexact 0
		.amdhsa_exception_int_div_zero 0
	.end_amdhsa_kernel
	.section	.text._ZN9rocsparseL19gebsrmvn_3xn_kernelILj128ELj2ELj64EfEEvi20rocsparse_direction_NS_24const_host_device_scalarIT2_EEPKiS6_PKS3_S8_S4_PS3_21rocsparse_index_base_b,"axG",@progbits,_ZN9rocsparseL19gebsrmvn_3xn_kernelILj128ELj2ELj64EfEEvi20rocsparse_direction_NS_24const_host_device_scalarIT2_EEPKiS6_PKS3_S8_S4_PS3_21rocsparse_index_base_b,comdat
.Lfunc_end9:
	.size	_ZN9rocsparseL19gebsrmvn_3xn_kernelILj128ELj2ELj64EfEEvi20rocsparse_direction_NS_24const_host_device_scalarIT2_EEPKiS6_PKS3_S8_S4_PS3_21rocsparse_index_base_b, .Lfunc_end9-_ZN9rocsparseL19gebsrmvn_3xn_kernelILj128ELj2ELj64EfEEvi20rocsparse_direction_NS_24const_host_device_scalarIT2_EEPKiS6_PKS3_S8_S4_PS3_21rocsparse_index_base_b
                                        ; -- End function
	.section	.AMDGPU.csdata,"",@progbits
; Kernel info:
; codeLenInByte = 1684
; NumSgprs: 22
; NumVgprs: 24
; ScratchSize: 0
; MemoryBound: 0
; FloatMode: 240
; IeeeMode: 1
; LDSByteSize: 0 bytes/workgroup (compile time only)
; SGPRBlocks: 2
; VGPRBlocks: 2
; NumSGPRsForWavesPerEU: 22
; NumVGPRsForWavesPerEU: 24
; Occupancy: 16
; WaveLimiterHint : 1
; COMPUTE_PGM_RSRC2:SCRATCH_EN: 0
; COMPUTE_PGM_RSRC2:USER_SGPR: 15
; COMPUTE_PGM_RSRC2:TRAP_HANDLER: 0
; COMPUTE_PGM_RSRC2:TGID_X_EN: 1
; COMPUTE_PGM_RSRC2:TGID_Y_EN: 0
; COMPUTE_PGM_RSRC2:TGID_Z_EN: 0
; COMPUTE_PGM_RSRC2:TIDIG_COMP_CNT: 0
	.section	.text._ZN9rocsparseL19gebsrmvn_3xn_kernelILj128ELj4ELj4EfEEvi20rocsparse_direction_NS_24const_host_device_scalarIT2_EEPKiS6_PKS3_S8_S4_PS3_21rocsparse_index_base_b,"axG",@progbits,_ZN9rocsparseL19gebsrmvn_3xn_kernelILj128ELj4ELj4EfEEvi20rocsparse_direction_NS_24const_host_device_scalarIT2_EEPKiS6_PKS3_S8_S4_PS3_21rocsparse_index_base_b,comdat
	.globl	_ZN9rocsparseL19gebsrmvn_3xn_kernelILj128ELj4ELj4EfEEvi20rocsparse_direction_NS_24const_host_device_scalarIT2_EEPKiS6_PKS3_S8_S4_PS3_21rocsparse_index_base_b ; -- Begin function _ZN9rocsparseL19gebsrmvn_3xn_kernelILj128ELj4ELj4EfEEvi20rocsparse_direction_NS_24const_host_device_scalarIT2_EEPKiS6_PKS3_S8_S4_PS3_21rocsparse_index_base_b
	.p2align	8
	.type	_ZN9rocsparseL19gebsrmvn_3xn_kernelILj128ELj4ELj4EfEEvi20rocsparse_direction_NS_24const_host_device_scalarIT2_EEPKiS6_PKS3_S8_S4_PS3_21rocsparse_index_base_b,@function
_ZN9rocsparseL19gebsrmvn_3xn_kernelILj128ELj4ELj4EfEEvi20rocsparse_direction_NS_24const_host_device_scalarIT2_EEPKiS6_PKS3_S8_S4_PS3_21rocsparse_index_base_b: ; @_ZN9rocsparseL19gebsrmvn_3xn_kernelILj128ELj4ELj4EfEEvi20rocsparse_direction_NS_24const_host_device_scalarIT2_EEPKiS6_PKS3_S8_S4_PS3_21rocsparse_index_base_b
; %bb.0:
	s_clause 0x2
	s_load_b64 s[18:19], s[0:1], 0x40
	s_load_b64 s[16:17], s[0:1], 0x8
	;; [unrolled: 1-line block ×3, first 2 shown]
	s_waitcnt lgkmcnt(0)
	s_bitcmp1_b32 s19, 0
	s_cselect_b32 s2, -1, 0
	s_delay_alu instid0(SALU_CYCLE_1)
	s_and_b32 vcc_lo, exec_lo, s2
	s_xor_b32 s2, s2, -1
	s_cbranch_vccnz .LBB10_2
; %bb.1:
	s_load_b32 s16, s[16:17], 0x0
.LBB10_2:
	s_and_not1_b32 vcc_lo, exec_lo, s2
	s_cbranch_vccnz .LBB10_4
; %bb.3:
	s_load_b32 s12, s[12:13], 0x0
.LBB10_4:
	s_waitcnt lgkmcnt(0)
	v_cmp_eq_f32_e64 s2, s16, 0
	v_cmp_eq_f32_e64 s3, s12, 1.0
	s_delay_alu instid0(VALU_DEP_1) | instskip(NEXT) | instid1(SALU_CYCLE_1)
	s_and_b32 s2, s2, s3
	s_and_b32 vcc_lo, exec_lo, s2
	s_cbranch_vccnz .LBB10_23
; %bb.5:
	s_load_b64 s[2:3], s[0:1], 0x0
	v_lshrrev_b32_e32 v1, 2, v0
	s_delay_alu instid0(VALU_DEP_1) | instskip(SKIP_1) | instid1(VALU_DEP_1)
	v_lshl_or_b32 v1, s15, 5, v1
	s_waitcnt lgkmcnt(0)
	v_cmp_gt_i32_e32 vcc_lo, s2, v1
	s_and_saveexec_b32 s2, vcc_lo
	s_cbranch_execz .LBB10_23
; %bb.6:
	s_load_b256 s[4:11], s[0:1], 0x10
	v_ashrrev_i32_e32 v2, 31, v1
	v_and_b32_e32 v0, 3, v0
	s_cmp_lg_u32 s3, 0
	s_delay_alu instid0(VALU_DEP_2) | instskip(SKIP_1) | instid1(VALU_DEP_1)
	v_lshlrev_b64 v[2:3], 2, v[1:2]
	s_waitcnt lgkmcnt(0)
	v_add_co_u32 v2, vcc_lo, s4, v2
	s_delay_alu instid0(VALU_DEP_2) | instskip(SKIP_4) | instid1(VALU_DEP_2)
	v_add_co_ci_u32_e32 v3, vcc_lo, s5, v3, vcc_lo
	global_load_b64 v[2:3], v[2:3], off
	s_waitcnt vmcnt(0)
	v_subrev_nc_u32_e32 v2, s18, v2
	v_subrev_nc_u32_e32 v12, s18, v3
	v_add_nc_u32_e32 v2, v2, v0
	s_delay_alu instid0(VALU_DEP_1)
	v_cmp_lt_i32_e64 s2, v2, v12
	s_cbranch_scc0 .LBB10_12
; %bb.7:
	v_dual_mov_b32 v9, 0 :: v_dual_mov_b32 v10, 0
	v_mov_b32_e32 v11, 0
	s_mov_b32 s3, 0
	s_and_saveexec_b32 s4, s2
	s_cbranch_execz .LBB10_11
; %bb.8:
	v_mad_u64_u32 v[3:4], null, v2, 12, 11
	v_dual_mov_b32 v6, 0 :: v_dual_mov_b32 v7, v2
	v_dual_mov_b32 v9, 0 :: v_dual_mov_b32 v10, 0
	v_mov_b32_e32 v11, 0
	s_mov_b32 s5, 0
.LBB10_9:                               ; =>This Inner Loop Header: Depth=1
	s_delay_alu instid0(VALU_DEP_3) | instskip(SKIP_1) | instid1(VALU_DEP_2)
	v_ashrrev_i32_e32 v8, 31, v7
	v_mov_b32_e32 v18, v6
	v_lshlrev_b64 v[4:5], 2, v[7:8]
	v_add_nc_u32_e32 v7, 4, v7
	s_delay_alu instid0(VALU_DEP_2) | instskip(NEXT) | instid1(VALU_DEP_3)
	v_add_co_u32 v4, vcc_lo, s6, v4
	v_add_co_ci_u32_e32 v5, vcc_lo, s7, v5, vcc_lo
	global_load_b32 v8, v[4:5], off
	v_dual_mov_b32 v4, v6 :: v_dual_add_nc_u32 v5, -11, v3
	s_delay_alu instid0(VALU_DEP_1) | instskip(SKIP_1) | instid1(VALU_DEP_3)
	v_lshlrev_b64 v[13:14], 2, v[5:6]
	v_add_nc_u32_e32 v5, -7, v3
	v_lshlrev_b64 v[15:16], 2, v[3:4]
	s_delay_alu instid0(VALU_DEP_2) | instskip(NEXT) | instid1(VALU_DEP_4)
	v_lshlrev_b64 v[19:20], 2, v[5:6]
	v_add_co_u32 v13, vcc_lo, s8, v13
	v_add_co_ci_u32_e32 v14, vcc_lo, s9, v14, vcc_lo
	s_delay_alu instid0(VALU_DEP_4)
	v_add_co_u32 v21, vcc_lo, s8, v15
	v_add_co_ci_u32_e32 v22, vcc_lo, s9, v16, vcc_lo
	v_add_co_u32 v19, vcc_lo, s8, v19
	v_add_co_ci_u32_e32 v20, vcc_lo, s9, v20, vcc_lo
	s_clause 0x1
	global_load_b128 v[13:16], v[13:14], off
	global_load_b32 v29, v[19:20], off
	v_add_nc_u32_e32 v5, -6, v3
	s_delay_alu instid0(VALU_DEP_1) | instskip(NEXT) | instid1(VALU_DEP_1)
	v_lshlrev_b64 v[23:24], 2, v[5:6]
	v_add_co_u32 v19, vcc_lo, s8, v23
	s_delay_alu instid0(VALU_DEP_2) | instskip(SKIP_2) | instid1(VALU_DEP_1)
	v_add_co_ci_u32_e32 v20, vcc_lo, s9, v24, vcc_lo
	global_load_b32 v30, v[19:20], off
	v_add_nc_u32_e32 v5, -5, v3
	v_lshlrev_b64 v[25:26], 2, v[5:6]
	v_add_nc_u32_e32 v5, -4, v3
	s_delay_alu instid0(VALU_DEP_1) | instskip(NEXT) | instid1(VALU_DEP_3)
	v_lshlrev_b64 v[23:24], 2, v[5:6]
	v_add_co_u32 v25, vcc_lo, s8, v25
	s_delay_alu instid0(VALU_DEP_4) | instskip(SKIP_1) | instid1(VALU_DEP_4)
	v_add_co_ci_u32_e32 v26, vcc_lo, s9, v26, vcc_lo
	v_add_nc_u32_e32 v5, -3, v3
	v_add_co_u32 v23, vcc_lo, s8, v23
	v_add_co_ci_u32_e32 v24, vcc_lo, s9, v24, vcc_lo
	global_load_b32 v31, v[25:26], off
	s_waitcnt vmcnt(4)
	v_subrev_nc_u32_e32 v4, s18, v8
	global_load_b32 v8, v[23:24], off
	v_lshlrev_b64 v[19:20], 2, v[5:6]
	v_add_nc_u32_e32 v5, -2, v3
	v_lshlrev_b32_e32 v17, 2, v4
	s_delay_alu instid0(VALU_DEP_3) | instskip(NEXT) | instid1(VALU_DEP_2)
	v_add_co_u32 v27, vcc_lo, s8, v19
	v_lshlrev_b64 v[17:18], 2, v[17:18]
	v_add_co_ci_u32_e32 v28, vcc_lo, s9, v20, vcc_lo
	v_lshlrev_b64 v[25:26], 2, v[5:6]
	v_add_nc_u32_e32 v5, -1, v3
	v_add_nc_u32_e32 v3, 48, v3
	v_add_co_u32 v17, vcc_lo, s10, v17
	v_add_co_ci_u32_e32 v18, vcc_lo, s11, v18, vcc_lo
	s_delay_alu instid0(VALU_DEP_4)
	v_lshlrev_b64 v[4:5], 2, v[5:6]
	v_add_co_u32 v23, vcc_lo, s8, v25
	global_load_b128 v[17:20], v[17:18], off
	global_load_b32 v27, v[27:28], off
	v_add_co_ci_u32_e32 v24, vcc_lo, s9, v26, vcc_lo
	v_add_co_u32 v4, vcc_lo, s8, v4
	v_add_co_ci_u32_e32 v5, vcc_lo, s9, v5, vcc_lo
	s_clause 0x2
	global_load_b32 v23, v[23:24], off
	global_load_b32 v4, v[4:5], off
	;; [unrolled: 1-line block ×3, first 2 shown]
	v_cmp_ge_i32_e32 vcc_lo, v7, v12
	s_or_b32 s5, vcc_lo, s5
	s_waitcnt vmcnt(4)
	v_fmac_f32_e32 v10, v15, v17
	s_delay_alu instid0(VALU_DEP_1) | instskip(SKIP_1) | instid1(VALU_DEP_1)
	v_dual_fmac_f32 v9, v13, v17 :: v_dual_fmac_f32 v10, v30, v18
	s_waitcnt vmcnt(3)
	v_dual_fmac_f32 v9, v16, v18 :: v_dual_fmac_f32 v10, v27, v19
	v_fmac_f32_e32 v11, v14, v17
	s_waitcnt vmcnt(0)
	s_delay_alu instid0(VALU_DEP_2) | instskip(NEXT) | instid1(VALU_DEP_2)
	v_dual_fmac_f32 v9, v31, v19 :: v_dual_fmac_f32 v10, v5, v20
	v_fmac_f32_e32 v11, v29, v18
	s_delay_alu instid0(VALU_DEP_2) | instskip(NEXT) | instid1(VALU_DEP_2)
	v_fmac_f32_e32 v9, v23, v20
	v_fmac_f32_e32 v11, v8, v19
	s_delay_alu instid0(VALU_DEP_1)
	v_fmac_f32_e32 v11, v4, v20
	s_and_not1_b32 exec_lo, exec_lo, s5
	s_cbranch_execnz .LBB10_9
; %bb.10:
	s_or_b32 exec_lo, exec_lo, s5
.LBB10_11:
	s_delay_alu instid0(SALU_CYCLE_1) | instskip(NEXT) | instid1(SALU_CYCLE_1)
	s_or_b32 exec_lo, exec_lo, s4
	s_and_not1_b32 vcc_lo, exec_lo, s3
	s_cbranch_vccz .LBB10_13
	s_branch .LBB10_18
.LBB10_12:
                                        ; implicit-def: $vgpr9
                                        ; implicit-def: $vgpr10
                                        ; implicit-def: $vgpr11
.LBB10_13:
	v_dual_mov_b32 v9, 0 :: v_dual_mov_b32 v10, 0
	v_mov_b32_e32 v11, 0
	s_delay_alu instid0(VALU_DEP_3)
	s_and_saveexec_b32 s3, s2
	s_cbranch_execz .LBB10_17
; %bb.14:
	v_mad_u64_u32 v[4:5], null, v2, 12, 11
	v_dual_mov_b32 v7, 0 :: v_dual_mov_b32 v10, 0
	v_mov_b32_e32 v9, 0
	v_mov_b32_e32 v11, 0
	s_mov_b32 s2, 0
.LBB10_15:                              ; =>This Inner Loop Header: Depth=1
	v_ashrrev_i32_e32 v3, 31, v2
	v_dual_mov_b32 v18, v7 :: v_dual_add_nc_u32 v13, -7, v4
	v_dual_mov_b32 v14, v7 :: v_dual_add_nc_u32 v15, -3, v4
	s_delay_alu instid0(VALU_DEP_3) | instskip(NEXT) | instid1(VALU_DEP_2)
	v_lshlrev_b64 v[5:6], 2, v[2:3]
	v_lshlrev_b64 v[13:14], 2, v[13:14]
	s_delay_alu instid0(VALU_DEP_2) | instskip(NEXT) | instid1(VALU_DEP_3)
	v_add_co_u32 v5, vcc_lo, s6, v5
	v_add_co_ci_u32_e32 v6, vcc_lo, s7, v6, vcc_lo
	global_load_b32 v3, v[5:6], off
	v_dual_mov_b32 v5, v7 :: v_dual_add_nc_u32 v6, -11, v4
	s_delay_alu instid0(VALU_DEP_1) | instskip(NEXT) | instid1(VALU_DEP_2)
	v_lshlrev_b64 v[19:20], 2, v[6:7]
	v_lshlrev_b64 v[21:22], 2, v[4:5]
	s_delay_alu instid0(VALU_DEP_2) | instskip(NEXT) | instid1(VALU_DEP_3)
	v_add_co_u32 v19, vcc_lo, s8, v19
	v_add_co_ci_u32_e32 v20, vcc_lo, s9, v20, vcc_lo
	v_add_co_u32 v25, vcc_lo, s8, v13
	v_add_co_ci_u32_e32 v26, vcc_lo, s9, v14, vcc_lo
	s_waitcnt vmcnt(0)
	v_subrev_nc_u32_e32 v3, s18, v3
	s_delay_alu instid0(VALU_DEP_1) | instskip(NEXT) | instid1(VALU_DEP_1)
	v_dual_mov_b32 v16, v7 :: v_dual_lshlrev_b32 v17, 2, v3
	v_lshlrev_b64 v[15:16], 2, v[15:16]
	s_delay_alu instid0(VALU_DEP_2) | instskip(NEXT) | instid1(VALU_DEP_2)
	v_lshlrev_b64 v[17:18], 2, v[17:18]
	v_add_co_u32 v27, vcc_lo, s8, v15
	s_delay_alu instid0(VALU_DEP_3)
	v_add_co_ci_u32_e32 v28, vcc_lo, s9, v16, vcc_lo
	global_load_b128 v[13:16], v[19:20], off
	v_add_nc_u32_e32 v6, -6, v4
	s_clause 0x1
	global_load_b32 v8, v[25:26], off
	global_load_b32 v27, v[27:28], off
	v_add_co_u32 v21, vcc_lo, s8, v21
	v_add_co_ci_u32_e32 v22, vcc_lo, s9, v22, vcc_lo
	v_lshlrev_b64 v[23:24], 2, v[6:7]
	v_add_nc_u32_e32 v6, -2, v4
	s_delay_alu instid0(VALU_DEP_1) | instskip(SKIP_1) | instid1(VALU_DEP_4)
	v_lshlrev_b64 v[29:30], 2, v[6:7]
	v_add_nc_u32_e32 v6, -5, v4
	v_add_co_u32 v19, vcc_lo, s8, v23
	v_add_co_ci_u32_e32 v20, vcc_lo, s9, v24, vcc_lo
	s_delay_alu instid0(VALU_DEP_3)
	v_lshlrev_b64 v[23:24], 2, v[6:7]
	global_load_b32 v28, v[19:20], off
	v_add_co_u32 v19, vcc_lo, s8, v29
	v_add_co_ci_u32_e32 v20, vcc_lo, s9, v30, vcc_lo
	v_add_co_u32 v23, vcc_lo, s8, v23
	v_add_co_ci_u32_e32 v24, vcc_lo, s9, v24, vcc_lo
	;; [unrolled: 2-line block ×3, first 2 shown]
	global_load_b32 v3, v[19:20], off
	global_load_b128 v[17:20], v[17:18], off
	global_load_b32 v29, v[23:24], off
	s_waitcnt vmcnt(1)
	v_fmac_f32_e32 v9, v13, v17
	v_dual_fmac_f32 v11, v8, v17 :: v_dual_add_nc_u32 v6, -1, v4
	s_delay_alu instid0(VALU_DEP_2) | instskip(NEXT) | instid1(VALU_DEP_2)
	v_fmac_f32_e32 v9, v14, v18
	v_fmac_f32_e32 v11, v28, v18
	s_delay_alu instid0(VALU_DEP_3)
	v_lshlrev_b64 v[25:26], 2, v[6:7]
	v_add_nc_u32_e32 v6, -4, v4
	v_fmac_f32_e32 v10, v27, v17
	v_fmac_f32_e32 v9, v15, v19
	s_waitcnt vmcnt(0)
	v_dual_fmac_f32 v11, v29, v19 :: v_dual_add_nc_u32 v4, 48, v4
	v_lshlrev_b64 v[5:6], 2, v[6:7]
	v_add_co_u32 v23, vcc_lo, s8, v25
	v_add_co_ci_u32_e32 v24, vcc_lo, s9, v26, vcc_lo
	v_dual_fmac_f32 v10, v3, v18 :: v_dual_fmac_f32 v9, v16, v20
	s_delay_alu instid0(VALU_DEP_4)
	v_add_co_u32 v5, vcc_lo, s8, v5
	v_add_co_ci_u32_e32 v6, vcc_lo, s9, v6, vcc_lo
	s_clause 0x2
	global_load_b32 v23, v[23:24], off
	global_load_b32 v5, v[5:6], off
	;; [unrolled: 1-line block ×3, first 2 shown]
	v_add_nc_u32_e32 v2, 4, v2
	s_waitcnt vmcnt(1)
	v_dual_fmac_f32 v10, v23, v19 :: v_dual_fmac_f32 v11, v5, v20
	s_delay_alu instid0(VALU_DEP_2) | instskip(SKIP_1) | instid1(VALU_DEP_2)
	v_cmp_ge_i32_e32 vcc_lo, v2, v12
	s_waitcnt vmcnt(0)
	v_fmac_f32_e32 v10, v6, v20
	s_or_b32 s2, vcc_lo, s2
	s_delay_alu instid0(SALU_CYCLE_1)
	s_and_not1_b32 exec_lo, exec_lo, s2
	s_cbranch_execnz .LBB10_15
; %bb.16:
	s_or_b32 exec_lo, exec_lo, s2
.LBB10_17:
	s_delay_alu instid0(SALU_CYCLE_1)
	s_or_b32 exec_lo, exec_lo, s3
.LBB10_18:
	v_mbcnt_lo_u32_b32 v2, -1, 0
	s_mov_b32 s2, -1
	s_delay_alu instid0(VALU_DEP_1) | instskip(NEXT) | instid1(VALU_DEP_1)
	v_xor_b32_e32 v3, 2, v2
	v_cmp_gt_i32_e32 vcc_lo, 32, v3
	v_cndmask_b32_e32 v3, v2, v3, vcc_lo
	s_delay_alu instid0(VALU_DEP_1) | instskip(SKIP_4) | instid1(VALU_DEP_1)
	v_lshlrev_b32_e32 v3, 2, v3
	ds_bpermute_b32 v4, v3, v9
	ds_bpermute_b32 v5, v3, v11
	;; [unrolled: 1-line block ×3, first 2 shown]
	v_xor_b32_e32 v3, 1, v2
	v_cmp_gt_i32_e32 vcc_lo, 32, v3
	v_cndmask_b32_e32 v2, v2, v3, vcc_lo
	v_cmp_eq_u32_e32 vcc_lo, 3, v0
	s_waitcnt lgkmcnt(1)
	v_add_f32_e32 v3, v11, v5
	s_delay_alu instid0(VALU_DEP_3)
	v_dual_add_f32 v2, v9, v4 :: v_dual_lshlrev_b32 v7, 2, v2
	s_waitcnt lgkmcnt(0)
	v_add_f32_e32 v4, v10, v6
	ds_bpermute_b32 v6, v7, v3
	ds_bpermute_b32 v5, v7, v2
	ds_bpermute_b32 v7, v7, v4
	s_and_b32 exec_lo, exec_lo, vcc_lo
	s_cbranch_execz .LBB10_23
; %bb.19:
	s_load_b64 s[0:1], s[0:1], 0x38
	s_waitcnt lgkmcnt(0)
	v_add_f32_e32 v0, v2, v5
	v_add_f32_e32 v2, v3, v6
	;; [unrolled: 1-line block ×3, first 2 shown]
	v_lshl_add_u32 v3, v1, 1, v1
	v_cmp_eq_f32_e64 s3, s12, 0
	s_delay_alu instid0(VALU_DEP_4) | instskip(NEXT) | instid1(VALU_DEP_4)
	v_dual_mul_f32 v1, s16, v2 :: v_dual_mul_f32 v0, s16, v0
	v_mul_f32_e32 v2, s16, v4
	s_delay_alu instid0(VALU_DEP_4) | instskip(NEXT) | instid1(VALU_DEP_4)
	v_ashrrev_i32_e32 v4, 31, v3
	s_and_b32 vcc_lo, exec_lo, s3
	s_cbranch_vccz .LBB10_21
; %bb.20:
	s_delay_alu instid0(VALU_DEP_1) | instskip(SKIP_1) | instid1(VALU_DEP_1)
	v_lshlrev_b64 v[5:6], 2, v[3:4]
	s_mov_b32 s2, 0
	v_add_co_u32 v5, vcc_lo, s0, v5
	s_delay_alu instid0(VALU_DEP_2)
	v_add_co_ci_u32_e32 v6, vcc_lo, s1, v6, vcc_lo
	global_store_b96 v[5:6], v[0:2], off
.LBB10_21:
	s_and_not1_b32 vcc_lo, exec_lo, s2
	s_cbranch_vccnz .LBB10_23
; %bb.22:
	v_lshlrev_b64 v[3:4], 2, v[3:4]
	s_delay_alu instid0(VALU_DEP_1) | instskip(NEXT) | instid1(VALU_DEP_2)
	v_add_co_u32 v6, vcc_lo, s0, v3
	v_add_co_ci_u32_e32 v7, vcc_lo, s1, v4, vcc_lo
	global_load_b96 v[3:5], v[6:7], off
	s_waitcnt vmcnt(0)
	v_dual_fmac_f32 v0, s12, v3 :: v_dual_fmac_f32 v1, s12, v4
	v_fmac_f32_e32 v2, s12, v5
	global_store_b96 v[6:7], v[0:2], off
.LBB10_23:
	s_nop 0
	s_sendmsg sendmsg(MSG_DEALLOC_VGPRS)
	s_endpgm
	.section	.rodata,"a",@progbits
	.p2align	6, 0x0
	.amdhsa_kernel _ZN9rocsparseL19gebsrmvn_3xn_kernelILj128ELj4ELj4EfEEvi20rocsparse_direction_NS_24const_host_device_scalarIT2_EEPKiS6_PKS3_S8_S4_PS3_21rocsparse_index_base_b
		.amdhsa_group_segment_fixed_size 0
		.amdhsa_private_segment_fixed_size 0
		.amdhsa_kernarg_size 72
		.amdhsa_user_sgpr_count 15
		.amdhsa_user_sgpr_dispatch_ptr 0
		.amdhsa_user_sgpr_queue_ptr 0
		.amdhsa_user_sgpr_kernarg_segment_ptr 1
		.amdhsa_user_sgpr_dispatch_id 0
		.amdhsa_user_sgpr_private_segment_size 0
		.amdhsa_wavefront_size32 1
		.amdhsa_uses_dynamic_stack 0
		.amdhsa_enable_private_segment 0
		.amdhsa_system_sgpr_workgroup_id_x 1
		.amdhsa_system_sgpr_workgroup_id_y 0
		.amdhsa_system_sgpr_workgroup_id_z 0
		.amdhsa_system_sgpr_workgroup_info 0
		.amdhsa_system_vgpr_workitem_id 0
		.amdhsa_next_free_vgpr 32
		.amdhsa_next_free_sgpr 20
		.amdhsa_reserve_vcc 1
		.amdhsa_float_round_mode_32 0
		.amdhsa_float_round_mode_16_64 0
		.amdhsa_float_denorm_mode_32 3
		.amdhsa_float_denorm_mode_16_64 3
		.amdhsa_dx10_clamp 1
		.amdhsa_ieee_mode 1
		.amdhsa_fp16_overflow 0
		.amdhsa_workgroup_processor_mode 1
		.amdhsa_memory_ordered 1
		.amdhsa_forward_progress 0
		.amdhsa_shared_vgpr_count 0
		.amdhsa_exception_fp_ieee_invalid_op 0
		.amdhsa_exception_fp_denorm_src 0
		.amdhsa_exception_fp_ieee_div_zero 0
		.amdhsa_exception_fp_ieee_overflow 0
		.amdhsa_exception_fp_ieee_underflow 0
		.amdhsa_exception_fp_ieee_inexact 0
		.amdhsa_exception_int_div_zero 0
	.end_amdhsa_kernel
	.section	.text._ZN9rocsparseL19gebsrmvn_3xn_kernelILj128ELj4ELj4EfEEvi20rocsparse_direction_NS_24const_host_device_scalarIT2_EEPKiS6_PKS3_S8_S4_PS3_21rocsparse_index_base_b,"axG",@progbits,_ZN9rocsparseL19gebsrmvn_3xn_kernelILj128ELj4ELj4EfEEvi20rocsparse_direction_NS_24const_host_device_scalarIT2_EEPKiS6_PKS3_S8_S4_PS3_21rocsparse_index_base_b,comdat
.Lfunc_end10:
	.size	_ZN9rocsparseL19gebsrmvn_3xn_kernelILj128ELj4ELj4EfEEvi20rocsparse_direction_NS_24const_host_device_scalarIT2_EEPKiS6_PKS3_S8_S4_PS3_21rocsparse_index_base_b, .Lfunc_end10-_ZN9rocsparseL19gebsrmvn_3xn_kernelILj128ELj4ELj4EfEEvi20rocsparse_direction_NS_24const_host_device_scalarIT2_EEPKiS6_PKS3_S8_S4_PS3_21rocsparse_index_base_b
                                        ; -- End function
	.section	.AMDGPU.csdata,"",@progbits
; Kernel info:
; codeLenInByte = 1756
; NumSgprs: 22
; NumVgprs: 32
; ScratchSize: 0
; MemoryBound: 0
; FloatMode: 240
; IeeeMode: 1
; LDSByteSize: 0 bytes/workgroup (compile time only)
; SGPRBlocks: 2
; VGPRBlocks: 3
; NumSGPRsForWavesPerEU: 22
; NumVGPRsForWavesPerEU: 32
; Occupancy: 16
; WaveLimiterHint : 1
; COMPUTE_PGM_RSRC2:SCRATCH_EN: 0
; COMPUTE_PGM_RSRC2:USER_SGPR: 15
; COMPUTE_PGM_RSRC2:TRAP_HANDLER: 0
; COMPUTE_PGM_RSRC2:TGID_X_EN: 1
; COMPUTE_PGM_RSRC2:TGID_Y_EN: 0
; COMPUTE_PGM_RSRC2:TGID_Z_EN: 0
; COMPUTE_PGM_RSRC2:TIDIG_COMP_CNT: 0
	.section	.text._ZN9rocsparseL19gebsrmvn_3xn_kernelILj128ELj4ELj8EfEEvi20rocsparse_direction_NS_24const_host_device_scalarIT2_EEPKiS6_PKS3_S8_S4_PS3_21rocsparse_index_base_b,"axG",@progbits,_ZN9rocsparseL19gebsrmvn_3xn_kernelILj128ELj4ELj8EfEEvi20rocsparse_direction_NS_24const_host_device_scalarIT2_EEPKiS6_PKS3_S8_S4_PS3_21rocsparse_index_base_b,comdat
	.globl	_ZN9rocsparseL19gebsrmvn_3xn_kernelILj128ELj4ELj8EfEEvi20rocsparse_direction_NS_24const_host_device_scalarIT2_EEPKiS6_PKS3_S8_S4_PS3_21rocsparse_index_base_b ; -- Begin function _ZN9rocsparseL19gebsrmvn_3xn_kernelILj128ELj4ELj8EfEEvi20rocsparse_direction_NS_24const_host_device_scalarIT2_EEPKiS6_PKS3_S8_S4_PS3_21rocsparse_index_base_b
	.p2align	8
	.type	_ZN9rocsparseL19gebsrmvn_3xn_kernelILj128ELj4ELj8EfEEvi20rocsparse_direction_NS_24const_host_device_scalarIT2_EEPKiS6_PKS3_S8_S4_PS3_21rocsparse_index_base_b,@function
_ZN9rocsparseL19gebsrmvn_3xn_kernelILj128ELj4ELj8EfEEvi20rocsparse_direction_NS_24const_host_device_scalarIT2_EEPKiS6_PKS3_S8_S4_PS3_21rocsparse_index_base_b: ; @_ZN9rocsparseL19gebsrmvn_3xn_kernelILj128ELj4ELj8EfEEvi20rocsparse_direction_NS_24const_host_device_scalarIT2_EEPKiS6_PKS3_S8_S4_PS3_21rocsparse_index_base_b
; %bb.0:
	s_clause 0x2
	s_load_b64 s[18:19], s[0:1], 0x40
	s_load_b64 s[16:17], s[0:1], 0x8
	s_load_b64 s[12:13], s[0:1], 0x30
	s_waitcnt lgkmcnt(0)
	s_bitcmp1_b32 s19, 0
	s_cselect_b32 s2, -1, 0
	s_delay_alu instid0(SALU_CYCLE_1)
	s_and_b32 vcc_lo, exec_lo, s2
	s_xor_b32 s2, s2, -1
	s_cbranch_vccnz .LBB11_2
; %bb.1:
	s_load_b32 s16, s[16:17], 0x0
.LBB11_2:
	s_and_not1_b32 vcc_lo, exec_lo, s2
	s_cbranch_vccnz .LBB11_4
; %bb.3:
	s_load_b32 s12, s[12:13], 0x0
.LBB11_4:
	s_waitcnt lgkmcnt(0)
	v_cmp_eq_f32_e64 s2, s16, 0
	v_cmp_eq_f32_e64 s3, s12, 1.0
	s_delay_alu instid0(VALU_DEP_1) | instskip(NEXT) | instid1(SALU_CYCLE_1)
	s_and_b32 s2, s2, s3
	s_and_b32 vcc_lo, exec_lo, s2
	s_cbranch_vccnz .LBB11_23
; %bb.5:
	s_load_b64 s[2:3], s[0:1], 0x0
	v_lshrrev_b32_e32 v1, 3, v0
	s_delay_alu instid0(VALU_DEP_1) | instskip(SKIP_1) | instid1(VALU_DEP_1)
	v_lshl_or_b32 v1, s15, 4, v1
	s_waitcnt lgkmcnt(0)
	v_cmp_gt_i32_e32 vcc_lo, s2, v1
	s_and_saveexec_b32 s2, vcc_lo
	s_cbranch_execz .LBB11_23
; %bb.6:
	s_load_b256 s[4:11], s[0:1], 0x10
	v_ashrrev_i32_e32 v2, 31, v1
	v_and_b32_e32 v0, 7, v0
	s_cmp_lg_u32 s3, 0
	s_delay_alu instid0(VALU_DEP_2) | instskip(SKIP_1) | instid1(VALU_DEP_1)
	v_lshlrev_b64 v[2:3], 2, v[1:2]
	s_waitcnt lgkmcnt(0)
	v_add_co_u32 v2, vcc_lo, s4, v2
	s_delay_alu instid0(VALU_DEP_2) | instskip(SKIP_4) | instid1(VALU_DEP_2)
	v_add_co_ci_u32_e32 v3, vcc_lo, s5, v3, vcc_lo
	global_load_b64 v[2:3], v[2:3], off
	s_waitcnt vmcnt(0)
	v_subrev_nc_u32_e32 v2, s18, v2
	v_subrev_nc_u32_e32 v12, s18, v3
	v_add_nc_u32_e32 v2, v2, v0
	s_delay_alu instid0(VALU_DEP_1)
	v_cmp_lt_i32_e64 s2, v2, v12
	s_cbranch_scc0 .LBB11_12
; %bb.7:
	v_dual_mov_b32 v9, 0 :: v_dual_mov_b32 v10, 0
	v_mov_b32_e32 v11, 0
	s_mov_b32 s3, 0
	s_and_saveexec_b32 s4, s2
	s_cbranch_execz .LBB11_11
; %bb.8:
	v_mad_u64_u32 v[3:4], null, v2, 12, 11
	v_dual_mov_b32 v6, 0 :: v_dual_mov_b32 v7, v2
	v_dual_mov_b32 v9, 0 :: v_dual_mov_b32 v10, 0
	v_mov_b32_e32 v11, 0
	s_mov_b32 s5, 0
.LBB11_9:                               ; =>This Inner Loop Header: Depth=1
	s_delay_alu instid0(VALU_DEP_3) | instskip(SKIP_1) | instid1(VALU_DEP_2)
	v_ashrrev_i32_e32 v8, 31, v7
	v_mov_b32_e32 v18, v6
	v_lshlrev_b64 v[4:5], 2, v[7:8]
	v_add_nc_u32_e32 v7, 8, v7
	s_delay_alu instid0(VALU_DEP_2) | instskip(NEXT) | instid1(VALU_DEP_3)
	v_add_co_u32 v4, vcc_lo, s6, v4
	v_add_co_ci_u32_e32 v5, vcc_lo, s7, v5, vcc_lo
	global_load_b32 v8, v[4:5], off
	v_dual_mov_b32 v4, v6 :: v_dual_add_nc_u32 v5, -11, v3
	s_delay_alu instid0(VALU_DEP_1) | instskip(SKIP_1) | instid1(VALU_DEP_3)
	v_lshlrev_b64 v[13:14], 2, v[5:6]
	v_add_nc_u32_e32 v5, -7, v3
	v_lshlrev_b64 v[15:16], 2, v[3:4]
	s_delay_alu instid0(VALU_DEP_2) | instskip(NEXT) | instid1(VALU_DEP_4)
	v_lshlrev_b64 v[19:20], 2, v[5:6]
	v_add_co_u32 v13, vcc_lo, s8, v13
	v_add_co_ci_u32_e32 v14, vcc_lo, s9, v14, vcc_lo
	s_delay_alu instid0(VALU_DEP_4)
	v_add_co_u32 v21, vcc_lo, s8, v15
	v_add_co_ci_u32_e32 v22, vcc_lo, s9, v16, vcc_lo
	v_add_co_u32 v19, vcc_lo, s8, v19
	v_add_co_ci_u32_e32 v20, vcc_lo, s9, v20, vcc_lo
	s_clause 0x1
	global_load_b128 v[13:16], v[13:14], off
	global_load_b32 v29, v[19:20], off
	v_add_nc_u32_e32 v5, -6, v3
	s_delay_alu instid0(VALU_DEP_1) | instskip(NEXT) | instid1(VALU_DEP_1)
	v_lshlrev_b64 v[23:24], 2, v[5:6]
	v_add_co_u32 v19, vcc_lo, s8, v23
	s_delay_alu instid0(VALU_DEP_2) | instskip(SKIP_2) | instid1(VALU_DEP_1)
	v_add_co_ci_u32_e32 v20, vcc_lo, s9, v24, vcc_lo
	global_load_b32 v30, v[19:20], off
	v_add_nc_u32_e32 v5, -5, v3
	v_lshlrev_b64 v[25:26], 2, v[5:6]
	v_add_nc_u32_e32 v5, -4, v3
	s_delay_alu instid0(VALU_DEP_1) | instskip(NEXT) | instid1(VALU_DEP_3)
	v_lshlrev_b64 v[23:24], 2, v[5:6]
	v_add_co_u32 v25, vcc_lo, s8, v25
	s_delay_alu instid0(VALU_DEP_4) | instskip(SKIP_1) | instid1(VALU_DEP_4)
	v_add_co_ci_u32_e32 v26, vcc_lo, s9, v26, vcc_lo
	v_add_nc_u32_e32 v5, -3, v3
	v_add_co_u32 v23, vcc_lo, s8, v23
	v_add_co_ci_u32_e32 v24, vcc_lo, s9, v24, vcc_lo
	global_load_b32 v31, v[25:26], off
	s_waitcnt vmcnt(4)
	v_subrev_nc_u32_e32 v4, s18, v8
	global_load_b32 v8, v[23:24], off
	v_lshlrev_b64 v[19:20], 2, v[5:6]
	v_add_nc_u32_e32 v5, -2, v3
	v_lshlrev_b32_e32 v17, 2, v4
	s_delay_alu instid0(VALU_DEP_3) | instskip(NEXT) | instid1(VALU_DEP_2)
	v_add_co_u32 v27, vcc_lo, s8, v19
	v_lshlrev_b64 v[17:18], 2, v[17:18]
	v_add_co_ci_u32_e32 v28, vcc_lo, s9, v20, vcc_lo
	v_lshlrev_b64 v[25:26], 2, v[5:6]
	v_add_nc_u32_e32 v5, -1, v3
	v_add_nc_u32_e32 v3, 0x60, v3
	v_add_co_u32 v17, vcc_lo, s10, v17
	v_add_co_ci_u32_e32 v18, vcc_lo, s11, v18, vcc_lo
	s_delay_alu instid0(VALU_DEP_4)
	v_lshlrev_b64 v[4:5], 2, v[5:6]
	v_add_co_u32 v23, vcc_lo, s8, v25
	global_load_b128 v[17:20], v[17:18], off
	global_load_b32 v27, v[27:28], off
	v_add_co_ci_u32_e32 v24, vcc_lo, s9, v26, vcc_lo
	v_add_co_u32 v4, vcc_lo, s8, v4
	v_add_co_ci_u32_e32 v5, vcc_lo, s9, v5, vcc_lo
	s_clause 0x2
	global_load_b32 v23, v[23:24], off
	global_load_b32 v4, v[4:5], off
	;; [unrolled: 1-line block ×3, first 2 shown]
	v_cmp_ge_i32_e32 vcc_lo, v7, v12
	s_or_b32 s5, vcc_lo, s5
	s_waitcnt vmcnt(4)
	v_fmac_f32_e32 v10, v15, v17
	s_delay_alu instid0(VALU_DEP_1) | instskip(SKIP_1) | instid1(VALU_DEP_1)
	v_dual_fmac_f32 v9, v13, v17 :: v_dual_fmac_f32 v10, v30, v18
	s_waitcnt vmcnt(3)
	v_dual_fmac_f32 v9, v16, v18 :: v_dual_fmac_f32 v10, v27, v19
	v_fmac_f32_e32 v11, v14, v17
	s_waitcnt vmcnt(0)
	s_delay_alu instid0(VALU_DEP_2) | instskip(NEXT) | instid1(VALU_DEP_2)
	v_dual_fmac_f32 v9, v31, v19 :: v_dual_fmac_f32 v10, v5, v20
	v_fmac_f32_e32 v11, v29, v18
	s_delay_alu instid0(VALU_DEP_2) | instskip(NEXT) | instid1(VALU_DEP_2)
	v_fmac_f32_e32 v9, v23, v20
	v_fmac_f32_e32 v11, v8, v19
	s_delay_alu instid0(VALU_DEP_1)
	v_fmac_f32_e32 v11, v4, v20
	s_and_not1_b32 exec_lo, exec_lo, s5
	s_cbranch_execnz .LBB11_9
; %bb.10:
	s_or_b32 exec_lo, exec_lo, s5
.LBB11_11:
	s_delay_alu instid0(SALU_CYCLE_1) | instskip(NEXT) | instid1(SALU_CYCLE_1)
	s_or_b32 exec_lo, exec_lo, s4
	s_and_not1_b32 vcc_lo, exec_lo, s3
	s_cbranch_vccz .LBB11_13
	s_branch .LBB11_18
.LBB11_12:
                                        ; implicit-def: $vgpr9
                                        ; implicit-def: $vgpr10
                                        ; implicit-def: $vgpr11
.LBB11_13:
	v_dual_mov_b32 v9, 0 :: v_dual_mov_b32 v10, 0
	v_mov_b32_e32 v11, 0
	s_delay_alu instid0(VALU_DEP_3)
	s_and_saveexec_b32 s3, s2
	s_cbranch_execz .LBB11_17
; %bb.14:
	v_mad_u64_u32 v[4:5], null, v2, 12, 11
	v_dual_mov_b32 v7, 0 :: v_dual_mov_b32 v10, 0
	v_mov_b32_e32 v9, 0
	v_mov_b32_e32 v11, 0
	s_mov_b32 s2, 0
.LBB11_15:                              ; =>This Inner Loop Header: Depth=1
	v_ashrrev_i32_e32 v3, 31, v2
	v_dual_mov_b32 v18, v7 :: v_dual_add_nc_u32 v13, -7, v4
	v_dual_mov_b32 v14, v7 :: v_dual_add_nc_u32 v15, -3, v4
	s_delay_alu instid0(VALU_DEP_3) | instskip(NEXT) | instid1(VALU_DEP_2)
	v_lshlrev_b64 v[5:6], 2, v[2:3]
	v_lshlrev_b64 v[13:14], 2, v[13:14]
	s_delay_alu instid0(VALU_DEP_2) | instskip(NEXT) | instid1(VALU_DEP_3)
	v_add_co_u32 v5, vcc_lo, s6, v5
	v_add_co_ci_u32_e32 v6, vcc_lo, s7, v6, vcc_lo
	global_load_b32 v3, v[5:6], off
	v_dual_mov_b32 v5, v7 :: v_dual_add_nc_u32 v6, -11, v4
	s_delay_alu instid0(VALU_DEP_1) | instskip(NEXT) | instid1(VALU_DEP_2)
	v_lshlrev_b64 v[19:20], 2, v[6:7]
	v_lshlrev_b64 v[21:22], 2, v[4:5]
	s_delay_alu instid0(VALU_DEP_2) | instskip(NEXT) | instid1(VALU_DEP_3)
	v_add_co_u32 v19, vcc_lo, s8, v19
	v_add_co_ci_u32_e32 v20, vcc_lo, s9, v20, vcc_lo
	v_add_co_u32 v25, vcc_lo, s8, v13
	v_add_co_ci_u32_e32 v26, vcc_lo, s9, v14, vcc_lo
	s_waitcnt vmcnt(0)
	v_subrev_nc_u32_e32 v3, s18, v3
	s_delay_alu instid0(VALU_DEP_1) | instskip(NEXT) | instid1(VALU_DEP_1)
	v_dual_mov_b32 v16, v7 :: v_dual_lshlrev_b32 v17, 2, v3
	v_lshlrev_b64 v[15:16], 2, v[15:16]
	s_delay_alu instid0(VALU_DEP_2) | instskip(NEXT) | instid1(VALU_DEP_2)
	v_lshlrev_b64 v[17:18], 2, v[17:18]
	v_add_co_u32 v27, vcc_lo, s8, v15
	s_delay_alu instid0(VALU_DEP_3)
	v_add_co_ci_u32_e32 v28, vcc_lo, s9, v16, vcc_lo
	global_load_b128 v[13:16], v[19:20], off
	v_add_nc_u32_e32 v6, -6, v4
	s_clause 0x1
	global_load_b32 v8, v[25:26], off
	global_load_b32 v27, v[27:28], off
	v_add_co_u32 v21, vcc_lo, s8, v21
	v_add_co_ci_u32_e32 v22, vcc_lo, s9, v22, vcc_lo
	v_lshlrev_b64 v[23:24], 2, v[6:7]
	v_add_nc_u32_e32 v6, -2, v4
	s_delay_alu instid0(VALU_DEP_1) | instskip(SKIP_1) | instid1(VALU_DEP_4)
	v_lshlrev_b64 v[29:30], 2, v[6:7]
	v_add_nc_u32_e32 v6, -5, v4
	v_add_co_u32 v19, vcc_lo, s8, v23
	v_add_co_ci_u32_e32 v20, vcc_lo, s9, v24, vcc_lo
	s_delay_alu instid0(VALU_DEP_3)
	v_lshlrev_b64 v[23:24], 2, v[6:7]
	global_load_b32 v28, v[19:20], off
	v_add_co_u32 v19, vcc_lo, s8, v29
	v_add_co_ci_u32_e32 v20, vcc_lo, s9, v30, vcc_lo
	v_add_co_u32 v23, vcc_lo, s8, v23
	v_add_co_ci_u32_e32 v24, vcc_lo, s9, v24, vcc_lo
	v_add_co_u32 v17, vcc_lo, s10, v17
	v_add_co_ci_u32_e32 v18, vcc_lo, s11, v18, vcc_lo
	global_load_b32 v3, v[19:20], off
	global_load_b128 v[17:20], v[17:18], off
	global_load_b32 v29, v[23:24], off
	s_waitcnt vmcnt(1)
	v_fmac_f32_e32 v9, v13, v17
	v_dual_fmac_f32 v11, v8, v17 :: v_dual_add_nc_u32 v6, -1, v4
	s_delay_alu instid0(VALU_DEP_2) | instskip(NEXT) | instid1(VALU_DEP_2)
	v_fmac_f32_e32 v9, v14, v18
	v_fmac_f32_e32 v11, v28, v18
	s_delay_alu instid0(VALU_DEP_3)
	v_lshlrev_b64 v[25:26], 2, v[6:7]
	v_add_nc_u32_e32 v6, -4, v4
	v_fmac_f32_e32 v10, v27, v17
	v_fmac_f32_e32 v9, v15, v19
	s_waitcnt vmcnt(0)
	v_dual_fmac_f32 v11, v29, v19 :: v_dual_add_nc_u32 v4, 0x60, v4
	v_lshlrev_b64 v[5:6], 2, v[6:7]
	v_add_co_u32 v23, vcc_lo, s8, v25
	v_add_co_ci_u32_e32 v24, vcc_lo, s9, v26, vcc_lo
	v_dual_fmac_f32 v10, v3, v18 :: v_dual_fmac_f32 v9, v16, v20
	s_delay_alu instid0(VALU_DEP_4)
	v_add_co_u32 v5, vcc_lo, s8, v5
	v_add_co_ci_u32_e32 v6, vcc_lo, s9, v6, vcc_lo
	s_clause 0x2
	global_load_b32 v23, v[23:24], off
	global_load_b32 v5, v[5:6], off
	;; [unrolled: 1-line block ×3, first 2 shown]
	v_add_nc_u32_e32 v2, 8, v2
	s_waitcnt vmcnt(1)
	v_dual_fmac_f32 v10, v23, v19 :: v_dual_fmac_f32 v11, v5, v20
	s_delay_alu instid0(VALU_DEP_2) | instskip(SKIP_1) | instid1(VALU_DEP_2)
	v_cmp_ge_i32_e32 vcc_lo, v2, v12
	s_waitcnt vmcnt(0)
	v_fmac_f32_e32 v10, v6, v20
	s_or_b32 s2, vcc_lo, s2
	s_delay_alu instid0(SALU_CYCLE_1)
	s_and_not1_b32 exec_lo, exec_lo, s2
	s_cbranch_execnz .LBB11_15
; %bb.16:
	s_or_b32 exec_lo, exec_lo, s2
.LBB11_17:
	s_delay_alu instid0(SALU_CYCLE_1)
	s_or_b32 exec_lo, exec_lo, s3
.LBB11_18:
	v_mbcnt_lo_u32_b32 v2, -1, 0
	s_mov_b32 s2, -1
	s_delay_alu instid0(VALU_DEP_1) | instskip(SKIP_1) | instid1(VALU_DEP_2)
	v_xor_b32_e32 v3, 4, v2
	v_xor_b32_e32 v6, 2, v2
	v_cmp_gt_i32_e32 vcc_lo, 32, v3
	v_cndmask_b32_e32 v3, v2, v3, vcc_lo
	s_delay_alu instid0(VALU_DEP_3) | instskip(SKIP_1) | instid1(VALU_DEP_1)
	v_cmp_gt_i32_e32 vcc_lo, 32, v6
	v_cndmask_b32_e32 v6, v2, v6, vcc_lo
	v_lshlrev_b32_e32 v6, 2, v6
	s_delay_alu instid0(VALU_DEP_4)
	v_lshlrev_b32_e32 v3, 2, v3
	ds_bpermute_b32 v4, v3, v9
	s_waitcnt lgkmcnt(0)
	v_add_f32_e32 v4, v9, v4
	ds_bpermute_b32 v5, v3, v11
	ds_bpermute_b32 v3, v3, v10
	v_xor_b32_e32 v9, 1, v2
	s_delay_alu instid0(VALU_DEP_1)
	v_cmp_gt_i32_e32 vcc_lo, 32, v9
	s_waitcnt lgkmcnt(1)
	v_add_f32_e32 v5, v11, v5
	s_waitcnt lgkmcnt(0)
	v_add_f32_e32 v7, v10, v3
	ds_bpermute_b32 v3, v6, v4
	ds_bpermute_b32 v8, v6, v5
	;; [unrolled: 1-line block ×3, first 2 shown]
	v_cndmask_b32_e32 v2, v2, v9, vcc_lo
	v_cmp_eq_u32_e32 vcc_lo, 7, v0
	s_waitcnt lgkmcnt(2)
	s_delay_alu instid0(VALU_DEP_2)
	v_dual_add_f32 v2, v4, v3 :: v_dual_lshlrev_b32 v9, 2, v2
	s_waitcnt lgkmcnt(0)
	v_dual_add_f32 v3, v5, v8 :: v_dual_add_f32 v4, v7, v6
	ds_bpermute_b32 v5, v9, v2
	ds_bpermute_b32 v6, v9, v3
	;; [unrolled: 1-line block ×3, first 2 shown]
	s_and_b32 exec_lo, exec_lo, vcc_lo
	s_cbranch_execz .LBB11_23
; %bb.19:
	s_load_b64 s[0:1], s[0:1], 0x38
	s_waitcnt lgkmcnt(0)
	v_add_f32_e32 v0, v2, v5
	v_add_f32_e32 v2, v3, v6
	;; [unrolled: 1-line block ×3, first 2 shown]
	v_lshl_add_u32 v3, v1, 1, v1
	v_cmp_eq_f32_e64 s3, s12, 0
	s_delay_alu instid0(VALU_DEP_4) | instskip(NEXT) | instid1(VALU_DEP_4)
	v_dual_mul_f32 v1, s16, v2 :: v_dual_mul_f32 v0, s16, v0
	v_mul_f32_e32 v2, s16, v4
	s_delay_alu instid0(VALU_DEP_4) | instskip(NEXT) | instid1(VALU_DEP_4)
	v_ashrrev_i32_e32 v4, 31, v3
	s_and_b32 vcc_lo, exec_lo, s3
	s_cbranch_vccz .LBB11_21
; %bb.20:
	s_delay_alu instid0(VALU_DEP_1) | instskip(SKIP_1) | instid1(VALU_DEP_1)
	v_lshlrev_b64 v[5:6], 2, v[3:4]
	s_mov_b32 s2, 0
	v_add_co_u32 v5, vcc_lo, s0, v5
	s_delay_alu instid0(VALU_DEP_2)
	v_add_co_ci_u32_e32 v6, vcc_lo, s1, v6, vcc_lo
	global_store_b96 v[5:6], v[0:2], off
.LBB11_21:
	s_and_not1_b32 vcc_lo, exec_lo, s2
	s_cbranch_vccnz .LBB11_23
; %bb.22:
	v_lshlrev_b64 v[3:4], 2, v[3:4]
	s_delay_alu instid0(VALU_DEP_1) | instskip(NEXT) | instid1(VALU_DEP_2)
	v_add_co_u32 v6, vcc_lo, s0, v3
	v_add_co_ci_u32_e32 v7, vcc_lo, s1, v4, vcc_lo
	global_load_b96 v[3:5], v[6:7], off
	s_waitcnt vmcnt(0)
	v_dual_fmac_f32 v0, s12, v3 :: v_dual_fmac_f32 v1, s12, v4
	v_fmac_f32_e32 v2, s12, v5
	global_store_b96 v[6:7], v[0:2], off
.LBB11_23:
	s_nop 0
	s_sendmsg sendmsg(MSG_DEALLOC_VGPRS)
	s_endpgm
	.section	.rodata,"a",@progbits
	.p2align	6, 0x0
	.amdhsa_kernel _ZN9rocsparseL19gebsrmvn_3xn_kernelILj128ELj4ELj8EfEEvi20rocsparse_direction_NS_24const_host_device_scalarIT2_EEPKiS6_PKS3_S8_S4_PS3_21rocsparse_index_base_b
		.amdhsa_group_segment_fixed_size 0
		.amdhsa_private_segment_fixed_size 0
		.amdhsa_kernarg_size 72
		.amdhsa_user_sgpr_count 15
		.amdhsa_user_sgpr_dispatch_ptr 0
		.amdhsa_user_sgpr_queue_ptr 0
		.amdhsa_user_sgpr_kernarg_segment_ptr 1
		.amdhsa_user_sgpr_dispatch_id 0
		.amdhsa_user_sgpr_private_segment_size 0
		.amdhsa_wavefront_size32 1
		.amdhsa_uses_dynamic_stack 0
		.amdhsa_enable_private_segment 0
		.amdhsa_system_sgpr_workgroup_id_x 1
		.amdhsa_system_sgpr_workgroup_id_y 0
		.amdhsa_system_sgpr_workgroup_id_z 0
		.amdhsa_system_sgpr_workgroup_info 0
		.amdhsa_system_vgpr_workitem_id 0
		.amdhsa_next_free_vgpr 32
		.amdhsa_next_free_sgpr 20
		.amdhsa_reserve_vcc 1
		.amdhsa_float_round_mode_32 0
		.amdhsa_float_round_mode_16_64 0
		.amdhsa_float_denorm_mode_32 3
		.amdhsa_float_denorm_mode_16_64 3
		.amdhsa_dx10_clamp 1
		.amdhsa_ieee_mode 1
		.amdhsa_fp16_overflow 0
		.amdhsa_workgroup_processor_mode 1
		.amdhsa_memory_ordered 1
		.amdhsa_forward_progress 0
		.amdhsa_shared_vgpr_count 0
		.amdhsa_exception_fp_ieee_invalid_op 0
		.amdhsa_exception_fp_denorm_src 0
		.amdhsa_exception_fp_ieee_div_zero 0
		.amdhsa_exception_fp_ieee_overflow 0
		.amdhsa_exception_fp_ieee_underflow 0
		.amdhsa_exception_fp_ieee_inexact 0
		.amdhsa_exception_int_div_zero 0
	.end_amdhsa_kernel
	.section	.text._ZN9rocsparseL19gebsrmvn_3xn_kernelILj128ELj4ELj8EfEEvi20rocsparse_direction_NS_24const_host_device_scalarIT2_EEPKiS6_PKS3_S8_S4_PS3_21rocsparse_index_base_b,"axG",@progbits,_ZN9rocsparseL19gebsrmvn_3xn_kernelILj128ELj4ELj8EfEEvi20rocsparse_direction_NS_24const_host_device_scalarIT2_EEPKiS6_PKS3_S8_S4_PS3_21rocsparse_index_base_b,comdat
.Lfunc_end11:
	.size	_ZN9rocsparseL19gebsrmvn_3xn_kernelILj128ELj4ELj8EfEEvi20rocsparse_direction_NS_24const_host_device_scalarIT2_EEPKiS6_PKS3_S8_S4_PS3_21rocsparse_index_base_b, .Lfunc_end11-_ZN9rocsparseL19gebsrmvn_3xn_kernelILj128ELj4ELj8EfEEvi20rocsparse_direction_NS_24const_host_device_scalarIT2_EEPKiS6_PKS3_S8_S4_PS3_21rocsparse_index_base_b
                                        ; -- End function
	.section	.AMDGPU.csdata,"",@progbits
; Kernel info:
; codeLenInByte = 1836
; NumSgprs: 22
; NumVgprs: 32
; ScratchSize: 0
; MemoryBound: 0
; FloatMode: 240
; IeeeMode: 1
; LDSByteSize: 0 bytes/workgroup (compile time only)
; SGPRBlocks: 2
; VGPRBlocks: 3
; NumSGPRsForWavesPerEU: 22
; NumVGPRsForWavesPerEU: 32
; Occupancy: 16
; WaveLimiterHint : 1
; COMPUTE_PGM_RSRC2:SCRATCH_EN: 0
; COMPUTE_PGM_RSRC2:USER_SGPR: 15
; COMPUTE_PGM_RSRC2:TRAP_HANDLER: 0
; COMPUTE_PGM_RSRC2:TGID_X_EN: 1
; COMPUTE_PGM_RSRC2:TGID_Y_EN: 0
; COMPUTE_PGM_RSRC2:TGID_Z_EN: 0
; COMPUTE_PGM_RSRC2:TIDIG_COMP_CNT: 0
	.section	.text._ZN9rocsparseL19gebsrmvn_3xn_kernelILj128ELj4ELj16EfEEvi20rocsparse_direction_NS_24const_host_device_scalarIT2_EEPKiS6_PKS3_S8_S4_PS3_21rocsparse_index_base_b,"axG",@progbits,_ZN9rocsparseL19gebsrmvn_3xn_kernelILj128ELj4ELj16EfEEvi20rocsparse_direction_NS_24const_host_device_scalarIT2_EEPKiS6_PKS3_S8_S4_PS3_21rocsparse_index_base_b,comdat
	.globl	_ZN9rocsparseL19gebsrmvn_3xn_kernelILj128ELj4ELj16EfEEvi20rocsparse_direction_NS_24const_host_device_scalarIT2_EEPKiS6_PKS3_S8_S4_PS3_21rocsparse_index_base_b ; -- Begin function _ZN9rocsparseL19gebsrmvn_3xn_kernelILj128ELj4ELj16EfEEvi20rocsparse_direction_NS_24const_host_device_scalarIT2_EEPKiS6_PKS3_S8_S4_PS3_21rocsparse_index_base_b
	.p2align	8
	.type	_ZN9rocsparseL19gebsrmvn_3xn_kernelILj128ELj4ELj16EfEEvi20rocsparse_direction_NS_24const_host_device_scalarIT2_EEPKiS6_PKS3_S8_S4_PS3_21rocsparse_index_base_b,@function
_ZN9rocsparseL19gebsrmvn_3xn_kernelILj128ELj4ELj16EfEEvi20rocsparse_direction_NS_24const_host_device_scalarIT2_EEPKiS6_PKS3_S8_S4_PS3_21rocsparse_index_base_b: ; @_ZN9rocsparseL19gebsrmvn_3xn_kernelILj128ELj4ELj16EfEEvi20rocsparse_direction_NS_24const_host_device_scalarIT2_EEPKiS6_PKS3_S8_S4_PS3_21rocsparse_index_base_b
; %bb.0:
	s_clause 0x2
	s_load_b64 s[18:19], s[0:1], 0x40
	s_load_b64 s[16:17], s[0:1], 0x8
	s_load_b64 s[12:13], s[0:1], 0x30
	s_waitcnt lgkmcnt(0)
	s_bitcmp1_b32 s19, 0
	s_cselect_b32 s2, -1, 0
	s_delay_alu instid0(SALU_CYCLE_1)
	s_and_b32 vcc_lo, exec_lo, s2
	s_xor_b32 s2, s2, -1
	s_cbranch_vccnz .LBB12_2
; %bb.1:
	s_load_b32 s16, s[16:17], 0x0
.LBB12_2:
	s_and_not1_b32 vcc_lo, exec_lo, s2
	s_cbranch_vccnz .LBB12_4
; %bb.3:
	s_load_b32 s12, s[12:13], 0x0
.LBB12_4:
	s_waitcnt lgkmcnt(0)
	v_cmp_eq_f32_e64 s2, s16, 0
	v_cmp_eq_f32_e64 s3, s12, 1.0
	s_delay_alu instid0(VALU_DEP_1) | instskip(NEXT) | instid1(SALU_CYCLE_1)
	s_and_b32 s2, s2, s3
	s_and_b32 vcc_lo, exec_lo, s2
	s_cbranch_vccnz .LBB12_23
; %bb.5:
	s_load_b64 s[2:3], s[0:1], 0x0
	v_lshrrev_b32_e32 v1, 4, v0
	s_delay_alu instid0(VALU_DEP_1) | instskip(SKIP_1) | instid1(VALU_DEP_1)
	v_lshl_or_b32 v1, s15, 3, v1
	s_waitcnt lgkmcnt(0)
	v_cmp_gt_i32_e32 vcc_lo, s2, v1
	s_and_saveexec_b32 s2, vcc_lo
	s_cbranch_execz .LBB12_23
; %bb.6:
	s_load_b256 s[4:11], s[0:1], 0x10
	v_ashrrev_i32_e32 v2, 31, v1
	v_and_b32_e32 v0, 15, v0
	s_cmp_lg_u32 s3, 0
	s_delay_alu instid0(VALU_DEP_2) | instskip(SKIP_1) | instid1(VALU_DEP_1)
	v_lshlrev_b64 v[2:3], 2, v[1:2]
	s_waitcnt lgkmcnt(0)
	v_add_co_u32 v2, vcc_lo, s4, v2
	s_delay_alu instid0(VALU_DEP_2) | instskip(SKIP_4) | instid1(VALU_DEP_2)
	v_add_co_ci_u32_e32 v3, vcc_lo, s5, v3, vcc_lo
	global_load_b64 v[2:3], v[2:3], off
	s_waitcnt vmcnt(0)
	v_subrev_nc_u32_e32 v2, s18, v2
	v_subrev_nc_u32_e32 v12, s18, v3
	v_add_nc_u32_e32 v2, v2, v0
	s_delay_alu instid0(VALU_DEP_1)
	v_cmp_lt_i32_e64 s2, v2, v12
	s_cbranch_scc0 .LBB12_12
; %bb.7:
	v_dual_mov_b32 v9, 0 :: v_dual_mov_b32 v10, 0
	v_mov_b32_e32 v11, 0
	s_mov_b32 s3, 0
	s_and_saveexec_b32 s4, s2
	s_cbranch_execz .LBB12_11
; %bb.8:
	v_mad_u64_u32 v[3:4], null, v2, 12, 11
	v_dual_mov_b32 v6, 0 :: v_dual_mov_b32 v7, v2
	v_dual_mov_b32 v9, 0 :: v_dual_mov_b32 v10, 0
	v_mov_b32_e32 v11, 0
	s_mov_b32 s5, 0
.LBB12_9:                               ; =>This Inner Loop Header: Depth=1
	s_delay_alu instid0(VALU_DEP_3) | instskip(SKIP_1) | instid1(VALU_DEP_2)
	v_ashrrev_i32_e32 v8, 31, v7
	v_mov_b32_e32 v18, v6
	v_lshlrev_b64 v[4:5], 2, v[7:8]
	v_add_nc_u32_e32 v7, 16, v7
	s_delay_alu instid0(VALU_DEP_2) | instskip(NEXT) | instid1(VALU_DEP_3)
	v_add_co_u32 v4, vcc_lo, s6, v4
	v_add_co_ci_u32_e32 v5, vcc_lo, s7, v5, vcc_lo
	global_load_b32 v8, v[4:5], off
	v_dual_mov_b32 v4, v6 :: v_dual_add_nc_u32 v5, -11, v3
	s_delay_alu instid0(VALU_DEP_1) | instskip(SKIP_1) | instid1(VALU_DEP_3)
	v_lshlrev_b64 v[13:14], 2, v[5:6]
	v_add_nc_u32_e32 v5, -7, v3
	v_lshlrev_b64 v[15:16], 2, v[3:4]
	s_delay_alu instid0(VALU_DEP_2) | instskip(NEXT) | instid1(VALU_DEP_4)
	v_lshlrev_b64 v[19:20], 2, v[5:6]
	v_add_co_u32 v13, vcc_lo, s8, v13
	v_add_co_ci_u32_e32 v14, vcc_lo, s9, v14, vcc_lo
	s_delay_alu instid0(VALU_DEP_4)
	v_add_co_u32 v21, vcc_lo, s8, v15
	v_add_co_ci_u32_e32 v22, vcc_lo, s9, v16, vcc_lo
	v_add_co_u32 v19, vcc_lo, s8, v19
	v_add_co_ci_u32_e32 v20, vcc_lo, s9, v20, vcc_lo
	s_clause 0x1
	global_load_b128 v[13:16], v[13:14], off
	global_load_b32 v29, v[19:20], off
	v_add_nc_u32_e32 v5, -6, v3
	s_delay_alu instid0(VALU_DEP_1) | instskip(NEXT) | instid1(VALU_DEP_1)
	v_lshlrev_b64 v[23:24], 2, v[5:6]
	v_add_co_u32 v19, vcc_lo, s8, v23
	s_delay_alu instid0(VALU_DEP_2) | instskip(SKIP_2) | instid1(VALU_DEP_1)
	v_add_co_ci_u32_e32 v20, vcc_lo, s9, v24, vcc_lo
	global_load_b32 v30, v[19:20], off
	v_add_nc_u32_e32 v5, -5, v3
	v_lshlrev_b64 v[25:26], 2, v[5:6]
	v_add_nc_u32_e32 v5, -4, v3
	s_delay_alu instid0(VALU_DEP_1) | instskip(NEXT) | instid1(VALU_DEP_3)
	v_lshlrev_b64 v[23:24], 2, v[5:6]
	v_add_co_u32 v25, vcc_lo, s8, v25
	s_delay_alu instid0(VALU_DEP_4) | instskip(SKIP_1) | instid1(VALU_DEP_4)
	v_add_co_ci_u32_e32 v26, vcc_lo, s9, v26, vcc_lo
	v_add_nc_u32_e32 v5, -3, v3
	v_add_co_u32 v23, vcc_lo, s8, v23
	v_add_co_ci_u32_e32 v24, vcc_lo, s9, v24, vcc_lo
	global_load_b32 v31, v[25:26], off
	s_waitcnt vmcnt(4)
	v_subrev_nc_u32_e32 v4, s18, v8
	global_load_b32 v8, v[23:24], off
	v_lshlrev_b64 v[19:20], 2, v[5:6]
	v_add_nc_u32_e32 v5, -2, v3
	v_lshlrev_b32_e32 v17, 2, v4
	s_delay_alu instid0(VALU_DEP_3) | instskip(NEXT) | instid1(VALU_DEP_2)
	v_add_co_u32 v27, vcc_lo, s8, v19
	v_lshlrev_b64 v[17:18], 2, v[17:18]
	v_add_co_ci_u32_e32 v28, vcc_lo, s9, v20, vcc_lo
	v_lshlrev_b64 v[25:26], 2, v[5:6]
	v_add_nc_u32_e32 v5, -1, v3
	v_add_nc_u32_e32 v3, 0xc0, v3
	v_add_co_u32 v17, vcc_lo, s10, v17
	v_add_co_ci_u32_e32 v18, vcc_lo, s11, v18, vcc_lo
	s_delay_alu instid0(VALU_DEP_4)
	v_lshlrev_b64 v[4:5], 2, v[5:6]
	v_add_co_u32 v23, vcc_lo, s8, v25
	global_load_b128 v[17:20], v[17:18], off
	global_load_b32 v27, v[27:28], off
	v_add_co_ci_u32_e32 v24, vcc_lo, s9, v26, vcc_lo
	v_add_co_u32 v4, vcc_lo, s8, v4
	v_add_co_ci_u32_e32 v5, vcc_lo, s9, v5, vcc_lo
	s_clause 0x2
	global_load_b32 v23, v[23:24], off
	global_load_b32 v4, v[4:5], off
	;; [unrolled: 1-line block ×3, first 2 shown]
	v_cmp_ge_i32_e32 vcc_lo, v7, v12
	s_or_b32 s5, vcc_lo, s5
	s_waitcnt vmcnt(4)
	v_fmac_f32_e32 v10, v15, v17
	s_delay_alu instid0(VALU_DEP_1) | instskip(SKIP_1) | instid1(VALU_DEP_1)
	v_dual_fmac_f32 v9, v13, v17 :: v_dual_fmac_f32 v10, v30, v18
	s_waitcnt vmcnt(3)
	v_dual_fmac_f32 v9, v16, v18 :: v_dual_fmac_f32 v10, v27, v19
	v_fmac_f32_e32 v11, v14, v17
	s_waitcnt vmcnt(0)
	s_delay_alu instid0(VALU_DEP_2) | instskip(NEXT) | instid1(VALU_DEP_2)
	v_dual_fmac_f32 v9, v31, v19 :: v_dual_fmac_f32 v10, v5, v20
	v_fmac_f32_e32 v11, v29, v18
	s_delay_alu instid0(VALU_DEP_2) | instskip(NEXT) | instid1(VALU_DEP_2)
	v_fmac_f32_e32 v9, v23, v20
	v_fmac_f32_e32 v11, v8, v19
	s_delay_alu instid0(VALU_DEP_1)
	v_fmac_f32_e32 v11, v4, v20
	s_and_not1_b32 exec_lo, exec_lo, s5
	s_cbranch_execnz .LBB12_9
; %bb.10:
	s_or_b32 exec_lo, exec_lo, s5
.LBB12_11:
	s_delay_alu instid0(SALU_CYCLE_1) | instskip(NEXT) | instid1(SALU_CYCLE_1)
	s_or_b32 exec_lo, exec_lo, s4
	s_and_not1_b32 vcc_lo, exec_lo, s3
	s_cbranch_vccz .LBB12_13
	s_branch .LBB12_18
.LBB12_12:
                                        ; implicit-def: $vgpr9
                                        ; implicit-def: $vgpr10
                                        ; implicit-def: $vgpr11
.LBB12_13:
	v_dual_mov_b32 v9, 0 :: v_dual_mov_b32 v10, 0
	v_mov_b32_e32 v11, 0
	s_delay_alu instid0(VALU_DEP_3)
	s_and_saveexec_b32 s3, s2
	s_cbranch_execz .LBB12_17
; %bb.14:
	v_mad_u64_u32 v[4:5], null, v2, 12, 11
	v_dual_mov_b32 v7, 0 :: v_dual_mov_b32 v10, 0
	v_mov_b32_e32 v9, 0
	v_mov_b32_e32 v11, 0
	s_mov_b32 s2, 0
.LBB12_15:                              ; =>This Inner Loop Header: Depth=1
	v_ashrrev_i32_e32 v3, 31, v2
	v_dual_mov_b32 v18, v7 :: v_dual_add_nc_u32 v13, -7, v4
	v_dual_mov_b32 v14, v7 :: v_dual_add_nc_u32 v15, -3, v4
	s_delay_alu instid0(VALU_DEP_3) | instskip(NEXT) | instid1(VALU_DEP_2)
	v_lshlrev_b64 v[5:6], 2, v[2:3]
	v_lshlrev_b64 v[13:14], 2, v[13:14]
	s_delay_alu instid0(VALU_DEP_2) | instskip(NEXT) | instid1(VALU_DEP_3)
	v_add_co_u32 v5, vcc_lo, s6, v5
	v_add_co_ci_u32_e32 v6, vcc_lo, s7, v6, vcc_lo
	global_load_b32 v3, v[5:6], off
	v_dual_mov_b32 v5, v7 :: v_dual_add_nc_u32 v6, -11, v4
	s_delay_alu instid0(VALU_DEP_1) | instskip(NEXT) | instid1(VALU_DEP_2)
	v_lshlrev_b64 v[19:20], 2, v[6:7]
	v_lshlrev_b64 v[21:22], 2, v[4:5]
	s_delay_alu instid0(VALU_DEP_2) | instskip(NEXT) | instid1(VALU_DEP_3)
	v_add_co_u32 v19, vcc_lo, s8, v19
	v_add_co_ci_u32_e32 v20, vcc_lo, s9, v20, vcc_lo
	v_add_co_u32 v25, vcc_lo, s8, v13
	v_add_co_ci_u32_e32 v26, vcc_lo, s9, v14, vcc_lo
	s_waitcnt vmcnt(0)
	v_subrev_nc_u32_e32 v3, s18, v3
	s_delay_alu instid0(VALU_DEP_1) | instskip(NEXT) | instid1(VALU_DEP_1)
	v_dual_mov_b32 v16, v7 :: v_dual_lshlrev_b32 v17, 2, v3
	v_lshlrev_b64 v[15:16], 2, v[15:16]
	s_delay_alu instid0(VALU_DEP_2) | instskip(NEXT) | instid1(VALU_DEP_2)
	v_lshlrev_b64 v[17:18], 2, v[17:18]
	v_add_co_u32 v27, vcc_lo, s8, v15
	s_delay_alu instid0(VALU_DEP_3)
	v_add_co_ci_u32_e32 v28, vcc_lo, s9, v16, vcc_lo
	global_load_b128 v[13:16], v[19:20], off
	v_add_nc_u32_e32 v6, -6, v4
	s_clause 0x1
	global_load_b32 v8, v[25:26], off
	global_load_b32 v27, v[27:28], off
	v_add_co_u32 v21, vcc_lo, s8, v21
	v_add_co_ci_u32_e32 v22, vcc_lo, s9, v22, vcc_lo
	v_lshlrev_b64 v[23:24], 2, v[6:7]
	v_add_nc_u32_e32 v6, -2, v4
	s_delay_alu instid0(VALU_DEP_1) | instskip(SKIP_1) | instid1(VALU_DEP_4)
	v_lshlrev_b64 v[29:30], 2, v[6:7]
	v_add_nc_u32_e32 v6, -5, v4
	v_add_co_u32 v19, vcc_lo, s8, v23
	v_add_co_ci_u32_e32 v20, vcc_lo, s9, v24, vcc_lo
	s_delay_alu instid0(VALU_DEP_3)
	v_lshlrev_b64 v[23:24], 2, v[6:7]
	global_load_b32 v28, v[19:20], off
	v_add_co_u32 v19, vcc_lo, s8, v29
	v_add_co_ci_u32_e32 v20, vcc_lo, s9, v30, vcc_lo
	v_add_co_u32 v23, vcc_lo, s8, v23
	v_add_co_ci_u32_e32 v24, vcc_lo, s9, v24, vcc_lo
	;; [unrolled: 2-line block ×3, first 2 shown]
	global_load_b32 v3, v[19:20], off
	global_load_b128 v[17:20], v[17:18], off
	global_load_b32 v29, v[23:24], off
	s_waitcnt vmcnt(1)
	v_fmac_f32_e32 v9, v13, v17
	v_dual_fmac_f32 v11, v8, v17 :: v_dual_add_nc_u32 v6, -1, v4
	s_delay_alu instid0(VALU_DEP_2) | instskip(NEXT) | instid1(VALU_DEP_2)
	v_fmac_f32_e32 v9, v14, v18
	v_fmac_f32_e32 v11, v28, v18
	s_delay_alu instid0(VALU_DEP_3)
	v_lshlrev_b64 v[25:26], 2, v[6:7]
	v_add_nc_u32_e32 v6, -4, v4
	v_fmac_f32_e32 v10, v27, v17
	v_fmac_f32_e32 v9, v15, v19
	s_waitcnt vmcnt(0)
	v_dual_fmac_f32 v11, v29, v19 :: v_dual_add_nc_u32 v4, 0xc0, v4
	v_lshlrev_b64 v[5:6], 2, v[6:7]
	v_add_co_u32 v23, vcc_lo, s8, v25
	v_add_co_ci_u32_e32 v24, vcc_lo, s9, v26, vcc_lo
	v_dual_fmac_f32 v10, v3, v18 :: v_dual_fmac_f32 v9, v16, v20
	s_delay_alu instid0(VALU_DEP_4)
	v_add_co_u32 v5, vcc_lo, s8, v5
	v_add_co_ci_u32_e32 v6, vcc_lo, s9, v6, vcc_lo
	s_clause 0x2
	global_load_b32 v23, v[23:24], off
	global_load_b32 v5, v[5:6], off
	;; [unrolled: 1-line block ×3, first 2 shown]
	v_add_nc_u32_e32 v2, 16, v2
	s_waitcnt vmcnt(1)
	v_dual_fmac_f32 v10, v23, v19 :: v_dual_fmac_f32 v11, v5, v20
	s_delay_alu instid0(VALU_DEP_2) | instskip(SKIP_1) | instid1(VALU_DEP_2)
	v_cmp_ge_i32_e32 vcc_lo, v2, v12
	s_waitcnt vmcnt(0)
	v_fmac_f32_e32 v10, v6, v20
	s_or_b32 s2, vcc_lo, s2
	s_delay_alu instid0(SALU_CYCLE_1)
	s_and_not1_b32 exec_lo, exec_lo, s2
	s_cbranch_execnz .LBB12_15
; %bb.16:
	s_or_b32 exec_lo, exec_lo, s2
.LBB12_17:
	s_delay_alu instid0(SALU_CYCLE_1)
	s_or_b32 exec_lo, exec_lo, s3
.LBB12_18:
	v_mbcnt_lo_u32_b32 v2, -1, 0
	s_mov_b32 s2, -1
	s_delay_alu instid0(VALU_DEP_1) | instskip(SKIP_1) | instid1(VALU_DEP_2)
	v_xor_b32_e32 v3, 8, v2
	v_xor_b32_e32 v6, 4, v2
	v_cmp_gt_i32_e32 vcc_lo, 32, v3
	v_cndmask_b32_e32 v3, v2, v3, vcc_lo
	s_delay_alu instid0(VALU_DEP_3) | instskip(SKIP_1) | instid1(VALU_DEP_1)
	v_cmp_gt_i32_e32 vcc_lo, 32, v6
	v_cndmask_b32_e32 v6, v2, v6, vcc_lo
	v_lshlrev_b32_e32 v6, 2, v6
	s_delay_alu instid0(VALU_DEP_4)
	v_lshlrev_b32_e32 v3, 2, v3
	ds_bpermute_b32 v4, v3, v9
	s_waitcnt lgkmcnt(0)
	v_add_f32_e32 v4, v9, v4
	ds_bpermute_b32 v5, v3, v11
	ds_bpermute_b32 v3, v3, v10
	v_xor_b32_e32 v9, 2, v2
	ds_bpermute_b32 v7, v6, v4
	v_cmp_gt_i32_e32 vcc_lo, 32, v9
	v_cndmask_b32_e32 v9, v2, v9, vcc_lo
	s_waitcnt lgkmcnt(2)
	v_add_f32_e32 v5, v11, v5
	s_waitcnt lgkmcnt(1)
	v_add_f32_e32 v3, v10, v3
	;; [unrolled: 2-line block ×3, first 2 shown]
	ds_bpermute_b32 v8, v6, v5
	ds_bpermute_b32 v6, v6, v3
	v_lshlrev_b32_e32 v9, 2, v9
	s_waitcnt lgkmcnt(0)
	v_dual_add_f32 v5, v5, v8 :: v_dual_add_f32 v6, v3, v6
	ds_bpermute_b32 v3, v9, v4
	ds_bpermute_b32 v7, v9, v5
	;; [unrolled: 1-line block ×3, first 2 shown]
	v_xor_b32_e32 v9, 1, v2
	s_delay_alu instid0(VALU_DEP_1) | instskip(SKIP_3) | instid1(VALU_DEP_2)
	v_cmp_gt_i32_e32 vcc_lo, 32, v9
	v_cndmask_b32_e32 v2, v2, v9, vcc_lo
	v_cmp_eq_u32_e32 vcc_lo, 15, v0
	s_waitcnt lgkmcnt(2)
	v_dual_add_f32 v2, v4, v3 :: v_dual_lshlrev_b32 v9, 2, v2
	s_waitcnt lgkmcnt(0)
	v_dual_add_f32 v3, v5, v7 :: v_dual_add_f32 v4, v6, v8
	ds_bpermute_b32 v5, v9, v2
	ds_bpermute_b32 v6, v9, v3
	;; [unrolled: 1-line block ×3, first 2 shown]
	s_and_b32 exec_lo, exec_lo, vcc_lo
	s_cbranch_execz .LBB12_23
; %bb.19:
	s_load_b64 s[0:1], s[0:1], 0x38
	s_waitcnt lgkmcnt(0)
	v_add_f32_e32 v0, v2, v5
	v_add_f32_e32 v2, v3, v6
	v_add_f32_e32 v4, v4, v7
	v_lshl_add_u32 v3, v1, 1, v1
	v_cmp_eq_f32_e64 s3, s12, 0
	s_delay_alu instid0(VALU_DEP_4) | instskip(NEXT) | instid1(VALU_DEP_4)
	v_dual_mul_f32 v1, s16, v2 :: v_dual_mul_f32 v0, s16, v0
	v_mul_f32_e32 v2, s16, v4
	s_delay_alu instid0(VALU_DEP_4) | instskip(NEXT) | instid1(VALU_DEP_4)
	v_ashrrev_i32_e32 v4, 31, v3
	s_and_b32 vcc_lo, exec_lo, s3
	s_cbranch_vccz .LBB12_21
; %bb.20:
	s_delay_alu instid0(VALU_DEP_1) | instskip(SKIP_1) | instid1(VALU_DEP_1)
	v_lshlrev_b64 v[5:6], 2, v[3:4]
	s_mov_b32 s2, 0
	v_add_co_u32 v5, vcc_lo, s0, v5
	s_delay_alu instid0(VALU_DEP_2)
	v_add_co_ci_u32_e32 v6, vcc_lo, s1, v6, vcc_lo
	global_store_b96 v[5:6], v[0:2], off
.LBB12_21:
	s_and_not1_b32 vcc_lo, exec_lo, s2
	s_cbranch_vccnz .LBB12_23
; %bb.22:
	v_lshlrev_b64 v[3:4], 2, v[3:4]
	s_delay_alu instid0(VALU_DEP_1) | instskip(NEXT) | instid1(VALU_DEP_2)
	v_add_co_u32 v6, vcc_lo, s0, v3
	v_add_co_ci_u32_e32 v7, vcc_lo, s1, v4, vcc_lo
	global_load_b96 v[3:5], v[6:7], off
	s_waitcnt vmcnt(0)
	v_dual_fmac_f32 v0, s12, v3 :: v_dual_fmac_f32 v1, s12, v4
	v_fmac_f32_e32 v2, s12, v5
	global_store_b96 v[6:7], v[0:2], off
.LBB12_23:
	s_nop 0
	s_sendmsg sendmsg(MSG_DEALLOC_VGPRS)
	s_endpgm
	.section	.rodata,"a",@progbits
	.p2align	6, 0x0
	.amdhsa_kernel _ZN9rocsparseL19gebsrmvn_3xn_kernelILj128ELj4ELj16EfEEvi20rocsparse_direction_NS_24const_host_device_scalarIT2_EEPKiS6_PKS3_S8_S4_PS3_21rocsparse_index_base_b
		.amdhsa_group_segment_fixed_size 0
		.amdhsa_private_segment_fixed_size 0
		.amdhsa_kernarg_size 72
		.amdhsa_user_sgpr_count 15
		.amdhsa_user_sgpr_dispatch_ptr 0
		.amdhsa_user_sgpr_queue_ptr 0
		.amdhsa_user_sgpr_kernarg_segment_ptr 1
		.amdhsa_user_sgpr_dispatch_id 0
		.amdhsa_user_sgpr_private_segment_size 0
		.amdhsa_wavefront_size32 1
		.amdhsa_uses_dynamic_stack 0
		.amdhsa_enable_private_segment 0
		.amdhsa_system_sgpr_workgroup_id_x 1
		.amdhsa_system_sgpr_workgroup_id_y 0
		.amdhsa_system_sgpr_workgroup_id_z 0
		.amdhsa_system_sgpr_workgroup_info 0
		.amdhsa_system_vgpr_workitem_id 0
		.amdhsa_next_free_vgpr 32
		.amdhsa_next_free_sgpr 20
		.amdhsa_reserve_vcc 1
		.amdhsa_float_round_mode_32 0
		.amdhsa_float_round_mode_16_64 0
		.amdhsa_float_denorm_mode_32 3
		.amdhsa_float_denorm_mode_16_64 3
		.amdhsa_dx10_clamp 1
		.amdhsa_ieee_mode 1
		.amdhsa_fp16_overflow 0
		.amdhsa_workgroup_processor_mode 1
		.amdhsa_memory_ordered 1
		.amdhsa_forward_progress 0
		.amdhsa_shared_vgpr_count 0
		.amdhsa_exception_fp_ieee_invalid_op 0
		.amdhsa_exception_fp_denorm_src 0
		.amdhsa_exception_fp_ieee_div_zero 0
		.amdhsa_exception_fp_ieee_overflow 0
		.amdhsa_exception_fp_ieee_underflow 0
		.amdhsa_exception_fp_ieee_inexact 0
		.amdhsa_exception_int_div_zero 0
	.end_amdhsa_kernel
	.section	.text._ZN9rocsparseL19gebsrmvn_3xn_kernelILj128ELj4ELj16EfEEvi20rocsparse_direction_NS_24const_host_device_scalarIT2_EEPKiS6_PKS3_S8_S4_PS3_21rocsparse_index_base_b,"axG",@progbits,_ZN9rocsparseL19gebsrmvn_3xn_kernelILj128ELj4ELj16EfEEvi20rocsparse_direction_NS_24const_host_device_scalarIT2_EEPKiS6_PKS3_S8_S4_PS3_21rocsparse_index_base_b,comdat
.Lfunc_end12:
	.size	_ZN9rocsparseL19gebsrmvn_3xn_kernelILj128ELj4ELj16EfEEvi20rocsparse_direction_NS_24const_host_device_scalarIT2_EEPKiS6_PKS3_S8_S4_PS3_21rocsparse_index_base_b, .Lfunc_end12-_ZN9rocsparseL19gebsrmvn_3xn_kernelILj128ELj4ELj16EfEEvi20rocsparse_direction_NS_24const_host_device_scalarIT2_EEPKiS6_PKS3_S8_S4_PS3_21rocsparse_index_base_b
                                        ; -- End function
	.section	.AMDGPU.csdata,"",@progbits
; Kernel info:
; codeLenInByte = 1892
; NumSgprs: 22
; NumVgprs: 32
; ScratchSize: 0
; MemoryBound: 0
; FloatMode: 240
; IeeeMode: 1
; LDSByteSize: 0 bytes/workgroup (compile time only)
; SGPRBlocks: 2
; VGPRBlocks: 3
; NumSGPRsForWavesPerEU: 22
; NumVGPRsForWavesPerEU: 32
; Occupancy: 16
; WaveLimiterHint : 1
; COMPUTE_PGM_RSRC2:SCRATCH_EN: 0
; COMPUTE_PGM_RSRC2:USER_SGPR: 15
; COMPUTE_PGM_RSRC2:TRAP_HANDLER: 0
; COMPUTE_PGM_RSRC2:TGID_X_EN: 1
; COMPUTE_PGM_RSRC2:TGID_Y_EN: 0
; COMPUTE_PGM_RSRC2:TGID_Z_EN: 0
; COMPUTE_PGM_RSRC2:TIDIG_COMP_CNT: 0
	.section	.text._ZN9rocsparseL19gebsrmvn_3xn_kernelILj128ELj4ELj32EfEEvi20rocsparse_direction_NS_24const_host_device_scalarIT2_EEPKiS6_PKS3_S8_S4_PS3_21rocsparse_index_base_b,"axG",@progbits,_ZN9rocsparseL19gebsrmvn_3xn_kernelILj128ELj4ELj32EfEEvi20rocsparse_direction_NS_24const_host_device_scalarIT2_EEPKiS6_PKS3_S8_S4_PS3_21rocsparse_index_base_b,comdat
	.globl	_ZN9rocsparseL19gebsrmvn_3xn_kernelILj128ELj4ELj32EfEEvi20rocsparse_direction_NS_24const_host_device_scalarIT2_EEPKiS6_PKS3_S8_S4_PS3_21rocsparse_index_base_b ; -- Begin function _ZN9rocsparseL19gebsrmvn_3xn_kernelILj128ELj4ELj32EfEEvi20rocsparse_direction_NS_24const_host_device_scalarIT2_EEPKiS6_PKS3_S8_S4_PS3_21rocsparse_index_base_b
	.p2align	8
	.type	_ZN9rocsparseL19gebsrmvn_3xn_kernelILj128ELj4ELj32EfEEvi20rocsparse_direction_NS_24const_host_device_scalarIT2_EEPKiS6_PKS3_S8_S4_PS3_21rocsparse_index_base_b,@function
_ZN9rocsparseL19gebsrmvn_3xn_kernelILj128ELj4ELj32EfEEvi20rocsparse_direction_NS_24const_host_device_scalarIT2_EEPKiS6_PKS3_S8_S4_PS3_21rocsparse_index_base_b: ; @_ZN9rocsparseL19gebsrmvn_3xn_kernelILj128ELj4ELj32EfEEvi20rocsparse_direction_NS_24const_host_device_scalarIT2_EEPKiS6_PKS3_S8_S4_PS3_21rocsparse_index_base_b
; %bb.0:
	s_clause 0x2
	s_load_b64 s[18:19], s[0:1], 0x40
	s_load_b64 s[16:17], s[0:1], 0x8
	;; [unrolled: 1-line block ×3, first 2 shown]
	s_waitcnt lgkmcnt(0)
	s_bitcmp1_b32 s19, 0
	s_cselect_b32 s2, -1, 0
	s_delay_alu instid0(SALU_CYCLE_1)
	s_and_b32 vcc_lo, exec_lo, s2
	s_xor_b32 s2, s2, -1
	s_cbranch_vccnz .LBB13_2
; %bb.1:
	s_load_b32 s16, s[16:17], 0x0
.LBB13_2:
	s_and_not1_b32 vcc_lo, exec_lo, s2
	s_cbranch_vccnz .LBB13_4
; %bb.3:
	s_load_b32 s12, s[12:13], 0x0
.LBB13_4:
	s_waitcnt lgkmcnt(0)
	v_cmp_eq_f32_e64 s2, s16, 0
	v_cmp_eq_f32_e64 s3, s12, 1.0
	s_delay_alu instid0(VALU_DEP_1) | instskip(NEXT) | instid1(SALU_CYCLE_1)
	s_and_b32 s2, s2, s3
	s_and_b32 vcc_lo, exec_lo, s2
	s_cbranch_vccnz .LBB13_23
; %bb.5:
	s_load_b64 s[2:3], s[0:1], 0x0
	v_lshrrev_b32_e32 v1, 5, v0
	s_delay_alu instid0(VALU_DEP_1) | instskip(SKIP_1) | instid1(VALU_DEP_1)
	v_lshl_or_b32 v1, s15, 2, v1
	s_waitcnt lgkmcnt(0)
	v_cmp_gt_i32_e32 vcc_lo, s2, v1
	s_and_saveexec_b32 s2, vcc_lo
	s_cbranch_execz .LBB13_23
; %bb.6:
	s_load_b256 s[4:11], s[0:1], 0x10
	v_ashrrev_i32_e32 v2, 31, v1
	v_and_b32_e32 v0, 31, v0
	s_cmp_lg_u32 s3, 0
	s_delay_alu instid0(VALU_DEP_2) | instskip(SKIP_1) | instid1(VALU_DEP_1)
	v_lshlrev_b64 v[2:3], 2, v[1:2]
	s_waitcnt lgkmcnt(0)
	v_add_co_u32 v2, vcc_lo, s4, v2
	s_delay_alu instid0(VALU_DEP_2) | instskip(SKIP_4) | instid1(VALU_DEP_2)
	v_add_co_ci_u32_e32 v3, vcc_lo, s5, v3, vcc_lo
	global_load_b64 v[2:3], v[2:3], off
	s_waitcnt vmcnt(0)
	v_subrev_nc_u32_e32 v2, s18, v2
	v_subrev_nc_u32_e32 v12, s18, v3
	v_add_nc_u32_e32 v2, v2, v0
	s_delay_alu instid0(VALU_DEP_1)
	v_cmp_lt_i32_e64 s2, v2, v12
	s_cbranch_scc0 .LBB13_12
; %bb.7:
	v_dual_mov_b32 v9, 0 :: v_dual_mov_b32 v10, 0
	v_mov_b32_e32 v11, 0
	s_mov_b32 s3, 0
	s_and_saveexec_b32 s4, s2
	s_cbranch_execz .LBB13_11
; %bb.8:
	v_mad_u64_u32 v[3:4], null, v2, 12, 11
	v_dual_mov_b32 v6, 0 :: v_dual_mov_b32 v7, v2
	v_dual_mov_b32 v9, 0 :: v_dual_mov_b32 v10, 0
	v_mov_b32_e32 v11, 0
	s_mov_b32 s5, 0
.LBB13_9:                               ; =>This Inner Loop Header: Depth=1
	s_delay_alu instid0(VALU_DEP_3) | instskip(SKIP_1) | instid1(VALU_DEP_2)
	v_ashrrev_i32_e32 v8, 31, v7
	v_mov_b32_e32 v18, v6
	v_lshlrev_b64 v[4:5], 2, v[7:8]
	v_add_nc_u32_e32 v7, 32, v7
	s_delay_alu instid0(VALU_DEP_2) | instskip(NEXT) | instid1(VALU_DEP_3)
	v_add_co_u32 v4, vcc_lo, s6, v4
	v_add_co_ci_u32_e32 v5, vcc_lo, s7, v5, vcc_lo
	global_load_b32 v8, v[4:5], off
	v_dual_mov_b32 v4, v6 :: v_dual_add_nc_u32 v5, -11, v3
	s_delay_alu instid0(VALU_DEP_1) | instskip(SKIP_1) | instid1(VALU_DEP_3)
	v_lshlrev_b64 v[13:14], 2, v[5:6]
	v_add_nc_u32_e32 v5, -7, v3
	v_lshlrev_b64 v[15:16], 2, v[3:4]
	s_delay_alu instid0(VALU_DEP_2) | instskip(NEXT) | instid1(VALU_DEP_4)
	v_lshlrev_b64 v[19:20], 2, v[5:6]
	v_add_co_u32 v13, vcc_lo, s8, v13
	v_add_co_ci_u32_e32 v14, vcc_lo, s9, v14, vcc_lo
	s_delay_alu instid0(VALU_DEP_4)
	v_add_co_u32 v21, vcc_lo, s8, v15
	v_add_co_ci_u32_e32 v22, vcc_lo, s9, v16, vcc_lo
	v_add_co_u32 v19, vcc_lo, s8, v19
	v_add_co_ci_u32_e32 v20, vcc_lo, s9, v20, vcc_lo
	s_clause 0x1
	global_load_b128 v[13:16], v[13:14], off
	global_load_b32 v29, v[19:20], off
	v_add_nc_u32_e32 v5, -6, v3
	s_delay_alu instid0(VALU_DEP_1) | instskip(NEXT) | instid1(VALU_DEP_1)
	v_lshlrev_b64 v[23:24], 2, v[5:6]
	v_add_co_u32 v19, vcc_lo, s8, v23
	s_delay_alu instid0(VALU_DEP_2) | instskip(SKIP_2) | instid1(VALU_DEP_1)
	v_add_co_ci_u32_e32 v20, vcc_lo, s9, v24, vcc_lo
	global_load_b32 v30, v[19:20], off
	v_add_nc_u32_e32 v5, -5, v3
	v_lshlrev_b64 v[25:26], 2, v[5:6]
	v_add_nc_u32_e32 v5, -4, v3
	s_delay_alu instid0(VALU_DEP_1) | instskip(NEXT) | instid1(VALU_DEP_3)
	v_lshlrev_b64 v[23:24], 2, v[5:6]
	v_add_co_u32 v25, vcc_lo, s8, v25
	s_delay_alu instid0(VALU_DEP_4) | instskip(SKIP_1) | instid1(VALU_DEP_4)
	v_add_co_ci_u32_e32 v26, vcc_lo, s9, v26, vcc_lo
	v_add_nc_u32_e32 v5, -3, v3
	v_add_co_u32 v23, vcc_lo, s8, v23
	v_add_co_ci_u32_e32 v24, vcc_lo, s9, v24, vcc_lo
	global_load_b32 v31, v[25:26], off
	s_waitcnt vmcnt(4)
	v_subrev_nc_u32_e32 v4, s18, v8
	global_load_b32 v8, v[23:24], off
	v_lshlrev_b64 v[19:20], 2, v[5:6]
	v_add_nc_u32_e32 v5, -2, v3
	v_lshlrev_b32_e32 v17, 2, v4
	s_delay_alu instid0(VALU_DEP_3) | instskip(NEXT) | instid1(VALU_DEP_2)
	v_add_co_u32 v27, vcc_lo, s8, v19
	v_lshlrev_b64 v[17:18], 2, v[17:18]
	v_add_co_ci_u32_e32 v28, vcc_lo, s9, v20, vcc_lo
	v_lshlrev_b64 v[25:26], 2, v[5:6]
	v_add_nc_u32_e32 v5, -1, v3
	v_add_nc_u32_e32 v3, 0x180, v3
	v_add_co_u32 v17, vcc_lo, s10, v17
	v_add_co_ci_u32_e32 v18, vcc_lo, s11, v18, vcc_lo
	s_delay_alu instid0(VALU_DEP_4)
	v_lshlrev_b64 v[4:5], 2, v[5:6]
	v_add_co_u32 v23, vcc_lo, s8, v25
	global_load_b128 v[17:20], v[17:18], off
	global_load_b32 v27, v[27:28], off
	v_add_co_ci_u32_e32 v24, vcc_lo, s9, v26, vcc_lo
	v_add_co_u32 v4, vcc_lo, s8, v4
	v_add_co_ci_u32_e32 v5, vcc_lo, s9, v5, vcc_lo
	s_clause 0x2
	global_load_b32 v23, v[23:24], off
	global_load_b32 v4, v[4:5], off
	;; [unrolled: 1-line block ×3, first 2 shown]
	v_cmp_ge_i32_e32 vcc_lo, v7, v12
	s_or_b32 s5, vcc_lo, s5
	s_waitcnt vmcnt(4)
	v_fmac_f32_e32 v10, v15, v17
	s_delay_alu instid0(VALU_DEP_1) | instskip(SKIP_1) | instid1(VALU_DEP_1)
	v_dual_fmac_f32 v9, v13, v17 :: v_dual_fmac_f32 v10, v30, v18
	s_waitcnt vmcnt(3)
	v_dual_fmac_f32 v9, v16, v18 :: v_dual_fmac_f32 v10, v27, v19
	v_fmac_f32_e32 v11, v14, v17
	s_waitcnt vmcnt(0)
	s_delay_alu instid0(VALU_DEP_2) | instskip(NEXT) | instid1(VALU_DEP_2)
	v_dual_fmac_f32 v9, v31, v19 :: v_dual_fmac_f32 v10, v5, v20
	v_fmac_f32_e32 v11, v29, v18
	s_delay_alu instid0(VALU_DEP_2) | instskip(NEXT) | instid1(VALU_DEP_2)
	v_fmac_f32_e32 v9, v23, v20
	v_fmac_f32_e32 v11, v8, v19
	s_delay_alu instid0(VALU_DEP_1)
	v_fmac_f32_e32 v11, v4, v20
	s_and_not1_b32 exec_lo, exec_lo, s5
	s_cbranch_execnz .LBB13_9
; %bb.10:
	s_or_b32 exec_lo, exec_lo, s5
.LBB13_11:
	s_delay_alu instid0(SALU_CYCLE_1) | instskip(NEXT) | instid1(SALU_CYCLE_1)
	s_or_b32 exec_lo, exec_lo, s4
	s_and_not1_b32 vcc_lo, exec_lo, s3
	s_cbranch_vccz .LBB13_13
	s_branch .LBB13_18
.LBB13_12:
                                        ; implicit-def: $vgpr9
                                        ; implicit-def: $vgpr10
                                        ; implicit-def: $vgpr11
.LBB13_13:
	v_dual_mov_b32 v9, 0 :: v_dual_mov_b32 v10, 0
	v_mov_b32_e32 v11, 0
	s_delay_alu instid0(VALU_DEP_3)
	s_and_saveexec_b32 s3, s2
	s_cbranch_execz .LBB13_17
; %bb.14:
	v_mad_u64_u32 v[4:5], null, v2, 12, 11
	v_dual_mov_b32 v7, 0 :: v_dual_mov_b32 v10, 0
	v_mov_b32_e32 v9, 0
	v_mov_b32_e32 v11, 0
	s_mov_b32 s2, 0
.LBB13_15:                              ; =>This Inner Loop Header: Depth=1
	v_ashrrev_i32_e32 v3, 31, v2
	v_dual_mov_b32 v18, v7 :: v_dual_add_nc_u32 v13, -7, v4
	v_dual_mov_b32 v14, v7 :: v_dual_add_nc_u32 v15, -3, v4
	s_delay_alu instid0(VALU_DEP_3) | instskip(NEXT) | instid1(VALU_DEP_2)
	v_lshlrev_b64 v[5:6], 2, v[2:3]
	v_lshlrev_b64 v[13:14], 2, v[13:14]
	s_delay_alu instid0(VALU_DEP_2) | instskip(NEXT) | instid1(VALU_DEP_3)
	v_add_co_u32 v5, vcc_lo, s6, v5
	v_add_co_ci_u32_e32 v6, vcc_lo, s7, v6, vcc_lo
	global_load_b32 v3, v[5:6], off
	v_dual_mov_b32 v5, v7 :: v_dual_add_nc_u32 v6, -11, v4
	s_delay_alu instid0(VALU_DEP_1) | instskip(NEXT) | instid1(VALU_DEP_2)
	v_lshlrev_b64 v[19:20], 2, v[6:7]
	v_lshlrev_b64 v[21:22], 2, v[4:5]
	s_delay_alu instid0(VALU_DEP_2) | instskip(NEXT) | instid1(VALU_DEP_3)
	v_add_co_u32 v19, vcc_lo, s8, v19
	v_add_co_ci_u32_e32 v20, vcc_lo, s9, v20, vcc_lo
	v_add_co_u32 v25, vcc_lo, s8, v13
	v_add_co_ci_u32_e32 v26, vcc_lo, s9, v14, vcc_lo
	s_waitcnt vmcnt(0)
	v_subrev_nc_u32_e32 v3, s18, v3
	s_delay_alu instid0(VALU_DEP_1) | instskip(NEXT) | instid1(VALU_DEP_1)
	v_dual_mov_b32 v16, v7 :: v_dual_lshlrev_b32 v17, 2, v3
	v_lshlrev_b64 v[15:16], 2, v[15:16]
	s_delay_alu instid0(VALU_DEP_2) | instskip(NEXT) | instid1(VALU_DEP_2)
	v_lshlrev_b64 v[17:18], 2, v[17:18]
	v_add_co_u32 v27, vcc_lo, s8, v15
	s_delay_alu instid0(VALU_DEP_3)
	v_add_co_ci_u32_e32 v28, vcc_lo, s9, v16, vcc_lo
	global_load_b128 v[13:16], v[19:20], off
	v_add_nc_u32_e32 v6, -6, v4
	s_clause 0x1
	global_load_b32 v8, v[25:26], off
	global_load_b32 v27, v[27:28], off
	v_add_co_u32 v21, vcc_lo, s8, v21
	v_add_co_ci_u32_e32 v22, vcc_lo, s9, v22, vcc_lo
	v_lshlrev_b64 v[23:24], 2, v[6:7]
	v_add_nc_u32_e32 v6, -2, v4
	s_delay_alu instid0(VALU_DEP_1) | instskip(SKIP_1) | instid1(VALU_DEP_4)
	v_lshlrev_b64 v[29:30], 2, v[6:7]
	v_add_nc_u32_e32 v6, -5, v4
	v_add_co_u32 v19, vcc_lo, s8, v23
	v_add_co_ci_u32_e32 v20, vcc_lo, s9, v24, vcc_lo
	s_delay_alu instid0(VALU_DEP_3)
	v_lshlrev_b64 v[23:24], 2, v[6:7]
	global_load_b32 v28, v[19:20], off
	v_add_co_u32 v19, vcc_lo, s8, v29
	v_add_co_ci_u32_e32 v20, vcc_lo, s9, v30, vcc_lo
	v_add_co_u32 v23, vcc_lo, s8, v23
	v_add_co_ci_u32_e32 v24, vcc_lo, s9, v24, vcc_lo
	;; [unrolled: 2-line block ×3, first 2 shown]
	global_load_b32 v3, v[19:20], off
	global_load_b128 v[17:20], v[17:18], off
	global_load_b32 v29, v[23:24], off
	s_waitcnt vmcnt(1)
	v_fmac_f32_e32 v9, v13, v17
	v_dual_fmac_f32 v11, v8, v17 :: v_dual_add_nc_u32 v6, -1, v4
	s_delay_alu instid0(VALU_DEP_2) | instskip(NEXT) | instid1(VALU_DEP_2)
	v_fmac_f32_e32 v9, v14, v18
	v_fmac_f32_e32 v11, v28, v18
	s_delay_alu instid0(VALU_DEP_3)
	v_lshlrev_b64 v[25:26], 2, v[6:7]
	v_add_nc_u32_e32 v6, -4, v4
	v_fmac_f32_e32 v10, v27, v17
	v_fmac_f32_e32 v9, v15, v19
	s_waitcnt vmcnt(0)
	v_dual_fmac_f32 v11, v29, v19 :: v_dual_add_nc_u32 v4, 0x180, v4
	v_lshlrev_b64 v[5:6], 2, v[6:7]
	v_add_co_u32 v23, vcc_lo, s8, v25
	v_add_co_ci_u32_e32 v24, vcc_lo, s9, v26, vcc_lo
	v_dual_fmac_f32 v10, v3, v18 :: v_dual_fmac_f32 v9, v16, v20
	s_delay_alu instid0(VALU_DEP_4)
	v_add_co_u32 v5, vcc_lo, s8, v5
	v_add_co_ci_u32_e32 v6, vcc_lo, s9, v6, vcc_lo
	s_clause 0x2
	global_load_b32 v23, v[23:24], off
	global_load_b32 v5, v[5:6], off
	;; [unrolled: 1-line block ×3, first 2 shown]
	v_add_nc_u32_e32 v2, 32, v2
	s_waitcnt vmcnt(1)
	v_dual_fmac_f32 v10, v23, v19 :: v_dual_fmac_f32 v11, v5, v20
	s_delay_alu instid0(VALU_DEP_2) | instskip(SKIP_1) | instid1(VALU_DEP_2)
	v_cmp_ge_i32_e32 vcc_lo, v2, v12
	s_waitcnt vmcnt(0)
	v_fmac_f32_e32 v10, v6, v20
	s_or_b32 s2, vcc_lo, s2
	s_delay_alu instid0(SALU_CYCLE_1)
	s_and_not1_b32 exec_lo, exec_lo, s2
	s_cbranch_execnz .LBB13_15
; %bb.16:
	s_or_b32 exec_lo, exec_lo, s2
.LBB13_17:
	s_delay_alu instid0(SALU_CYCLE_1)
	s_or_b32 exec_lo, exec_lo, s3
.LBB13_18:
	v_mbcnt_lo_u32_b32 v2, -1, 0
	s_mov_b32 s2, -1
	s_delay_alu instid0(VALU_DEP_1) | instskip(SKIP_1) | instid1(VALU_DEP_2)
	v_xor_b32_e32 v3, 16, v2
	v_xor_b32_e32 v6, 8, v2
	v_cmp_gt_i32_e32 vcc_lo, 32, v3
	v_cndmask_b32_e32 v3, v2, v3, vcc_lo
	s_delay_alu instid0(VALU_DEP_3) | instskip(SKIP_1) | instid1(VALU_DEP_1)
	v_cmp_gt_i32_e32 vcc_lo, 32, v6
	v_cndmask_b32_e32 v6, v2, v6, vcc_lo
	v_lshlrev_b32_e32 v6, 2, v6
	s_delay_alu instid0(VALU_DEP_4)
	v_lshlrev_b32_e32 v3, 2, v3
	ds_bpermute_b32 v4, v3, v9
	s_waitcnt lgkmcnt(0)
	v_add_f32_e32 v4, v9, v4
	ds_bpermute_b32 v5, v3, v11
	ds_bpermute_b32 v3, v3, v10
	v_xor_b32_e32 v9, 4, v2
	ds_bpermute_b32 v7, v6, v4
	v_cmp_gt_i32_e32 vcc_lo, 32, v9
	v_cndmask_b32_e32 v9, v2, v9, vcc_lo
	s_waitcnt lgkmcnt(0)
	v_dual_add_f32 v5, v11, v5 :: v_dual_add_f32 v4, v4, v7
	v_add_f32_e32 v3, v10, v3
	ds_bpermute_b32 v8, v6, v5
	ds_bpermute_b32 v6, v6, v3
	s_waitcnt lgkmcnt(1)
	v_add_f32_e32 v5, v5, v8
	s_waitcnt lgkmcnt(0)
	v_add_f32_e32 v3, v3, v6
	v_lshlrev_b32_e32 v9, 2, v9
	ds_bpermute_b32 v6, v9, v4
	ds_bpermute_b32 v8, v9, v3
	s_waitcnt lgkmcnt(1)
	v_add_f32_e32 v4, v4, v6
	s_waitcnt lgkmcnt(0)
	v_add_f32_e32 v6, v3, v8
	ds_bpermute_b32 v7, v9, v5
	v_xor_b32_e32 v9, 2, v2
	s_delay_alu instid0(VALU_DEP_1) | instskip(SKIP_1) | instid1(VALU_DEP_1)
	v_cmp_gt_i32_e32 vcc_lo, 32, v9
	v_cndmask_b32_e32 v9, v2, v9, vcc_lo
	v_lshlrev_b32_e32 v9, 2, v9
	s_waitcnt lgkmcnt(0)
	v_add_f32_e32 v5, v5, v7
	ds_bpermute_b32 v3, v9, v4
	ds_bpermute_b32 v8, v9, v6
	;; [unrolled: 1-line block ×3, first 2 shown]
	v_xor_b32_e32 v9, 1, v2
	s_delay_alu instid0(VALU_DEP_1) | instskip(SKIP_3) | instid1(VALU_DEP_2)
	v_cmp_gt_i32_e32 vcc_lo, 32, v9
	v_cndmask_b32_e32 v2, v2, v9, vcc_lo
	v_cmp_eq_u32_e32 vcc_lo, 31, v0
	s_waitcnt lgkmcnt(2)
	v_dual_add_f32 v2, v4, v3 :: v_dual_lshlrev_b32 v9, 2, v2
	s_waitcnt lgkmcnt(0)
	v_dual_add_f32 v4, v6, v8 :: v_dual_add_f32 v3, v5, v7
	ds_bpermute_b32 v5, v9, v2
	ds_bpermute_b32 v7, v9, v4
	;; [unrolled: 1-line block ×3, first 2 shown]
	s_and_b32 exec_lo, exec_lo, vcc_lo
	s_cbranch_execz .LBB13_23
; %bb.19:
	s_load_b64 s[0:1], s[0:1], 0x38
	s_waitcnt lgkmcnt(0)
	v_add_f32_e32 v0, v2, v5
	v_add_f32_e32 v2, v3, v6
	;; [unrolled: 1-line block ×3, first 2 shown]
	v_lshl_add_u32 v3, v1, 1, v1
	v_cmp_eq_f32_e64 s3, s12, 0
	s_delay_alu instid0(VALU_DEP_4) | instskip(NEXT) | instid1(VALU_DEP_4)
	v_dual_mul_f32 v1, s16, v2 :: v_dual_mul_f32 v0, s16, v0
	v_mul_f32_e32 v2, s16, v4
	s_delay_alu instid0(VALU_DEP_4) | instskip(NEXT) | instid1(VALU_DEP_4)
	v_ashrrev_i32_e32 v4, 31, v3
	s_and_b32 vcc_lo, exec_lo, s3
	s_cbranch_vccz .LBB13_21
; %bb.20:
	s_delay_alu instid0(VALU_DEP_1) | instskip(SKIP_1) | instid1(VALU_DEP_1)
	v_lshlrev_b64 v[5:6], 2, v[3:4]
	s_mov_b32 s2, 0
	v_add_co_u32 v5, vcc_lo, s0, v5
	s_delay_alu instid0(VALU_DEP_2)
	v_add_co_ci_u32_e32 v6, vcc_lo, s1, v6, vcc_lo
	global_store_b96 v[5:6], v[0:2], off
.LBB13_21:
	s_and_not1_b32 vcc_lo, exec_lo, s2
	s_cbranch_vccnz .LBB13_23
; %bb.22:
	v_lshlrev_b64 v[3:4], 2, v[3:4]
	s_delay_alu instid0(VALU_DEP_1) | instskip(NEXT) | instid1(VALU_DEP_2)
	v_add_co_u32 v6, vcc_lo, s0, v3
	v_add_co_ci_u32_e32 v7, vcc_lo, s1, v4, vcc_lo
	global_load_b96 v[3:5], v[6:7], off
	s_waitcnt vmcnt(0)
	v_dual_fmac_f32 v0, s12, v3 :: v_dual_fmac_f32 v1, s12, v4
	v_fmac_f32_e32 v2, s12, v5
	global_store_b96 v[6:7], v[0:2], off
.LBB13_23:
	s_nop 0
	s_sendmsg sendmsg(MSG_DEALLOC_VGPRS)
	s_endpgm
	.section	.rodata,"a",@progbits
	.p2align	6, 0x0
	.amdhsa_kernel _ZN9rocsparseL19gebsrmvn_3xn_kernelILj128ELj4ELj32EfEEvi20rocsparse_direction_NS_24const_host_device_scalarIT2_EEPKiS6_PKS3_S8_S4_PS3_21rocsparse_index_base_b
		.amdhsa_group_segment_fixed_size 0
		.amdhsa_private_segment_fixed_size 0
		.amdhsa_kernarg_size 72
		.amdhsa_user_sgpr_count 15
		.amdhsa_user_sgpr_dispatch_ptr 0
		.amdhsa_user_sgpr_queue_ptr 0
		.amdhsa_user_sgpr_kernarg_segment_ptr 1
		.amdhsa_user_sgpr_dispatch_id 0
		.amdhsa_user_sgpr_private_segment_size 0
		.amdhsa_wavefront_size32 1
		.amdhsa_uses_dynamic_stack 0
		.amdhsa_enable_private_segment 0
		.amdhsa_system_sgpr_workgroup_id_x 1
		.amdhsa_system_sgpr_workgroup_id_y 0
		.amdhsa_system_sgpr_workgroup_id_z 0
		.amdhsa_system_sgpr_workgroup_info 0
		.amdhsa_system_vgpr_workitem_id 0
		.amdhsa_next_free_vgpr 32
		.amdhsa_next_free_sgpr 20
		.amdhsa_reserve_vcc 1
		.amdhsa_float_round_mode_32 0
		.amdhsa_float_round_mode_16_64 0
		.amdhsa_float_denorm_mode_32 3
		.amdhsa_float_denorm_mode_16_64 3
		.amdhsa_dx10_clamp 1
		.amdhsa_ieee_mode 1
		.amdhsa_fp16_overflow 0
		.amdhsa_workgroup_processor_mode 1
		.amdhsa_memory_ordered 1
		.amdhsa_forward_progress 0
		.amdhsa_shared_vgpr_count 0
		.amdhsa_exception_fp_ieee_invalid_op 0
		.amdhsa_exception_fp_denorm_src 0
		.amdhsa_exception_fp_ieee_div_zero 0
		.amdhsa_exception_fp_ieee_overflow 0
		.amdhsa_exception_fp_ieee_underflow 0
		.amdhsa_exception_fp_ieee_inexact 0
		.amdhsa_exception_int_div_zero 0
	.end_amdhsa_kernel
	.section	.text._ZN9rocsparseL19gebsrmvn_3xn_kernelILj128ELj4ELj32EfEEvi20rocsparse_direction_NS_24const_host_device_scalarIT2_EEPKiS6_PKS3_S8_S4_PS3_21rocsparse_index_base_b,"axG",@progbits,_ZN9rocsparseL19gebsrmvn_3xn_kernelILj128ELj4ELj32EfEEvi20rocsparse_direction_NS_24const_host_device_scalarIT2_EEPKiS6_PKS3_S8_S4_PS3_21rocsparse_index_base_b,comdat
.Lfunc_end13:
	.size	_ZN9rocsparseL19gebsrmvn_3xn_kernelILj128ELj4ELj32EfEEvi20rocsparse_direction_NS_24const_host_device_scalarIT2_EEPKiS6_PKS3_S8_S4_PS3_21rocsparse_index_base_b, .Lfunc_end13-_ZN9rocsparseL19gebsrmvn_3xn_kernelILj128ELj4ELj32EfEEvi20rocsparse_direction_NS_24const_host_device_scalarIT2_EEPKiS6_PKS3_S8_S4_PS3_21rocsparse_index_base_b
                                        ; -- End function
	.section	.AMDGPU.csdata,"",@progbits
; Kernel info:
; codeLenInByte = 1956
; NumSgprs: 22
; NumVgprs: 32
; ScratchSize: 0
; MemoryBound: 0
; FloatMode: 240
; IeeeMode: 1
; LDSByteSize: 0 bytes/workgroup (compile time only)
; SGPRBlocks: 2
; VGPRBlocks: 3
; NumSGPRsForWavesPerEU: 22
; NumVGPRsForWavesPerEU: 32
; Occupancy: 16
; WaveLimiterHint : 1
; COMPUTE_PGM_RSRC2:SCRATCH_EN: 0
; COMPUTE_PGM_RSRC2:USER_SGPR: 15
; COMPUTE_PGM_RSRC2:TRAP_HANDLER: 0
; COMPUTE_PGM_RSRC2:TGID_X_EN: 1
; COMPUTE_PGM_RSRC2:TGID_Y_EN: 0
; COMPUTE_PGM_RSRC2:TGID_Z_EN: 0
; COMPUTE_PGM_RSRC2:TIDIG_COMP_CNT: 0
	.section	.text._ZN9rocsparseL19gebsrmvn_3xn_kernelILj128ELj4ELj64EfEEvi20rocsparse_direction_NS_24const_host_device_scalarIT2_EEPKiS6_PKS3_S8_S4_PS3_21rocsparse_index_base_b,"axG",@progbits,_ZN9rocsparseL19gebsrmvn_3xn_kernelILj128ELj4ELj64EfEEvi20rocsparse_direction_NS_24const_host_device_scalarIT2_EEPKiS6_PKS3_S8_S4_PS3_21rocsparse_index_base_b,comdat
	.globl	_ZN9rocsparseL19gebsrmvn_3xn_kernelILj128ELj4ELj64EfEEvi20rocsparse_direction_NS_24const_host_device_scalarIT2_EEPKiS6_PKS3_S8_S4_PS3_21rocsparse_index_base_b ; -- Begin function _ZN9rocsparseL19gebsrmvn_3xn_kernelILj128ELj4ELj64EfEEvi20rocsparse_direction_NS_24const_host_device_scalarIT2_EEPKiS6_PKS3_S8_S4_PS3_21rocsparse_index_base_b
	.p2align	8
	.type	_ZN9rocsparseL19gebsrmvn_3xn_kernelILj128ELj4ELj64EfEEvi20rocsparse_direction_NS_24const_host_device_scalarIT2_EEPKiS6_PKS3_S8_S4_PS3_21rocsparse_index_base_b,@function
_ZN9rocsparseL19gebsrmvn_3xn_kernelILj128ELj4ELj64EfEEvi20rocsparse_direction_NS_24const_host_device_scalarIT2_EEPKiS6_PKS3_S8_S4_PS3_21rocsparse_index_base_b: ; @_ZN9rocsparseL19gebsrmvn_3xn_kernelILj128ELj4ELj64EfEEvi20rocsparse_direction_NS_24const_host_device_scalarIT2_EEPKiS6_PKS3_S8_S4_PS3_21rocsparse_index_base_b
; %bb.0:
	s_clause 0x2
	s_load_b64 s[18:19], s[0:1], 0x40
	s_load_b64 s[16:17], s[0:1], 0x8
	;; [unrolled: 1-line block ×3, first 2 shown]
	s_waitcnt lgkmcnt(0)
	s_bitcmp1_b32 s19, 0
	s_cselect_b32 s2, -1, 0
	s_delay_alu instid0(SALU_CYCLE_1)
	s_and_b32 vcc_lo, exec_lo, s2
	s_xor_b32 s2, s2, -1
	s_cbranch_vccnz .LBB14_2
; %bb.1:
	s_load_b32 s16, s[16:17], 0x0
.LBB14_2:
	s_and_not1_b32 vcc_lo, exec_lo, s2
	s_cbranch_vccnz .LBB14_4
; %bb.3:
	s_load_b32 s12, s[12:13], 0x0
.LBB14_4:
	s_waitcnt lgkmcnt(0)
	v_cmp_eq_f32_e64 s2, s16, 0
	v_cmp_eq_f32_e64 s3, s12, 1.0
	s_delay_alu instid0(VALU_DEP_1) | instskip(NEXT) | instid1(SALU_CYCLE_1)
	s_and_b32 s2, s2, s3
	s_and_b32 vcc_lo, exec_lo, s2
	s_cbranch_vccnz .LBB14_23
; %bb.5:
	s_load_b64 s[2:3], s[0:1], 0x0
	v_lshrrev_b32_e32 v1, 6, v0
	s_delay_alu instid0(VALU_DEP_1) | instskip(SKIP_1) | instid1(VALU_DEP_1)
	v_lshl_or_b32 v1, s15, 1, v1
	s_waitcnt lgkmcnt(0)
	v_cmp_gt_i32_e32 vcc_lo, s2, v1
	s_and_saveexec_b32 s2, vcc_lo
	s_cbranch_execz .LBB14_23
; %bb.6:
	s_load_b256 s[4:11], s[0:1], 0x10
	v_ashrrev_i32_e32 v2, 31, v1
	v_and_b32_e32 v0, 63, v0
	s_cmp_lg_u32 s3, 0
	s_delay_alu instid0(VALU_DEP_2) | instskip(SKIP_1) | instid1(VALU_DEP_1)
	v_lshlrev_b64 v[2:3], 2, v[1:2]
	s_waitcnt lgkmcnt(0)
	v_add_co_u32 v2, vcc_lo, s4, v2
	s_delay_alu instid0(VALU_DEP_2) | instskip(SKIP_4) | instid1(VALU_DEP_2)
	v_add_co_ci_u32_e32 v3, vcc_lo, s5, v3, vcc_lo
	global_load_b64 v[2:3], v[2:3], off
	s_waitcnt vmcnt(0)
	v_subrev_nc_u32_e32 v2, s18, v2
	v_subrev_nc_u32_e32 v12, s18, v3
	v_add_nc_u32_e32 v2, v2, v0
	s_delay_alu instid0(VALU_DEP_1)
	v_cmp_lt_i32_e64 s2, v2, v12
	s_cbranch_scc0 .LBB14_12
; %bb.7:
	v_dual_mov_b32 v9, 0 :: v_dual_mov_b32 v10, 0
	v_mov_b32_e32 v11, 0
	s_mov_b32 s3, 0
	s_and_saveexec_b32 s4, s2
	s_cbranch_execz .LBB14_11
; %bb.8:
	v_mad_u64_u32 v[3:4], null, v2, 12, 11
	v_dual_mov_b32 v6, 0 :: v_dual_mov_b32 v7, v2
	v_dual_mov_b32 v9, 0 :: v_dual_mov_b32 v10, 0
	v_mov_b32_e32 v11, 0
	s_mov_b32 s5, 0
.LBB14_9:                               ; =>This Inner Loop Header: Depth=1
	s_delay_alu instid0(VALU_DEP_3) | instskip(SKIP_1) | instid1(VALU_DEP_2)
	v_ashrrev_i32_e32 v8, 31, v7
	v_mov_b32_e32 v18, v6
	v_lshlrev_b64 v[4:5], 2, v[7:8]
	v_add_nc_u32_e32 v7, 64, v7
	s_delay_alu instid0(VALU_DEP_2) | instskip(NEXT) | instid1(VALU_DEP_3)
	v_add_co_u32 v4, vcc_lo, s6, v4
	v_add_co_ci_u32_e32 v5, vcc_lo, s7, v5, vcc_lo
	global_load_b32 v8, v[4:5], off
	v_dual_mov_b32 v4, v6 :: v_dual_add_nc_u32 v5, -11, v3
	s_delay_alu instid0(VALU_DEP_1) | instskip(SKIP_1) | instid1(VALU_DEP_3)
	v_lshlrev_b64 v[13:14], 2, v[5:6]
	v_add_nc_u32_e32 v5, -7, v3
	v_lshlrev_b64 v[15:16], 2, v[3:4]
	s_delay_alu instid0(VALU_DEP_2) | instskip(NEXT) | instid1(VALU_DEP_4)
	v_lshlrev_b64 v[19:20], 2, v[5:6]
	v_add_co_u32 v13, vcc_lo, s8, v13
	v_add_co_ci_u32_e32 v14, vcc_lo, s9, v14, vcc_lo
	s_delay_alu instid0(VALU_DEP_4)
	v_add_co_u32 v21, vcc_lo, s8, v15
	v_add_co_ci_u32_e32 v22, vcc_lo, s9, v16, vcc_lo
	v_add_co_u32 v19, vcc_lo, s8, v19
	v_add_co_ci_u32_e32 v20, vcc_lo, s9, v20, vcc_lo
	s_clause 0x1
	global_load_b128 v[13:16], v[13:14], off
	global_load_b32 v29, v[19:20], off
	v_add_nc_u32_e32 v5, -6, v3
	s_delay_alu instid0(VALU_DEP_1) | instskip(NEXT) | instid1(VALU_DEP_1)
	v_lshlrev_b64 v[23:24], 2, v[5:6]
	v_add_co_u32 v19, vcc_lo, s8, v23
	s_delay_alu instid0(VALU_DEP_2) | instskip(SKIP_2) | instid1(VALU_DEP_1)
	v_add_co_ci_u32_e32 v20, vcc_lo, s9, v24, vcc_lo
	global_load_b32 v30, v[19:20], off
	v_add_nc_u32_e32 v5, -5, v3
	v_lshlrev_b64 v[25:26], 2, v[5:6]
	v_add_nc_u32_e32 v5, -4, v3
	s_delay_alu instid0(VALU_DEP_1) | instskip(NEXT) | instid1(VALU_DEP_3)
	v_lshlrev_b64 v[23:24], 2, v[5:6]
	v_add_co_u32 v25, vcc_lo, s8, v25
	s_delay_alu instid0(VALU_DEP_4) | instskip(SKIP_1) | instid1(VALU_DEP_4)
	v_add_co_ci_u32_e32 v26, vcc_lo, s9, v26, vcc_lo
	v_add_nc_u32_e32 v5, -3, v3
	v_add_co_u32 v23, vcc_lo, s8, v23
	v_add_co_ci_u32_e32 v24, vcc_lo, s9, v24, vcc_lo
	global_load_b32 v31, v[25:26], off
	s_waitcnt vmcnt(4)
	v_subrev_nc_u32_e32 v4, s18, v8
	global_load_b32 v8, v[23:24], off
	v_lshlrev_b64 v[19:20], 2, v[5:6]
	v_add_nc_u32_e32 v5, -2, v3
	v_lshlrev_b32_e32 v17, 2, v4
	s_delay_alu instid0(VALU_DEP_3) | instskip(NEXT) | instid1(VALU_DEP_2)
	v_add_co_u32 v27, vcc_lo, s8, v19
	v_lshlrev_b64 v[17:18], 2, v[17:18]
	v_add_co_ci_u32_e32 v28, vcc_lo, s9, v20, vcc_lo
	v_lshlrev_b64 v[25:26], 2, v[5:6]
	v_add_nc_u32_e32 v5, -1, v3
	v_add_nc_u32_e32 v3, 0x300, v3
	v_add_co_u32 v17, vcc_lo, s10, v17
	v_add_co_ci_u32_e32 v18, vcc_lo, s11, v18, vcc_lo
	s_delay_alu instid0(VALU_DEP_4)
	v_lshlrev_b64 v[4:5], 2, v[5:6]
	v_add_co_u32 v23, vcc_lo, s8, v25
	global_load_b128 v[17:20], v[17:18], off
	global_load_b32 v27, v[27:28], off
	v_add_co_ci_u32_e32 v24, vcc_lo, s9, v26, vcc_lo
	v_add_co_u32 v4, vcc_lo, s8, v4
	v_add_co_ci_u32_e32 v5, vcc_lo, s9, v5, vcc_lo
	s_clause 0x2
	global_load_b32 v23, v[23:24], off
	global_load_b32 v4, v[4:5], off
	;; [unrolled: 1-line block ×3, first 2 shown]
	v_cmp_ge_i32_e32 vcc_lo, v7, v12
	s_or_b32 s5, vcc_lo, s5
	s_waitcnt vmcnt(4)
	v_fmac_f32_e32 v10, v15, v17
	s_delay_alu instid0(VALU_DEP_1) | instskip(SKIP_1) | instid1(VALU_DEP_1)
	v_dual_fmac_f32 v9, v13, v17 :: v_dual_fmac_f32 v10, v30, v18
	s_waitcnt vmcnt(3)
	v_dual_fmac_f32 v9, v16, v18 :: v_dual_fmac_f32 v10, v27, v19
	v_fmac_f32_e32 v11, v14, v17
	s_waitcnt vmcnt(0)
	s_delay_alu instid0(VALU_DEP_2) | instskip(NEXT) | instid1(VALU_DEP_2)
	v_dual_fmac_f32 v9, v31, v19 :: v_dual_fmac_f32 v10, v5, v20
	v_fmac_f32_e32 v11, v29, v18
	s_delay_alu instid0(VALU_DEP_2) | instskip(NEXT) | instid1(VALU_DEP_2)
	v_fmac_f32_e32 v9, v23, v20
	v_fmac_f32_e32 v11, v8, v19
	s_delay_alu instid0(VALU_DEP_1)
	v_fmac_f32_e32 v11, v4, v20
	s_and_not1_b32 exec_lo, exec_lo, s5
	s_cbranch_execnz .LBB14_9
; %bb.10:
	s_or_b32 exec_lo, exec_lo, s5
.LBB14_11:
	s_delay_alu instid0(SALU_CYCLE_1) | instskip(NEXT) | instid1(SALU_CYCLE_1)
	s_or_b32 exec_lo, exec_lo, s4
	s_and_not1_b32 vcc_lo, exec_lo, s3
	s_cbranch_vccz .LBB14_13
	s_branch .LBB14_18
.LBB14_12:
                                        ; implicit-def: $vgpr9
                                        ; implicit-def: $vgpr10
                                        ; implicit-def: $vgpr11
.LBB14_13:
	v_dual_mov_b32 v9, 0 :: v_dual_mov_b32 v10, 0
	v_mov_b32_e32 v11, 0
	s_delay_alu instid0(VALU_DEP_3)
	s_and_saveexec_b32 s3, s2
	s_cbranch_execz .LBB14_17
; %bb.14:
	v_mad_u64_u32 v[4:5], null, v2, 12, 11
	v_dual_mov_b32 v7, 0 :: v_dual_mov_b32 v10, 0
	v_mov_b32_e32 v9, 0
	v_mov_b32_e32 v11, 0
	s_mov_b32 s2, 0
.LBB14_15:                              ; =>This Inner Loop Header: Depth=1
	v_ashrrev_i32_e32 v3, 31, v2
	v_dual_mov_b32 v18, v7 :: v_dual_add_nc_u32 v13, -7, v4
	v_dual_mov_b32 v14, v7 :: v_dual_add_nc_u32 v15, -3, v4
	s_delay_alu instid0(VALU_DEP_3) | instskip(NEXT) | instid1(VALU_DEP_2)
	v_lshlrev_b64 v[5:6], 2, v[2:3]
	v_lshlrev_b64 v[13:14], 2, v[13:14]
	s_delay_alu instid0(VALU_DEP_2) | instskip(NEXT) | instid1(VALU_DEP_3)
	v_add_co_u32 v5, vcc_lo, s6, v5
	v_add_co_ci_u32_e32 v6, vcc_lo, s7, v6, vcc_lo
	global_load_b32 v3, v[5:6], off
	v_dual_mov_b32 v5, v7 :: v_dual_add_nc_u32 v6, -11, v4
	s_delay_alu instid0(VALU_DEP_1) | instskip(NEXT) | instid1(VALU_DEP_2)
	v_lshlrev_b64 v[19:20], 2, v[6:7]
	v_lshlrev_b64 v[21:22], 2, v[4:5]
	s_delay_alu instid0(VALU_DEP_2) | instskip(NEXT) | instid1(VALU_DEP_3)
	v_add_co_u32 v19, vcc_lo, s8, v19
	v_add_co_ci_u32_e32 v20, vcc_lo, s9, v20, vcc_lo
	v_add_co_u32 v25, vcc_lo, s8, v13
	v_add_co_ci_u32_e32 v26, vcc_lo, s9, v14, vcc_lo
	s_waitcnt vmcnt(0)
	v_subrev_nc_u32_e32 v3, s18, v3
	s_delay_alu instid0(VALU_DEP_1) | instskip(NEXT) | instid1(VALU_DEP_1)
	v_dual_mov_b32 v16, v7 :: v_dual_lshlrev_b32 v17, 2, v3
	v_lshlrev_b64 v[15:16], 2, v[15:16]
	s_delay_alu instid0(VALU_DEP_2) | instskip(NEXT) | instid1(VALU_DEP_2)
	v_lshlrev_b64 v[17:18], 2, v[17:18]
	v_add_co_u32 v27, vcc_lo, s8, v15
	s_delay_alu instid0(VALU_DEP_3)
	v_add_co_ci_u32_e32 v28, vcc_lo, s9, v16, vcc_lo
	global_load_b128 v[13:16], v[19:20], off
	v_add_nc_u32_e32 v6, -6, v4
	s_clause 0x1
	global_load_b32 v8, v[25:26], off
	global_load_b32 v27, v[27:28], off
	v_add_co_u32 v21, vcc_lo, s8, v21
	v_add_co_ci_u32_e32 v22, vcc_lo, s9, v22, vcc_lo
	v_lshlrev_b64 v[23:24], 2, v[6:7]
	v_add_nc_u32_e32 v6, -2, v4
	s_delay_alu instid0(VALU_DEP_1) | instskip(SKIP_1) | instid1(VALU_DEP_4)
	v_lshlrev_b64 v[29:30], 2, v[6:7]
	v_add_nc_u32_e32 v6, -5, v4
	v_add_co_u32 v19, vcc_lo, s8, v23
	v_add_co_ci_u32_e32 v20, vcc_lo, s9, v24, vcc_lo
	s_delay_alu instid0(VALU_DEP_3)
	v_lshlrev_b64 v[23:24], 2, v[6:7]
	global_load_b32 v28, v[19:20], off
	v_add_co_u32 v19, vcc_lo, s8, v29
	v_add_co_ci_u32_e32 v20, vcc_lo, s9, v30, vcc_lo
	v_add_co_u32 v23, vcc_lo, s8, v23
	v_add_co_ci_u32_e32 v24, vcc_lo, s9, v24, vcc_lo
	v_add_co_u32 v17, vcc_lo, s10, v17
	v_add_co_ci_u32_e32 v18, vcc_lo, s11, v18, vcc_lo
	global_load_b32 v3, v[19:20], off
	global_load_b128 v[17:20], v[17:18], off
	global_load_b32 v29, v[23:24], off
	s_waitcnt vmcnt(1)
	v_fmac_f32_e32 v9, v13, v17
	v_dual_fmac_f32 v11, v8, v17 :: v_dual_add_nc_u32 v6, -1, v4
	s_delay_alu instid0(VALU_DEP_2) | instskip(NEXT) | instid1(VALU_DEP_2)
	v_fmac_f32_e32 v9, v14, v18
	v_fmac_f32_e32 v11, v28, v18
	s_delay_alu instid0(VALU_DEP_3)
	v_lshlrev_b64 v[25:26], 2, v[6:7]
	v_add_nc_u32_e32 v6, -4, v4
	v_fmac_f32_e32 v10, v27, v17
	v_fmac_f32_e32 v9, v15, v19
	s_waitcnt vmcnt(0)
	v_dual_fmac_f32 v11, v29, v19 :: v_dual_add_nc_u32 v4, 0x300, v4
	v_lshlrev_b64 v[5:6], 2, v[6:7]
	v_add_co_u32 v23, vcc_lo, s8, v25
	v_add_co_ci_u32_e32 v24, vcc_lo, s9, v26, vcc_lo
	v_dual_fmac_f32 v10, v3, v18 :: v_dual_fmac_f32 v9, v16, v20
	s_delay_alu instid0(VALU_DEP_4)
	v_add_co_u32 v5, vcc_lo, s8, v5
	v_add_co_ci_u32_e32 v6, vcc_lo, s9, v6, vcc_lo
	s_clause 0x2
	global_load_b32 v23, v[23:24], off
	global_load_b32 v5, v[5:6], off
	;; [unrolled: 1-line block ×3, first 2 shown]
	v_add_nc_u32_e32 v2, 64, v2
	s_waitcnt vmcnt(1)
	v_dual_fmac_f32 v10, v23, v19 :: v_dual_fmac_f32 v11, v5, v20
	s_delay_alu instid0(VALU_DEP_2) | instskip(SKIP_1) | instid1(VALU_DEP_2)
	v_cmp_ge_i32_e32 vcc_lo, v2, v12
	s_waitcnt vmcnt(0)
	v_fmac_f32_e32 v10, v6, v20
	s_or_b32 s2, vcc_lo, s2
	s_delay_alu instid0(SALU_CYCLE_1)
	s_and_not1_b32 exec_lo, exec_lo, s2
	s_cbranch_execnz .LBB14_15
; %bb.16:
	s_or_b32 exec_lo, exec_lo, s2
.LBB14_17:
	s_delay_alu instid0(SALU_CYCLE_1)
	s_or_b32 exec_lo, exec_lo, s3
.LBB14_18:
	v_mbcnt_lo_u32_b32 v2, -1, 0
	s_mov_b32 s2, -1
	s_delay_alu instid0(VALU_DEP_1) | instskip(SKIP_1) | instid1(VALU_DEP_2)
	v_or_b32_e32 v3, 32, v2
	v_xor_b32_e32 v6, 16, v2
	v_cmp_gt_i32_e32 vcc_lo, 32, v3
	v_cndmask_b32_e32 v3, v2, v3, vcc_lo
	s_delay_alu instid0(VALU_DEP_3) | instskip(SKIP_1) | instid1(VALU_DEP_1)
	v_cmp_gt_i32_e32 vcc_lo, 32, v6
	v_cndmask_b32_e32 v6, v2, v6, vcc_lo
	v_lshlrev_b32_e32 v6, 2, v6
	s_delay_alu instid0(VALU_DEP_4)
	v_lshlrev_b32_e32 v3, 2, v3
	ds_bpermute_b32 v4, v3, v9
	s_waitcnt lgkmcnt(0)
	v_add_f32_e32 v4, v9, v4
	ds_bpermute_b32 v5, v3, v11
	ds_bpermute_b32 v3, v3, v10
	v_xor_b32_e32 v9, 8, v2
	ds_bpermute_b32 v7, v6, v4
	v_cmp_gt_i32_e32 vcc_lo, 32, v9
	v_cndmask_b32_e32 v9, v2, v9, vcc_lo
	s_waitcnt lgkmcnt(0)
	v_dual_add_f32 v5, v11, v5 :: v_dual_add_f32 v4, v4, v7
	v_add_f32_e32 v3, v10, v3
	ds_bpermute_b32 v8, v6, v5
	v_lshlrev_b32_e32 v9, 2, v9
	ds_bpermute_b32 v6, v6, v3
	s_waitcnt lgkmcnt(1)
	v_add_f32_e32 v5, v5, v8
	s_waitcnt lgkmcnt(0)
	v_add_f32_e32 v3, v3, v6
	ds_bpermute_b32 v6, v9, v4
	ds_bpermute_b32 v7, v9, v5
	ds_bpermute_b32 v8, v9, v3
	v_xor_b32_e32 v9, 4, v2
	s_delay_alu instid0(VALU_DEP_1)
	v_cmp_gt_i32_e32 vcc_lo, 32, v9
	s_waitcnt lgkmcnt(1)
	v_dual_add_f32 v4, v4, v6 :: v_dual_add_f32 v5, v5, v7
	s_waitcnt lgkmcnt(0)
	v_add_f32_e32 v3, v3, v8
	v_cndmask_b32_e32 v9, v2, v9, vcc_lo
	s_delay_alu instid0(VALU_DEP_1) | instskip(SKIP_4) | instid1(VALU_DEP_1)
	v_lshlrev_b32_e32 v9, 2, v9
	ds_bpermute_b32 v6, v9, v4
	ds_bpermute_b32 v7, v9, v5
	;; [unrolled: 1-line block ×3, first 2 shown]
	v_xor_b32_e32 v9, 2, v2
	v_cmp_gt_i32_e32 vcc_lo, 32, v9
	v_cndmask_b32_e32 v9, v2, v9, vcc_lo
	s_waitcnt lgkmcnt(2)
	s_delay_alu instid0(VALU_DEP_1)
	v_dual_add_f32 v4, v4, v6 :: v_dual_lshlrev_b32 v9, 2, v9
	s_waitcnt lgkmcnt(0)
	v_dual_add_f32 v5, v5, v7 :: v_dual_add_f32 v6, v3, v8
	ds_bpermute_b32 v3, v9, v4
	ds_bpermute_b32 v7, v9, v5
	;; [unrolled: 1-line block ×3, first 2 shown]
	v_xor_b32_e32 v9, 1, v2
	s_delay_alu instid0(VALU_DEP_1) | instskip(SKIP_3) | instid1(VALU_DEP_2)
	v_cmp_gt_i32_e32 vcc_lo, 32, v9
	v_cndmask_b32_e32 v2, v2, v9, vcc_lo
	v_cmp_eq_u32_e32 vcc_lo, 63, v0
	s_waitcnt lgkmcnt(2)
	v_dual_add_f32 v2, v4, v3 :: v_dual_lshlrev_b32 v9, 2, v2
	s_waitcnt lgkmcnt(0)
	v_dual_add_f32 v3, v5, v7 :: v_dual_add_f32 v4, v6, v8
	ds_bpermute_b32 v5, v9, v2
	ds_bpermute_b32 v6, v9, v3
	;; [unrolled: 1-line block ×3, first 2 shown]
	s_and_b32 exec_lo, exec_lo, vcc_lo
	s_cbranch_execz .LBB14_23
; %bb.19:
	s_load_b64 s[0:1], s[0:1], 0x38
	s_waitcnt lgkmcnt(0)
	v_add_f32_e32 v0, v2, v5
	v_add_f32_e32 v2, v3, v6
	;; [unrolled: 1-line block ×3, first 2 shown]
	v_lshl_add_u32 v3, v1, 1, v1
	v_cmp_eq_f32_e64 s3, s12, 0
	s_delay_alu instid0(VALU_DEP_4) | instskip(NEXT) | instid1(VALU_DEP_4)
	v_dual_mul_f32 v1, s16, v2 :: v_dual_mul_f32 v0, s16, v0
	v_mul_f32_e32 v2, s16, v4
	s_delay_alu instid0(VALU_DEP_4) | instskip(NEXT) | instid1(VALU_DEP_4)
	v_ashrrev_i32_e32 v4, 31, v3
	s_and_b32 vcc_lo, exec_lo, s3
	s_cbranch_vccz .LBB14_21
; %bb.20:
	s_delay_alu instid0(VALU_DEP_1) | instskip(SKIP_1) | instid1(VALU_DEP_1)
	v_lshlrev_b64 v[5:6], 2, v[3:4]
	s_mov_b32 s2, 0
	v_add_co_u32 v5, vcc_lo, s0, v5
	s_delay_alu instid0(VALU_DEP_2)
	v_add_co_ci_u32_e32 v6, vcc_lo, s1, v6, vcc_lo
	global_store_b96 v[5:6], v[0:2], off
.LBB14_21:
	s_and_not1_b32 vcc_lo, exec_lo, s2
	s_cbranch_vccnz .LBB14_23
; %bb.22:
	v_lshlrev_b64 v[3:4], 2, v[3:4]
	s_delay_alu instid0(VALU_DEP_1) | instskip(NEXT) | instid1(VALU_DEP_2)
	v_add_co_u32 v6, vcc_lo, s0, v3
	v_add_co_ci_u32_e32 v7, vcc_lo, s1, v4, vcc_lo
	global_load_b96 v[3:5], v[6:7], off
	s_waitcnt vmcnt(0)
	v_dual_fmac_f32 v0, s12, v3 :: v_dual_fmac_f32 v1, s12, v4
	v_fmac_f32_e32 v2, s12, v5
	global_store_b96 v[6:7], v[0:2], off
.LBB14_23:
	s_nop 0
	s_sendmsg sendmsg(MSG_DEALLOC_VGPRS)
	s_endpgm
	.section	.rodata,"a",@progbits
	.p2align	6, 0x0
	.amdhsa_kernel _ZN9rocsparseL19gebsrmvn_3xn_kernelILj128ELj4ELj64EfEEvi20rocsparse_direction_NS_24const_host_device_scalarIT2_EEPKiS6_PKS3_S8_S4_PS3_21rocsparse_index_base_b
		.amdhsa_group_segment_fixed_size 0
		.amdhsa_private_segment_fixed_size 0
		.amdhsa_kernarg_size 72
		.amdhsa_user_sgpr_count 15
		.amdhsa_user_sgpr_dispatch_ptr 0
		.amdhsa_user_sgpr_queue_ptr 0
		.amdhsa_user_sgpr_kernarg_segment_ptr 1
		.amdhsa_user_sgpr_dispatch_id 0
		.amdhsa_user_sgpr_private_segment_size 0
		.amdhsa_wavefront_size32 1
		.amdhsa_uses_dynamic_stack 0
		.amdhsa_enable_private_segment 0
		.amdhsa_system_sgpr_workgroup_id_x 1
		.amdhsa_system_sgpr_workgroup_id_y 0
		.amdhsa_system_sgpr_workgroup_id_z 0
		.amdhsa_system_sgpr_workgroup_info 0
		.amdhsa_system_vgpr_workitem_id 0
		.amdhsa_next_free_vgpr 32
		.amdhsa_next_free_sgpr 20
		.amdhsa_reserve_vcc 1
		.amdhsa_float_round_mode_32 0
		.amdhsa_float_round_mode_16_64 0
		.amdhsa_float_denorm_mode_32 3
		.amdhsa_float_denorm_mode_16_64 3
		.amdhsa_dx10_clamp 1
		.amdhsa_ieee_mode 1
		.amdhsa_fp16_overflow 0
		.amdhsa_workgroup_processor_mode 1
		.amdhsa_memory_ordered 1
		.amdhsa_forward_progress 0
		.amdhsa_shared_vgpr_count 0
		.amdhsa_exception_fp_ieee_invalid_op 0
		.amdhsa_exception_fp_denorm_src 0
		.amdhsa_exception_fp_ieee_div_zero 0
		.amdhsa_exception_fp_ieee_overflow 0
		.amdhsa_exception_fp_ieee_underflow 0
		.amdhsa_exception_fp_ieee_inexact 0
		.amdhsa_exception_int_div_zero 0
	.end_amdhsa_kernel
	.section	.text._ZN9rocsparseL19gebsrmvn_3xn_kernelILj128ELj4ELj64EfEEvi20rocsparse_direction_NS_24const_host_device_scalarIT2_EEPKiS6_PKS3_S8_S4_PS3_21rocsparse_index_base_b,"axG",@progbits,_ZN9rocsparseL19gebsrmvn_3xn_kernelILj128ELj4ELj64EfEEvi20rocsparse_direction_NS_24const_host_device_scalarIT2_EEPKiS6_PKS3_S8_S4_PS3_21rocsparse_index_base_b,comdat
.Lfunc_end14:
	.size	_ZN9rocsparseL19gebsrmvn_3xn_kernelILj128ELj4ELj64EfEEvi20rocsparse_direction_NS_24const_host_device_scalarIT2_EEPKiS6_PKS3_S8_S4_PS3_21rocsparse_index_base_b, .Lfunc_end14-_ZN9rocsparseL19gebsrmvn_3xn_kernelILj128ELj4ELj64EfEEvi20rocsparse_direction_NS_24const_host_device_scalarIT2_EEPKiS6_PKS3_S8_S4_PS3_21rocsparse_index_base_b
                                        ; -- End function
	.section	.AMDGPU.csdata,"",@progbits
; Kernel info:
; codeLenInByte = 2020
; NumSgprs: 22
; NumVgprs: 32
; ScratchSize: 0
; MemoryBound: 0
; FloatMode: 240
; IeeeMode: 1
; LDSByteSize: 0 bytes/workgroup (compile time only)
; SGPRBlocks: 2
; VGPRBlocks: 3
; NumSGPRsForWavesPerEU: 22
; NumVGPRsForWavesPerEU: 32
; Occupancy: 16
; WaveLimiterHint : 1
; COMPUTE_PGM_RSRC2:SCRATCH_EN: 0
; COMPUTE_PGM_RSRC2:USER_SGPR: 15
; COMPUTE_PGM_RSRC2:TRAP_HANDLER: 0
; COMPUTE_PGM_RSRC2:TGID_X_EN: 1
; COMPUTE_PGM_RSRC2:TGID_Y_EN: 0
; COMPUTE_PGM_RSRC2:TGID_Z_EN: 0
; COMPUTE_PGM_RSRC2:TIDIG_COMP_CNT: 0
	.section	.text._ZN9rocsparseL19gebsrmvn_3xn_kernelILj128ELj5ELj4EfEEvi20rocsparse_direction_NS_24const_host_device_scalarIT2_EEPKiS6_PKS3_S8_S4_PS3_21rocsparse_index_base_b,"axG",@progbits,_ZN9rocsparseL19gebsrmvn_3xn_kernelILj128ELj5ELj4EfEEvi20rocsparse_direction_NS_24const_host_device_scalarIT2_EEPKiS6_PKS3_S8_S4_PS3_21rocsparse_index_base_b,comdat
	.globl	_ZN9rocsparseL19gebsrmvn_3xn_kernelILj128ELj5ELj4EfEEvi20rocsparse_direction_NS_24const_host_device_scalarIT2_EEPKiS6_PKS3_S8_S4_PS3_21rocsparse_index_base_b ; -- Begin function _ZN9rocsparseL19gebsrmvn_3xn_kernelILj128ELj5ELj4EfEEvi20rocsparse_direction_NS_24const_host_device_scalarIT2_EEPKiS6_PKS3_S8_S4_PS3_21rocsparse_index_base_b
	.p2align	8
	.type	_ZN9rocsparseL19gebsrmvn_3xn_kernelILj128ELj5ELj4EfEEvi20rocsparse_direction_NS_24const_host_device_scalarIT2_EEPKiS6_PKS3_S8_S4_PS3_21rocsparse_index_base_b,@function
_ZN9rocsparseL19gebsrmvn_3xn_kernelILj128ELj5ELj4EfEEvi20rocsparse_direction_NS_24const_host_device_scalarIT2_EEPKiS6_PKS3_S8_S4_PS3_21rocsparse_index_base_b: ; @_ZN9rocsparseL19gebsrmvn_3xn_kernelILj128ELj5ELj4EfEEvi20rocsparse_direction_NS_24const_host_device_scalarIT2_EEPKiS6_PKS3_S8_S4_PS3_21rocsparse_index_base_b
; %bb.0:
	s_clause 0x2
	s_load_b64 s[18:19], s[0:1], 0x40
	s_load_b64 s[16:17], s[0:1], 0x8
	;; [unrolled: 1-line block ×3, first 2 shown]
	s_waitcnt lgkmcnt(0)
	s_bitcmp1_b32 s19, 0
	s_cselect_b32 s2, -1, 0
	s_delay_alu instid0(SALU_CYCLE_1)
	s_and_b32 vcc_lo, exec_lo, s2
	s_xor_b32 s2, s2, -1
	s_cbranch_vccnz .LBB15_2
; %bb.1:
	s_load_b32 s16, s[16:17], 0x0
.LBB15_2:
	s_and_not1_b32 vcc_lo, exec_lo, s2
	s_cbranch_vccnz .LBB15_4
; %bb.3:
	s_load_b32 s12, s[12:13], 0x0
.LBB15_4:
	s_waitcnt lgkmcnt(0)
	v_cmp_eq_f32_e64 s2, s16, 0
	v_cmp_eq_f32_e64 s3, s12, 1.0
	s_delay_alu instid0(VALU_DEP_1) | instskip(NEXT) | instid1(SALU_CYCLE_1)
	s_and_b32 s2, s2, s3
	s_and_b32 vcc_lo, exec_lo, s2
	s_cbranch_vccnz .LBB15_23
; %bb.5:
	s_load_b64 s[2:3], s[0:1], 0x0
	v_lshrrev_b32_e32 v1, 2, v0
	s_delay_alu instid0(VALU_DEP_1) | instskip(SKIP_1) | instid1(VALU_DEP_1)
	v_lshl_or_b32 v1, s15, 5, v1
	s_waitcnt lgkmcnt(0)
	v_cmp_gt_i32_e32 vcc_lo, s2, v1
	s_and_saveexec_b32 s2, vcc_lo
	s_cbranch_execz .LBB15_23
; %bb.6:
	s_load_b256 s[4:11], s[0:1], 0x10
	v_ashrrev_i32_e32 v2, 31, v1
	v_and_b32_e32 v0, 3, v0
	s_cmp_lg_u32 s3, 0
	s_delay_alu instid0(VALU_DEP_2) | instskip(SKIP_1) | instid1(VALU_DEP_1)
	v_lshlrev_b64 v[2:3], 2, v[1:2]
	s_waitcnt lgkmcnt(0)
	v_add_co_u32 v2, vcc_lo, s4, v2
	s_delay_alu instid0(VALU_DEP_2) | instskip(SKIP_4) | instid1(VALU_DEP_2)
	v_add_co_ci_u32_e32 v3, vcc_lo, s5, v3, vcc_lo
	global_load_b64 v[2:3], v[2:3], off
	s_waitcnt vmcnt(0)
	v_subrev_nc_u32_e32 v2, s18, v2
	v_subrev_nc_u32_e32 v12, s18, v3
	v_add_nc_u32_e32 v2, v2, v0
	s_delay_alu instid0(VALU_DEP_1)
	v_cmp_lt_i32_e64 s2, v2, v12
	s_cbranch_scc0 .LBB15_12
; %bb.7:
	v_dual_mov_b32 v9, 0 :: v_dual_mov_b32 v10, 0
	v_mov_b32_e32 v11, 0
	s_mov_b32 s3, 0
	s_and_saveexec_b32 s4, s2
	s_cbranch_execz .LBB15_11
; %bb.8:
	v_mad_u64_u32 v[3:4], null, v2, 15, 14
	v_dual_mov_b32 v6, 0 :: v_dual_mov_b32 v7, v2
	v_dual_mov_b32 v9, 0 :: v_dual_mov_b32 v10, 0
	v_mov_b32_e32 v11, 0
	s_mov_b32 s5, 0
.LBB15_9:                               ; =>This Inner Loop Header: Depth=1
	s_delay_alu instid0(VALU_DEP_3) | instskip(SKIP_1) | instid1(VALU_DEP_2)
	v_ashrrev_i32_e32 v8, 31, v7
	v_mov_b32_e32 v14, v6
	v_lshlrev_b64 v[4:5], 2, v[7:8]
	v_add_nc_u32_e32 v7, 4, v7
	s_delay_alu instid0(VALU_DEP_2) | instskip(NEXT) | instid1(VALU_DEP_3)
	v_add_co_u32 v4, vcc_lo, s6, v4
	v_add_co_ci_u32_e32 v5, vcc_lo, s7, v5, vcc_lo
	global_load_b32 v8, v[4:5], off
	v_dual_mov_b32 v4, v6 :: v_dual_add_nc_u32 v5, -14, v3
	s_delay_alu instid0(VALU_DEP_1) | instskip(SKIP_1) | instid1(VALU_DEP_3)
	v_lshlrev_b64 v[15:16], 2, v[5:6]
	v_add_nc_u32_e32 v5, -13, v3
	v_lshlrev_b64 v[17:18], 2, v[3:4]
	s_delay_alu instid0(VALU_DEP_2)
	v_lshlrev_b64 v[19:20], 2, v[5:6]
	v_add_nc_u32_e32 v5, -12, v3
	v_add_co_u32 v15, vcc_lo, s8, v15
	v_add_co_ci_u32_e32 v16, vcc_lo, s9, v16, vcc_lo
	v_add_co_u32 v17, vcc_lo, s8, v17
	v_add_co_ci_u32_e32 v18, vcc_lo, s9, v18, vcc_lo
	v_lshlrev_b64 v[21:22], 2, v[5:6]
	v_add_nc_u32_e32 v5, -11, v3
	v_add_co_u32 v19, vcc_lo, s8, v19
	v_add_co_ci_u32_e32 v20, vcc_lo, s9, v20, vcc_lo
	s_delay_alu instid0(VALU_DEP_3)
	v_lshlrev_b64 v[4:5], 2, v[5:6]
	s_clause 0x1
	global_load_b32 v23, v[15:16], off
	global_load_b32 v24, v[19:20], off
	v_add_co_u32 v15, vcc_lo, s8, v21
	v_add_co_ci_u32_e32 v16, vcc_lo, s9, v22, vcc_lo
	v_add_co_u32 v4, vcc_lo, s8, v4
	v_add_co_ci_u32_e32 v5, vcc_lo, s9, v5, vcc_lo
	s_clause 0x1
	global_load_b32 v25, v[15:16], off
	global_load_b32 v26, v[4:5], off
	s_waitcnt vmcnt(4)
	v_subrev_nc_u32_e32 v4, s18, v8
	s_delay_alu instid0(VALU_DEP_1) | instskip(NEXT) | instid1(VALU_DEP_1)
	v_lshl_add_u32 v13, v4, 2, v4
	v_add_nc_u32_e32 v5, 1, v13
	v_lshlrev_b64 v[14:15], 2, v[13:14]
	s_delay_alu instid0(VALU_DEP_2) | instskip(SKIP_1) | instid1(VALU_DEP_3)
	v_lshlrev_b64 v[19:20], 2, v[5:6]
	v_add_nc_u32_e32 v5, -10, v3
	v_add_co_u32 v14, vcc_lo, s10, v14
	s_delay_alu instid0(VALU_DEP_4) | instskip(NEXT) | instid1(VALU_DEP_4)
	v_add_co_ci_u32_e32 v15, vcc_lo, s11, v15, vcc_lo
	v_add_co_u32 v19, vcc_lo, s10, v19
	s_delay_alu instid0(VALU_DEP_4)
	v_lshlrev_b64 v[21:22], 2, v[5:6]
	v_add_nc_u32_e32 v5, -9, v3
	v_add_co_ci_u32_e32 v20, vcc_lo, s11, v20, vcc_lo
	s_clause 0x1
	global_load_b32 v8, v[14:15], off
	global_load_b32 v27, v[19:20], off
	v_lshlrev_b64 v[14:15], 2, v[5:6]
	v_add_co_u32 v19, vcc_lo, s8, v21
	v_add_co_ci_u32_e32 v20, vcc_lo, s9, v22, vcc_lo
	v_add_nc_u32_e32 v5, -8, v3
	s_delay_alu instid0(VALU_DEP_4)
	v_add_co_u32 v14, vcc_lo, s8, v14
	v_add_co_ci_u32_e32 v15, vcc_lo, s9, v15, vcc_lo
	global_load_b32 v28, v[19:20], off
	v_lshlrev_b64 v[21:22], 2, v[5:6]
	global_load_b32 v29, v[14:15], off
	v_add_co_u32 v14, vcc_lo, s8, v21
	v_add_co_ci_u32_e32 v15, vcc_lo, s9, v22, vcc_lo
	global_load_b32 v30, v[14:15], off
	s_waitcnt vmcnt(4)
	v_fmac_f32_e32 v10, v25, v8
	v_fmac_f32_e32 v11, v24, v8
	s_waitcnt vmcnt(2)
	s_delay_alu instid0(VALU_DEP_1) | instskip(SKIP_2) | instid1(VALU_DEP_1)
	v_fmac_f32_e32 v11, v28, v27
	s_waitcnt vmcnt(1)
	v_dual_fmac_f32 v10, v29, v27 :: v_dual_add_nc_u32 v5, 2, v13
	v_lshlrev_b64 v[19:20], 2, v[5:6]
	v_add_nc_u32_e32 v5, -7, v3
	s_delay_alu instid0(VALU_DEP_1) | instskip(SKIP_1) | instid1(VALU_DEP_4)
	v_lshlrev_b64 v[21:22], 2, v[5:6]
	v_add_nc_u32_e32 v5, -6, v3
	v_add_co_u32 v19, vcc_lo, s10, v19
	v_add_co_ci_u32_e32 v20, vcc_lo, s11, v20, vcc_lo
	s_delay_alu instid0(VALU_DEP_3)
	v_lshlrev_b64 v[14:15], 2, v[5:6]
	v_add_nc_u32_e32 v5, -5, v3
	global_load_b32 v31, v[19:20], off
	v_add_co_u32 v19, vcc_lo, s8, v21
	v_add_co_ci_u32_e32 v20, vcc_lo, s9, v22, vcc_lo
	v_add_co_u32 v14, vcc_lo, s8, v14
	v_add_co_ci_u32_e32 v15, vcc_lo, s9, v15, vcc_lo
	global_load_b32 v32, v[19:20], off
	v_lshlrev_b64 v[21:22], 2, v[5:6]
	global_load_b32 v33, v[14:15], off
	v_add_co_u32 v14, vcc_lo, s8, v21
	v_add_co_ci_u32_e32 v15, vcc_lo, s9, v22, vcc_lo
	global_load_b32 v34, v[14:15], off
	s_waitcnt vmcnt(2)
	v_fmac_f32_e32 v11, v32, v31
	s_waitcnt vmcnt(1)
	v_dual_fmac_f32 v10, v33, v31 :: v_dual_add_nc_u32 v5, 3, v13
	s_delay_alu instid0(VALU_DEP_1) | instskip(SKIP_1) | instid1(VALU_DEP_1)
	v_lshlrev_b64 v[19:20], 2, v[5:6]
	v_add_nc_u32_e32 v5, -4, v3
	v_lshlrev_b64 v[21:22], 2, v[5:6]
	v_add_nc_u32_e32 v5, -3, v3
	s_delay_alu instid0(VALU_DEP_4) | instskip(SKIP_1) | instid1(VALU_DEP_3)
	v_add_co_u32 v19, vcc_lo, s10, v19
	v_add_co_ci_u32_e32 v20, vcc_lo, s11, v20, vcc_lo
	v_lshlrev_b64 v[14:15], 2, v[5:6]
	v_add_nc_u32_e32 v5, -2, v3
	global_load_b32 v35, v[19:20], off
	v_add_co_u32 v19, vcc_lo, s8, v21
	v_add_co_ci_u32_e32 v20, vcc_lo, s9, v22, vcc_lo
	v_lshlrev_b64 v[21:22], 2, v[5:6]
	v_add_nc_u32_e32 v5, 4, v13
	v_add_co_u32 v13, vcc_lo, s8, v14
	v_add_co_ci_u32_e32 v14, vcc_lo, s9, v15, vcc_lo
	s_delay_alu instid0(VALU_DEP_3)
	v_lshlrev_b64 v[15:16], 2, v[5:6]
	v_add_nc_u32_e32 v5, -1, v3
	s_clause 0x1
	global_load_b32 v19, v[19:20], off
	global_load_b32 v20, v[13:14], off
	v_add_co_u32 v13, vcc_lo, s8, v21
	v_lshlrev_b64 v[4:5], 2, v[5:6]
	v_add_co_ci_u32_e32 v14, vcc_lo, s9, v22, vcc_lo
	v_add_co_u32 v15, vcc_lo, s10, v15
	v_add_co_ci_u32_e32 v16, vcc_lo, s11, v16, vcc_lo
	s_delay_alu instid0(VALU_DEP_4)
	v_add_co_u32 v4, vcc_lo, s8, v4
	v_add_co_ci_u32_e32 v5, vcc_lo, s9, v5, vcc_lo
	global_load_b32 v13, v[13:14], off
	global_load_b32 v14, v[15:16], off
	s_clause 0x1
	global_load_b32 v4, v[4:5], off
	global_load_b32 v5, v[17:18], off
	v_cmp_ge_i32_e32 vcc_lo, v7, v12
	v_add_nc_u32_e32 v3, 60, v3
	s_or_b32 s5, vcc_lo, s5
	s_waitcnt vmcnt(5)
	v_fmac_f32_e32 v11, v19, v35
	s_waitcnt vmcnt(4)
	v_dual_fmac_f32 v10, v20, v35 :: v_dual_fmac_f32 v9, v23, v8
	s_waitcnt vmcnt(1)
	s_delay_alu instid0(VALU_DEP_2) | instskip(SKIP_1) | instid1(VALU_DEP_2)
	v_fmac_f32_e32 v11, v4, v14
	s_waitcnt vmcnt(0)
	v_dual_fmac_f32 v10, v5, v14 :: v_dual_fmac_f32 v9, v26, v27
	s_delay_alu instid0(VALU_DEP_1) | instskip(NEXT) | instid1(VALU_DEP_1)
	v_fmac_f32_e32 v9, v30, v31
	v_fmac_f32_e32 v9, v34, v35
	s_delay_alu instid0(VALU_DEP_1)
	v_fmac_f32_e32 v9, v13, v14
	s_and_not1_b32 exec_lo, exec_lo, s5
	s_cbranch_execnz .LBB15_9
; %bb.10:
	s_or_b32 exec_lo, exec_lo, s5
.LBB15_11:
	s_delay_alu instid0(SALU_CYCLE_1) | instskip(NEXT) | instid1(SALU_CYCLE_1)
	s_or_b32 exec_lo, exec_lo, s4
	s_and_not1_b32 vcc_lo, exec_lo, s3
	s_cbranch_vccz .LBB15_13
	s_branch .LBB15_18
.LBB15_12:
                                        ; implicit-def: $vgpr9
                                        ; implicit-def: $vgpr10
                                        ; implicit-def: $vgpr11
.LBB15_13:
	v_dual_mov_b32 v9, 0 :: v_dual_mov_b32 v10, 0
	v_mov_b32_e32 v11, 0
	s_delay_alu instid0(VALU_DEP_3)
	s_and_saveexec_b32 s3, s2
	s_cbranch_execz .LBB15_17
; %bb.14:
	v_mad_u64_u32 v[4:5], null, v2, 15, 14
	v_dual_mov_b32 v7, 0 :: v_dual_mov_b32 v10, 0
	v_mov_b32_e32 v9, 0
	v_mov_b32_e32 v11, 0
	s_mov_b32 s2, 0
.LBB15_15:                              ; =>This Inner Loop Header: Depth=1
	v_ashrrev_i32_e32 v3, 31, v2
	v_dual_mov_b32 v14, v7 :: v_dual_add_nc_u32 v13, -9, v4
	v_dual_mov_b32 v16, v7 :: v_dual_add_nc_u32 v15, -4, v4
	s_delay_alu instid0(VALU_DEP_3) | instskip(SKIP_1) | instid1(VALU_DEP_4)
	v_lshlrev_b64 v[5:6], 2, v[2:3]
	v_add_nc_u32_e32 v2, 4, v2
	v_lshlrev_b64 v[13:14], 2, v[13:14]
	v_mov_b32_e32 v17, v7
	v_lshlrev_b64 v[15:16], 2, v[15:16]
	v_add_co_u32 v5, vcc_lo, s6, v5
	v_add_co_ci_u32_e32 v6, vcc_lo, s7, v6, vcc_lo
	global_load_b32 v3, v[5:6], off
	v_dual_mov_b32 v5, v7 :: v_dual_add_nc_u32 v6, -14, v4
	s_delay_alu instid0(VALU_DEP_1) | instskip(SKIP_1) | instid1(VALU_DEP_3)
	v_lshlrev_b64 v[18:19], 2, v[6:7]
	v_add_nc_u32_e32 v6, -13, v4
	v_lshlrev_b64 v[20:21], 2, v[4:5]
	s_delay_alu instid0(VALU_DEP_2) | instskip(NEXT) | instid1(VALU_DEP_4)
	v_lshlrev_b64 v[5:6], 2, v[6:7]
	v_add_co_u32 v18, vcc_lo, s8, v18
	v_add_co_ci_u32_e32 v19, vcc_lo, s9, v19, vcc_lo
	v_add_co_u32 v13, vcc_lo, s8, v13
	v_add_co_ci_u32_e32 v14, vcc_lo, s9, v14, vcc_lo
	;; [unrolled: 2-line block ×5, first 2 shown]
	s_clause 0x3
	global_load_b32 v8, v[18:19], off
	global_load_b32 v19, v[13:14], off
	;; [unrolled: 1-line block ×4, first 2 shown]
	s_waitcnt vmcnt(4)
	v_subrev_nc_u32_e32 v3, s18, v3
	s_delay_alu instid0(VALU_DEP_1) | instskip(NEXT) | instid1(VALU_DEP_1)
	v_lshl_add_u32 v16, v3, 2, v3
	v_lshlrev_b64 v[13:14], 2, v[16:17]
	s_delay_alu instid0(VALU_DEP_1) | instskip(NEXT) | instid1(VALU_DEP_2)
	v_add_co_u32 v13, vcc_lo, s10, v13
	v_add_co_ci_u32_e32 v14, vcc_lo, s11, v14, vcc_lo
	global_load_b32 v3, v[13:14], off
	v_add_nc_u32_e32 v6, 1, v16
	s_delay_alu instid0(VALU_DEP_1) | instskip(NEXT) | instid1(VALU_DEP_1)
	v_lshlrev_b64 v[17:18], 2, v[6:7]
	v_add_co_u32 v17, vcc_lo, s10, v17
	s_delay_alu instid0(VALU_DEP_2) | instskip(SKIP_3) | instid1(VALU_DEP_1)
	v_add_co_ci_u32_e32 v18, vcc_lo, s11, v18, vcc_lo
	global_load_b32 v26, v[17:18], off
	s_waitcnt vmcnt(1)
	v_dual_fmac_f32 v11, v19, v3 :: v_dual_add_nc_u32 v6, -8, v4
	v_lshlrev_b64 v[22:23], 2, v[6:7]
	v_dual_fmac_f32 v9, v8, v3 :: v_dual_add_nc_u32 v6, -3, v4
	v_fmac_f32_e32 v10, v24, v3
	s_delay_alu instid0(VALU_DEP_3) | instskip(NEXT) | instid1(VALU_DEP_4)
	v_add_co_u32 v17, vcc_lo, s8, v22
	v_add_co_ci_u32_e32 v18, vcc_lo, s9, v23, vcc_lo
	global_load_b32 v27, v[17:18], off
	s_waitcnt vmcnt(1)
	v_fmac_f32_e32 v9, v25, v26
	v_lshlrev_b64 v[13:14], 2, v[6:7]
	s_delay_alu instid0(VALU_DEP_1) | instskip(NEXT) | instid1(VALU_DEP_2)
	v_add_co_u32 v13, vcc_lo, s8, v13
	v_add_co_ci_u32_e32 v14, vcc_lo, s9, v14, vcc_lo
	global_load_b32 v28, v[13:14], off
	s_waitcnt vmcnt(1)
	v_dual_fmac_f32 v11, v27, v26 :: v_dual_add_nc_u32 v6, -12, v4
	s_delay_alu instid0(VALU_DEP_1) | instskip(NEXT) | instid1(VALU_DEP_1)
	v_lshlrev_b64 v[22:23], 2, v[6:7]
	v_add_co_u32 v13, vcc_lo, s8, v22
	s_delay_alu instid0(VALU_DEP_2) | instskip(SKIP_4) | instid1(VALU_DEP_2)
	v_add_co_ci_u32_e32 v14, vcc_lo, s9, v23, vcc_lo
	global_load_b32 v29, v[13:14], off
	v_add_nc_u32_e32 v6, 2, v16
	s_waitcnt vmcnt(1)
	v_fmac_f32_e32 v10, v28, v26
	v_lshlrev_b64 v[17:18], 2, v[6:7]
	s_delay_alu instid0(VALU_DEP_1) | instskip(NEXT) | instid1(VALU_DEP_2)
	v_add_co_u32 v17, vcc_lo, s10, v17
	v_add_co_ci_u32_e32 v18, vcc_lo, s11, v18, vcc_lo
	global_load_b32 v30, v[17:18], off
	v_add_nc_u32_e32 v6, -7, v4
	s_delay_alu instid0(VALU_DEP_1) | instskip(NEXT) | instid1(VALU_DEP_1)
	v_lshlrev_b64 v[22:23], 2, v[6:7]
	v_add_co_u32 v17, vcc_lo, s8, v22
	s_delay_alu instid0(VALU_DEP_2) | instskip(SKIP_3) | instid1(VALU_DEP_1)
	v_add_co_ci_u32_e32 v18, vcc_lo, s9, v23, vcc_lo
	global_load_b32 v31, v[17:18], off
	s_waitcnt vmcnt(1)
	v_dual_fmac_f32 v9, v29, v30 :: v_dual_add_nc_u32 v6, -2, v4
	v_lshlrev_b64 v[13:14], 2, v[6:7]
	s_delay_alu instid0(VALU_DEP_1) | instskip(NEXT) | instid1(VALU_DEP_2)
	v_add_co_u32 v13, vcc_lo, s8, v13
	v_add_co_ci_u32_e32 v14, vcc_lo, s9, v14, vcc_lo
	global_load_b32 v32, v[13:14], off
	s_waitcnt vmcnt(1)
	v_dual_fmac_f32 v11, v31, v30 :: v_dual_add_nc_u32 v6, -11, v4
	s_delay_alu instid0(VALU_DEP_1) | instskip(SKIP_1) | instid1(VALU_DEP_1)
	v_lshlrev_b64 v[22:23], 2, v[6:7]
	v_add_nc_u32_e32 v6, 3, v16
	v_lshlrev_b64 v[17:18], 2, v[6:7]
	v_add_nc_u32_e32 v6, -6, v4
	s_delay_alu instid0(VALU_DEP_4) | instskip(SKIP_1) | instid1(VALU_DEP_3)
	v_add_co_u32 v13, vcc_lo, s8, v22
	v_add_co_ci_u32_e32 v14, vcc_lo, s9, v23, vcc_lo
	v_lshlrev_b64 v[22:23], 2, v[6:7]
	v_add_nc_u32_e32 v6, -1, v4
	v_add_co_u32 v17, vcc_lo, s10, v17
	v_add_co_ci_u32_e32 v18, vcc_lo, s11, v18, vcc_lo
	global_load_b32 v33, v[13:14], off
	v_lshlrev_b64 v[13:14], 2, v[6:7]
	v_add_nc_u32_e32 v6, -10, v4
	global_load_b32 v34, v[17:18], off
	v_add_co_u32 v17, vcc_lo, s8, v22
	v_add_co_ci_u32_e32 v18, vcc_lo, s9, v23, vcc_lo
	v_lshlrev_b64 v[22:23], 2, v[6:7]
	v_add_nc_u32_e32 v6, 4, v16
	v_add_co_u32 v13, vcc_lo, s8, v13
	v_add_co_ci_u32_e32 v14, vcc_lo, s9, v14, vcc_lo
	s_delay_alu instid0(VALU_DEP_3)
	v_lshlrev_b64 v[15:16], 2, v[6:7]
	v_add_nc_u32_e32 v6, -5, v4
	s_clause 0x1
	global_load_b32 v17, v[17:18], off
	global_load_b32 v18, v[13:14], off
	v_add_co_u32 v13, vcc_lo, s8, v22
	v_lshlrev_b64 v[5:6], 2, v[6:7]
	v_add_co_ci_u32_e32 v14, vcc_lo, s9, v23, vcc_lo
	v_add_co_u32 v15, vcc_lo, s10, v15
	v_add_co_ci_u32_e32 v16, vcc_lo, s11, v16, vcc_lo
	s_delay_alu instid0(VALU_DEP_4)
	v_add_co_u32 v5, vcc_lo, s8, v5
	v_add_co_ci_u32_e32 v6, vcc_lo, s9, v6, vcc_lo
	global_load_b32 v13, v[13:14], off
	global_load_b32 v14, v[15:16], off
	s_clause 0x1
	global_load_b32 v5, v[5:6], off
	global_load_b32 v6, v[20:21], off
	v_cmp_ge_i32_e32 vcc_lo, v2, v12
	v_add_nc_u32_e32 v4, 60, v4
	s_or_b32 s2, vcc_lo, s2
	s_waitcnt vmcnt(8)
	v_fmac_f32_e32 v10, v32, v30
	s_waitcnt vmcnt(6)
	v_fmac_f32_e32 v9, v33, v34
	;; [unrolled: 2-line block ×7, first 2 shown]
	s_and_not1_b32 exec_lo, exec_lo, s2
	s_cbranch_execnz .LBB15_15
; %bb.16:
	s_or_b32 exec_lo, exec_lo, s2
.LBB15_17:
	s_delay_alu instid0(SALU_CYCLE_1)
	s_or_b32 exec_lo, exec_lo, s3
.LBB15_18:
	v_mbcnt_lo_u32_b32 v2, -1, 0
	s_mov_b32 s2, -1
	s_delay_alu instid0(VALU_DEP_1) | instskip(NEXT) | instid1(VALU_DEP_1)
	v_xor_b32_e32 v3, 2, v2
	v_cmp_gt_i32_e32 vcc_lo, 32, v3
	v_cndmask_b32_e32 v3, v2, v3, vcc_lo
	s_delay_alu instid0(VALU_DEP_1) | instskip(SKIP_4) | instid1(VALU_DEP_1)
	v_lshlrev_b32_e32 v3, 2, v3
	ds_bpermute_b32 v4, v3, v9
	ds_bpermute_b32 v5, v3, v11
	;; [unrolled: 1-line block ×3, first 2 shown]
	v_xor_b32_e32 v3, 1, v2
	v_cmp_gt_i32_e32 vcc_lo, 32, v3
	v_cndmask_b32_e32 v2, v2, v3, vcc_lo
	v_cmp_eq_u32_e32 vcc_lo, 3, v0
	s_waitcnt lgkmcnt(1)
	v_add_f32_e32 v3, v11, v5
	s_delay_alu instid0(VALU_DEP_3)
	v_dual_add_f32 v2, v9, v4 :: v_dual_lshlrev_b32 v7, 2, v2
	s_waitcnt lgkmcnt(0)
	v_add_f32_e32 v4, v10, v6
	ds_bpermute_b32 v6, v7, v3
	ds_bpermute_b32 v5, v7, v2
	;; [unrolled: 1-line block ×3, first 2 shown]
	s_and_b32 exec_lo, exec_lo, vcc_lo
	s_cbranch_execz .LBB15_23
; %bb.19:
	s_load_b64 s[0:1], s[0:1], 0x38
	s_waitcnt lgkmcnt(0)
	v_add_f32_e32 v0, v2, v5
	v_add_f32_e32 v2, v3, v6
	;; [unrolled: 1-line block ×3, first 2 shown]
	v_lshl_add_u32 v3, v1, 1, v1
	v_cmp_eq_f32_e64 s3, s12, 0
	s_delay_alu instid0(VALU_DEP_4) | instskip(NEXT) | instid1(VALU_DEP_4)
	v_dual_mul_f32 v1, s16, v2 :: v_dual_mul_f32 v0, s16, v0
	v_mul_f32_e32 v2, s16, v4
	s_delay_alu instid0(VALU_DEP_4) | instskip(NEXT) | instid1(VALU_DEP_4)
	v_ashrrev_i32_e32 v4, 31, v3
	s_and_b32 vcc_lo, exec_lo, s3
	s_cbranch_vccz .LBB15_21
; %bb.20:
	s_delay_alu instid0(VALU_DEP_1) | instskip(SKIP_1) | instid1(VALU_DEP_1)
	v_lshlrev_b64 v[5:6], 2, v[3:4]
	s_mov_b32 s2, 0
	v_add_co_u32 v5, vcc_lo, s0, v5
	s_delay_alu instid0(VALU_DEP_2)
	v_add_co_ci_u32_e32 v6, vcc_lo, s1, v6, vcc_lo
	global_store_b96 v[5:6], v[0:2], off
.LBB15_21:
	s_and_not1_b32 vcc_lo, exec_lo, s2
	s_cbranch_vccnz .LBB15_23
; %bb.22:
	v_lshlrev_b64 v[3:4], 2, v[3:4]
	s_delay_alu instid0(VALU_DEP_1) | instskip(NEXT) | instid1(VALU_DEP_2)
	v_add_co_u32 v6, vcc_lo, s0, v3
	v_add_co_ci_u32_e32 v7, vcc_lo, s1, v4, vcc_lo
	global_load_b96 v[3:5], v[6:7], off
	s_waitcnt vmcnt(0)
	v_dual_fmac_f32 v0, s12, v3 :: v_dual_fmac_f32 v1, s12, v4
	v_fmac_f32_e32 v2, s12, v5
	global_store_b96 v[6:7], v[0:2], off
.LBB15_23:
	s_nop 0
	s_sendmsg sendmsg(MSG_DEALLOC_VGPRS)
	s_endpgm
	.section	.rodata,"a",@progbits
	.p2align	6, 0x0
	.amdhsa_kernel _ZN9rocsparseL19gebsrmvn_3xn_kernelILj128ELj5ELj4EfEEvi20rocsparse_direction_NS_24const_host_device_scalarIT2_EEPKiS6_PKS3_S8_S4_PS3_21rocsparse_index_base_b
		.amdhsa_group_segment_fixed_size 0
		.amdhsa_private_segment_fixed_size 0
		.amdhsa_kernarg_size 72
		.amdhsa_user_sgpr_count 15
		.amdhsa_user_sgpr_dispatch_ptr 0
		.amdhsa_user_sgpr_queue_ptr 0
		.amdhsa_user_sgpr_kernarg_segment_ptr 1
		.amdhsa_user_sgpr_dispatch_id 0
		.amdhsa_user_sgpr_private_segment_size 0
		.amdhsa_wavefront_size32 1
		.amdhsa_uses_dynamic_stack 0
		.amdhsa_enable_private_segment 0
		.amdhsa_system_sgpr_workgroup_id_x 1
		.amdhsa_system_sgpr_workgroup_id_y 0
		.amdhsa_system_sgpr_workgroup_id_z 0
		.amdhsa_system_sgpr_workgroup_info 0
		.amdhsa_system_vgpr_workitem_id 0
		.amdhsa_next_free_vgpr 36
		.amdhsa_next_free_sgpr 20
		.amdhsa_reserve_vcc 1
		.amdhsa_float_round_mode_32 0
		.amdhsa_float_round_mode_16_64 0
		.amdhsa_float_denorm_mode_32 3
		.amdhsa_float_denorm_mode_16_64 3
		.amdhsa_dx10_clamp 1
		.amdhsa_ieee_mode 1
		.amdhsa_fp16_overflow 0
		.amdhsa_workgroup_processor_mode 1
		.amdhsa_memory_ordered 1
		.amdhsa_forward_progress 0
		.amdhsa_shared_vgpr_count 0
		.amdhsa_exception_fp_ieee_invalid_op 0
		.amdhsa_exception_fp_denorm_src 0
		.amdhsa_exception_fp_ieee_div_zero 0
		.amdhsa_exception_fp_ieee_overflow 0
		.amdhsa_exception_fp_ieee_underflow 0
		.amdhsa_exception_fp_ieee_inexact 0
		.amdhsa_exception_int_div_zero 0
	.end_amdhsa_kernel
	.section	.text._ZN9rocsparseL19gebsrmvn_3xn_kernelILj128ELj5ELj4EfEEvi20rocsparse_direction_NS_24const_host_device_scalarIT2_EEPKiS6_PKS3_S8_S4_PS3_21rocsparse_index_base_b,"axG",@progbits,_ZN9rocsparseL19gebsrmvn_3xn_kernelILj128ELj5ELj4EfEEvi20rocsparse_direction_NS_24const_host_device_scalarIT2_EEPKiS6_PKS3_S8_S4_PS3_21rocsparse_index_base_b,comdat
.Lfunc_end15:
	.size	_ZN9rocsparseL19gebsrmvn_3xn_kernelILj128ELj5ELj4EfEEvi20rocsparse_direction_NS_24const_host_device_scalarIT2_EEPKiS6_PKS3_S8_S4_PS3_21rocsparse_index_base_b, .Lfunc_end15-_ZN9rocsparseL19gebsrmvn_3xn_kernelILj128ELj5ELj4EfEEvi20rocsparse_direction_NS_24const_host_device_scalarIT2_EEPKiS6_PKS3_S8_S4_PS3_21rocsparse_index_base_b
                                        ; -- End function
	.section	.AMDGPU.csdata,"",@progbits
; Kernel info:
; codeLenInByte = 2544
; NumSgprs: 22
; NumVgprs: 36
; ScratchSize: 0
; MemoryBound: 0
; FloatMode: 240
; IeeeMode: 1
; LDSByteSize: 0 bytes/workgroup (compile time only)
; SGPRBlocks: 2
; VGPRBlocks: 4
; NumSGPRsForWavesPerEU: 22
; NumVGPRsForWavesPerEU: 36
; Occupancy: 16
; WaveLimiterHint : 1
; COMPUTE_PGM_RSRC2:SCRATCH_EN: 0
; COMPUTE_PGM_RSRC2:USER_SGPR: 15
; COMPUTE_PGM_RSRC2:TRAP_HANDLER: 0
; COMPUTE_PGM_RSRC2:TGID_X_EN: 1
; COMPUTE_PGM_RSRC2:TGID_Y_EN: 0
; COMPUTE_PGM_RSRC2:TGID_Z_EN: 0
; COMPUTE_PGM_RSRC2:TIDIG_COMP_CNT: 0
	.section	.text._ZN9rocsparseL19gebsrmvn_3xn_kernelILj128ELj5ELj8EfEEvi20rocsparse_direction_NS_24const_host_device_scalarIT2_EEPKiS6_PKS3_S8_S4_PS3_21rocsparse_index_base_b,"axG",@progbits,_ZN9rocsparseL19gebsrmvn_3xn_kernelILj128ELj5ELj8EfEEvi20rocsparse_direction_NS_24const_host_device_scalarIT2_EEPKiS6_PKS3_S8_S4_PS3_21rocsparse_index_base_b,comdat
	.globl	_ZN9rocsparseL19gebsrmvn_3xn_kernelILj128ELj5ELj8EfEEvi20rocsparse_direction_NS_24const_host_device_scalarIT2_EEPKiS6_PKS3_S8_S4_PS3_21rocsparse_index_base_b ; -- Begin function _ZN9rocsparseL19gebsrmvn_3xn_kernelILj128ELj5ELj8EfEEvi20rocsparse_direction_NS_24const_host_device_scalarIT2_EEPKiS6_PKS3_S8_S4_PS3_21rocsparse_index_base_b
	.p2align	8
	.type	_ZN9rocsparseL19gebsrmvn_3xn_kernelILj128ELj5ELj8EfEEvi20rocsparse_direction_NS_24const_host_device_scalarIT2_EEPKiS6_PKS3_S8_S4_PS3_21rocsparse_index_base_b,@function
_ZN9rocsparseL19gebsrmvn_3xn_kernelILj128ELj5ELj8EfEEvi20rocsparse_direction_NS_24const_host_device_scalarIT2_EEPKiS6_PKS3_S8_S4_PS3_21rocsparse_index_base_b: ; @_ZN9rocsparseL19gebsrmvn_3xn_kernelILj128ELj5ELj8EfEEvi20rocsparse_direction_NS_24const_host_device_scalarIT2_EEPKiS6_PKS3_S8_S4_PS3_21rocsparse_index_base_b
; %bb.0:
	s_clause 0x2
	s_load_b64 s[18:19], s[0:1], 0x40
	s_load_b64 s[16:17], s[0:1], 0x8
	;; [unrolled: 1-line block ×3, first 2 shown]
	s_waitcnt lgkmcnt(0)
	s_bitcmp1_b32 s19, 0
	s_cselect_b32 s2, -1, 0
	s_delay_alu instid0(SALU_CYCLE_1)
	s_and_b32 vcc_lo, exec_lo, s2
	s_xor_b32 s2, s2, -1
	s_cbranch_vccnz .LBB16_2
; %bb.1:
	s_load_b32 s16, s[16:17], 0x0
.LBB16_2:
	s_and_not1_b32 vcc_lo, exec_lo, s2
	s_cbranch_vccnz .LBB16_4
; %bb.3:
	s_load_b32 s12, s[12:13], 0x0
.LBB16_4:
	s_waitcnt lgkmcnt(0)
	v_cmp_eq_f32_e64 s2, s16, 0
	v_cmp_eq_f32_e64 s3, s12, 1.0
	s_delay_alu instid0(VALU_DEP_1) | instskip(NEXT) | instid1(SALU_CYCLE_1)
	s_and_b32 s2, s2, s3
	s_and_b32 vcc_lo, exec_lo, s2
	s_cbranch_vccnz .LBB16_23
; %bb.5:
	s_load_b64 s[2:3], s[0:1], 0x0
	v_lshrrev_b32_e32 v1, 3, v0
	s_delay_alu instid0(VALU_DEP_1) | instskip(SKIP_1) | instid1(VALU_DEP_1)
	v_lshl_or_b32 v1, s15, 4, v1
	s_waitcnt lgkmcnt(0)
	v_cmp_gt_i32_e32 vcc_lo, s2, v1
	s_and_saveexec_b32 s2, vcc_lo
	s_cbranch_execz .LBB16_23
; %bb.6:
	s_load_b256 s[4:11], s[0:1], 0x10
	v_ashrrev_i32_e32 v2, 31, v1
	v_and_b32_e32 v0, 7, v0
	s_cmp_lg_u32 s3, 0
	s_delay_alu instid0(VALU_DEP_2) | instskip(SKIP_1) | instid1(VALU_DEP_1)
	v_lshlrev_b64 v[2:3], 2, v[1:2]
	s_waitcnt lgkmcnt(0)
	v_add_co_u32 v2, vcc_lo, s4, v2
	s_delay_alu instid0(VALU_DEP_2) | instskip(SKIP_4) | instid1(VALU_DEP_2)
	v_add_co_ci_u32_e32 v3, vcc_lo, s5, v3, vcc_lo
	global_load_b64 v[2:3], v[2:3], off
	s_waitcnt vmcnt(0)
	v_subrev_nc_u32_e32 v2, s18, v2
	v_subrev_nc_u32_e32 v12, s18, v3
	v_add_nc_u32_e32 v2, v2, v0
	s_delay_alu instid0(VALU_DEP_1)
	v_cmp_lt_i32_e64 s2, v2, v12
	s_cbranch_scc0 .LBB16_12
; %bb.7:
	v_dual_mov_b32 v9, 0 :: v_dual_mov_b32 v10, 0
	v_mov_b32_e32 v11, 0
	s_mov_b32 s3, 0
	s_and_saveexec_b32 s4, s2
	s_cbranch_execz .LBB16_11
; %bb.8:
	v_mad_u64_u32 v[3:4], null, v2, 15, 14
	v_dual_mov_b32 v6, 0 :: v_dual_mov_b32 v7, v2
	v_dual_mov_b32 v9, 0 :: v_dual_mov_b32 v10, 0
	v_mov_b32_e32 v11, 0
	s_mov_b32 s5, 0
.LBB16_9:                               ; =>This Inner Loop Header: Depth=1
	s_delay_alu instid0(VALU_DEP_3) | instskip(SKIP_1) | instid1(VALU_DEP_2)
	v_ashrrev_i32_e32 v8, 31, v7
	v_mov_b32_e32 v14, v6
	v_lshlrev_b64 v[4:5], 2, v[7:8]
	v_add_nc_u32_e32 v7, 8, v7
	s_delay_alu instid0(VALU_DEP_2) | instskip(NEXT) | instid1(VALU_DEP_3)
	v_add_co_u32 v4, vcc_lo, s6, v4
	v_add_co_ci_u32_e32 v5, vcc_lo, s7, v5, vcc_lo
	global_load_b32 v8, v[4:5], off
	v_dual_mov_b32 v4, v6 :: v_dual_add_nc_u32 v5, -14, v3
	s_delay_alu instid0(VALU_DEP_1) | instskip(SKIP_1) | instid1(VALU_DEP_3)
	v_lshlrev_b64 v[15:16], 2, v[5:6]
	v_add_nc_u32_e32 v5, -13, v3
	v_lshlrev_b64 v[17:18], 2, v[3:4]
	s_delay_alu instid0(VALU_DEP_2)
	v_lshlrev_b64 v[19:20], 2, v[5:6]
	v_add_nc_u32_e32 v5, -12, v3
	v_add_co_u32 v15, vcc_lo, s8, v15
	v_add_co_ci_u32_e32 v16, vcc_lo, s9, v16, vcc_lo
	v_add_co_u32 v17, vcc_lo, s8, v17
	v_add_co_ci_u32_e32 v18, vcc_lo, s9, v18, vcc_lo
	v_lshlrev_b64 v[21:22], 2, v[5:6]
	v_add_nc_u32_e32 v5, -11, v3
	v_add_co_u32 v19, vcc_lo, s8, v19
	v_add_co_ci_u32_e32 v20, vcc_lo, s9, v20, vcc_lo
	s_delay_alu instid0(VALU_DEP_3)
	v_lshlrev_b64 v[4:5], 2, v[5:6]
	s_clause 0x1
	global_load_b32 v23, v[15:16], off
	global_load_b32 v24, v[19:20], off
	v_add_co_u32 v15, vcc_lo, s8, v21
	v_add_co_ci_u32_e32 v16, vcc_lo, s9, v22, vcc_lo
	v_add_co_u32 v4, vcc_lo, s8, v4
	v_add_co_ci_u32_e32 v5, vcc_lo, s9, v5, vcc_lo
	s_clause 0x1
	global_load_b32 v25, v[15:16], off
	global_load_b32 v26, v[4:5], off
	s_waitcnt vmcnt(4)
	v_subrev_nc_u32_e32 v4, s18, v8
	s_delay_alu instid0(VALU_DEP_1) | instskip(NEXT) | instid1(VALU_DEP_1)
	v_lshl_add_u32 v13, v4, 2, v4
	v_add_nc_u32_e32 v5, 1, v13
	v_lshlrev_b64 v[14:15], 2, v[13:14]
	s_delay_alu instid0(VALU_DEP_2) | instskip(SKIP_1) | instid1(VALU_DEP_3)
	v_lshlrev_b64 v[19:20], 2, v[5:6]
	v_add_nc_u32_e32 v5, -10, v3
	v_add_co_u32 v14, vcc_lo, s10, v14
	s_delay_alu instid0(VALU_DEP_4) | instskip(NEXT) | instid1(VALU_DEP_4)
	v_add_co_ci_u32_e32 v15, vcc_lo, s11, v15, vcc_lo
	v_add_co_u32 v19, vcc_lo, s10, v19
	s_delay_alu instid0(VALU_DEP_4)
	v_lshlrev_b64 v[21:22], 2, v[5:6]
	v_add_nc_u32_e32 v5, -9, v3
	v_add_co_ci_u32_e32 v20, vcc_lo, s11, v20, vcc_lo
	s_clause 0x1
	global_load_b32 v8, v[14:15], off
	global_load_b32 v27, v[19:20], off
	v_lshlrev_b64 v[14:15], 2, v[5:6]
	v_add_co_u32 v19, vcc_lo, s8, v21
	v_add_co_ci_u32_e32 v20, vcc_lo, s9, v22, vcc_lo
	v_add_nc_u32_e32 v5, -8, v3
	s_delay_alu instid0(VALU_DEP_4)
	v_add_co_u32 v14, vcc_lo, s8, v14
	v_add_co_ci_u32_e32 v15, vcc_lo, s9, v15, vcc_lo
	global_load_b32 v28, v[19:20], off
	v_lshlrev_b64 v[21:22], 2, v[5:6]
	global_load_b32 v29, v[14:15], off
	v_add_co_u32 v14, vcc_lo, s8, v21
	v_add_co_ci_u32_e32 v15, vcc_lo, s9, v22, vcc_lo
	global_load_b32 v30, v[14:15], off
	s_waitcnt vmcnt(4)
	v_fmac_f32_e32 v10, v25, v8
	v_fmac_f32_e32 v11, v24, v8
	s_waitcnt vmcnt(2)
	s_delay_alu instid0(VALU_DEP_1) | instskip(SKIP_2) | instid1(VALU_DEP_1)
	v_fmac_f32_e32 v11, v28, v27
	s_waitcnt vmcnt(1)
	v_dual_fmac_f32 v10, v29, v27 :: v_dual_add_nc_u32 v5, 2, v13
	v_lshlrev_b64 v[19:20], 2, v[5:6]
	v_add_nc_u32_e32 v5, -7, v3
	s_delay_alu instid0(VALU_DEP_1) | instskip(SKIP_1) | instid1(VALU_DEP_4)
	v_lshlrev_b64 v[21:22], 2, v[5:6]
	v_add_nc_u32_e32 v5, -6, v3
	v_add_co_u32 v19, vcc_lo, s10, v19
	v_add_co_ci_u32_e32 v20, vcc_lo, s11, v20, vcc_lo
	s_delay_alu instid0(VALU_DEP_3)
	v_lshlrev_b64 v[14:15], 2, v[5:6]
	v_add_nc_u32_e32 v5, -5, v3
	global_load_b32 v31, v[19:20], off
	v_add_co_u32 v19, vcc_lo, s8, v21
	v_add_co_ci_u32_e32 v20, vcc_lo, s9, v22, vcc_lo
	v_add_co_u32 v14, vcc_lo, s8, v14
	v_add_co_ci_u32_e32 v15, vcc_lo, s9, v15, vcc_lo
	global_load_b32 v32, v[19:20], off
	v_lshlrev_b64 v[21:22], 2, v[5:6]
	global_load_b32 v33, v[14:15], off
	v_add_co_u32 v14, vcc_lo, s8, v21
	v_add_co_ci_u32_e32 v15, vcc_lo, s9, v22, vcc_lo
	global_load_b32 v34, v[14:15], off
	s_waitcnt vmcnt(2)
	v_fmac_f32_e32 v11, v32, v31
	s_waitcnt vmcnt(1)
	v_dual_fmac_f32 v10, v33, v31 :: v_dual_add_nc_u32 v5, 3, v13
	s_delay_alu instid0(VALU_DEP_1) | instskip(SKIP_1) | instid1(VALU_DEP_1)
	v_lshlrev_b64 v[19:20], 2, v[5:6]
	v_add_nc_u32_e32 v5, -4, v3
	v_lshlrev_b64 v[21:22], 2, v[5:6]
	v_add_nc_u32_e32 v5, -3, v3
	s_delay_alu instid0(VALU_DEP_4) | instskip(SKIP_1) | instid1(VALU_DEP_3)
	v_add_co_u32 v19, vcc_lo, s10, v19
	v_add_co_ci_u32_e32 v20, vcc_lo, s11, v20, vcc_lo
	v_lshlrev_b64 v[14:15], 2, v[5:6]
	v_add_nc_u32_e32 v5, -2, v3
	global_load_b32 v35, v[19:20], off
	v_add_co_u32 v19, vcc_lo, s8, v21
	v_add_co_ci_u32_e32 v20, vcc_lo, s9, v22, vcc_lo
	v_lshlrev_b64 v[21:22], 2, v[5:6]
	v_add_nc_u32_e32 v5, 4, v13
	v_add_co_u32 v13, vcc_lo, s8, v14
	v_add_co_ci_u32_e32 v14, vcc_lo, s9, v15, vcc_lo
	s_delay_alu instid0(VALU_DEP_3)
	v_lshlrev_b64 v[15:16], 2, v[5:6]
	v_add_nc_u32_e32 v5, -1, v3
	s_clause 0x1
	global_load_b32 v19, v[19:20], off
	global_load_b32 v20, v[13:14], off
	v_add_co_u32 v13, vcc_lo, s8, v21
	v_lshlrev_b64 v[4:5], 2, v[5:6]
	v_add_co_ci_u32_e32 v14, vcc_lo, s9, v22, vcc_lo
	v_add_co_u32 v15, vcc_lo, s10, v15
	v_add_co_ci_u32_e32 v16, vcc_lo, s11, v16, vcc_lo
	s_delay_alu instid0(VALU_DEP_4)
	v_add_co_u32 v4, vcc_lo, s8, v4
	v_add_co_ci_u32_e32 v5, vcc_lo, s9, v5, vcc_lo
	global_load_b32 v13, v[13:14], off
	global_load_b32 v14, v[15:16], off
	s_clause 0x1
	global_load_b32 v4, v[4:5], off
	global_load_b32 v5, v[17:18], off
	v_cmp_ge_i32_e32 vcc_lo, v7, v12
	v_add_nc_u32_e32 v3, 0x78, v3
	s_or_b32 s5, vcc_lo, s5
	s_waitcnt vmcnt(5)
	v_fmac_f32_e32 v11, v19, v35
	s_waitcnt vmcnt(4)
	v_dual_fmac_f32 v10, v20, v35 :: v_dual_fmac_f32 v9, v23, v8
	s_waitcnt vmcnt(1)
	s_delay_alu instid0(VALU_DEP_2) | instskip(SKIP_1) | instid1(VALU_DEP_2)
	v_fmac_f32_e32 v11, v4, v14
	s_waitcnt vmcnt(0)
	v_dual_fmac_f32 v10, v5, v14 :: v_dual_fmac_f32 v9, v26, v27
	s_delay_alu instid0(VALU_DEP_1) | instskip(NEXT) | instid1(VALU_DEP_1)
	v_fmac_f32_e32 v9, v30, v31
	v_fmac_f32_e32 v9, v34, v35
	s_delay_alu instid0(VALU_DEP_1)
	v_fmac_f32_e32 v9, v13, v14
	s_and_not1_b32 exec_lo, exec_lo, s5
	s_cbranch_execnz .LBB16_9
; %bb.10:
	s_or_b32 exec_lo, exec_lo, s5
.LBB16_11:
	s_delay_alu instid0(SALU_CYCLE_1) | instskip(NEXT) | instid1(SALU_CYCLE_1)
	s_or_b32 exec_lo, exec_lo, s4
	s_and_not1_b32 vcc_lo, exec_lo, s3
	s_cbranch_vccz .LBB16_13
	s_branch .LBB16_18
.LBB16_12:
                                        ; implicit-def: $vgpr9
                                        ; implicit-def: $vgpr10
                                        ; implicit-def: $vgpr11
.LBB16_13:
	v_dual_mov_b32 v9, 0 :: v_dual_mov_b32 v10, 0
	v_mov_b32_e32 v11, 0
	s_delay_alu instid0(VALU_DEP_3)
	s_and_saveexec_b32 s3, s2
	s_cbranch_execz .LBB16_17
; %bb.14:
	v_mad_u64_u32 v[4:5], null, v2, 15, 14
	v_dual_mov_b32 v7, 0 :: v_dual_mov_b32 v10, 0
	v_mov_b32_e32 v9, 0
	v_mov_b32_e32 v11, 0
	s_mov_b32 s2, 0
.LBB16_15:                              ; =>This Inner Loop Header: Depth=1
	v_ashrrev_i32_e32 v3, 31, v2
	v_dual_mov_b32 v14, v7 :: v_dual_add_nc_u32 v13, -9, v4
	v_dual_mov_b32 v16, v7 :: v_dual_add_nc_u32 v15, -4, v4
	s_delay_alu instid0(VALU_DEP_3) | instskip(SKIP_1) | instid1(VALU_DEP_4)
	v_lshlrev_b64 v[5:6], 2, v[2:3]
	v_add_nc_u32_e32 v2, 8, v2
	v_lshlrev_b64 v[13:14], 2, v[13:14]
	v_mov_b32_e32 v17, v7
	v_lshlrev_b64 v[15:16], 2, v[15:16]
	v_add_co_u32 v5, vcc_lo, s6, v5
	v_add_co_ci_u32_e32 v6, vcc_lo, s7, v6, vcc_lo
	global_load_b32 v3, v[5:6], off
	v_dual_mov_b32 v5, v7 :: v_dual_add_nc_u32 v6, -14, v4
	s_delay_alu instid0(VALU_DEP_1) | instskip(SKIP_1) | instid1(VALU_DEP_3)
	v_lshlrev_b64 v[18:19], 2, v[6:7]
	v_add_nc_u32_e32 v6, -13, v4
	v_lshlrev_b64 v[20:21], 2, v[4:5]
	s_delay_alu instid0(VALU_DEP_2) | instskip(NEXT) | instid1(VALU_DEP_4)
	v_lshlrev_b64 v[5:6], 2, v[6:7]
	v_add_co_u32 v18, vcc_lo, s8, v18
	v_add_co_ci_u32_e32 v19, vcc_lo, s9, v19, vcc_lo
	v_add_co_u32 v13, vcc_lo, s8, v13
	v_add_co_ci_u32_e32 v14, vcc_lo, s9, v14, vcc_lo
	;; [unrolled: 2-line block ×5, first 2 shown]
	s_clause 0x3
	global_load_b32 v8, v[18:19], off
	global_load_b32 v19, v[13:14], off
	;; [unrolled: 1-line block ×4, first 2 shown]
	s_waitcnt vmcnt(4)
	v_subrev_nc_u32_e32 v3, s18, v3
	s_delay_alu instid0(VALU_DEP_1) | instskip(NEXT) | instid1(VALU_DEP_1)
	v_lshl_add_u32 v16, v3, 2, v3
	v_lshlrev_b64 v[13:14], 2, v[16:17]
	s_delay_alu instid0(VALU_DEP_1) | instskip(NEXT) | instid1(VALU_DEP_2)
	v_add_co_u32 v13, vcc_lo, s10, v13
	v_add_co_ci_u32_e32 v14, vcc_lo, s11, v14, vcc_lo
	global_load_b32 v3, v[13:14], off
	v_add_nc_u32_e32 v6, 1, v16
	s_delay_alu instid0(VALU_DEP_1) | instskip(NEXT) | instid1(VALU_DEP_1)
	v_lshlrev_b64 v[17:18], 2, v[6:7]
	v_add_co_u32 v17, vcc_lo, s10, v17
	s_delay_alu instid0(VALU_DEP_2) | instskip(SKIP_3) | instid1(VALU_DEP_1)
	v_add_co_ci_u32_e32 v18, vcc_lo, s11, v18, vcc_lo
	global_load_b32 v26, v[17:18], off
	s_waitcnt vmcnt(1)
	v_dual_fmac_f32 v11, v19, v3 :: v_dual_add_nc_u32 v6, -8, v4
	v_lshlrev_b64 v[22:23], 2, v[6:7]
	v_dual_fmac_f32 v9, v8, v3 :: v_dual_add_nc_u32 v6, -3, v4
	v_fmac_f32_e32 v10, v24, v3
	s_delay_alu instid0(VALU_DEP_3) | instskip(NEXT) | instid1(VALU_DEP_4)
	v_add_co_u32 v17, vcc_lo, s8, v22
	v_add_co_ci_u32_e32 v18, vcc_lo, s9, v23, vcc_lo
	global_load_b32 v27, v[17:18], off
	s_waitcnt vmcnt(1)
	v_fmac_f32_e32 v9, v25, v26
	v_lshlrev_b64 v[13:14], 2, v[6:7]
	s_delay_alu instid0(VALU_DEP_1) | instskip(NEXT) | instid1(VALU_DEP_2)
	v_add_co_u32 v13, vcc_lo, s8, v13
	v_add_co_ci_u32_e32 v14, vcc_lo, s9, v14, vcc_lo
	global_load_b32 v28, v[13:14], off
	s_waitcnt vmcnt(1)
	v_dual_fmac_f32 v11, v27, v26 :: v_dual_add_nc_u32 v6, -12, v4
	s_delay_alu instid0(VALU_DEP_1) | instskip(NEXT) | instid1(VALU_DEP_1)
	v_lshlrev_b64 v[22:23], 2, v[6:7]
	v_add_co_u32 v13, vcc_lo, s8, v22
	s_delay_alu instid0(VALU_DEP_2) | instskip(SKIP_4) | instid1(VALU_DEP_2)
	v_add_co_ci_u32_e32 v14, vcc_lo, s9, v23, vcc_lo
	global_load_b32 v29, v[13:14], off
	v_add_nc_u32_e32 v6, 2, v16
	s_waitcnt vmcnt(1)
	v_fmac_f32_e32 v10, v28, v26
	v_lshlrev_b64 v[17:18], 2, v[6:7]
	s_delay_alu instid0(VALU_DEP_1) | instskip(NEXT) | instid1(VALU_DEP_2)
	v_add_co_u32 v17, vcc_lo, s10, v17
	v_add_co_ci_u32_e32 v18, vcc_lo, s11, v18, vcc_lo
	global_load_b32 v30, v[17:18], off
	v_add_nc_u32_e32 v6, -7, v4
	s_delay_alu instid0(VALU_DEP_1) | instskip(NEXT) | instid1(VALU_DEP_1)
	v_lshlrev_b64 v[22:23], 2, v[6:7]
	v_add_co_u32 v17, vcc_lo, s8, v22
	s_delay_alu instid0(VALU_DEP_2) | instskip(SKIP_3) | instid1(VALU_DEP_1)
	v_add_co_ci_u32_e32 v18, vcc_lo, s9, v23, vcc_lo
	global_load_b32 v31, v[17:18], off
	s_waitcnt vmcnt(1)
	v_dual_fmac_f32 v9, v29, v30 :: v_dual_add_nc_u32 v6, -2, v4
	v_lshlrev_b64 v[13:14], 2, v[6:7]
	s_delay_alu instid0(VALU_DEP_1) | instskip(NEXT) | instid1(VALU_DEP_2)
	v_add_co_u32 v13, vcc_lo, s8, v13
	v_add_co_ci_u32_e32 v14, vcc_lo, s9, v14, vcc_lo
	global_load_b32 v32, v[13:14], off
	s_waitcnt vmcnt(1)
	v_dual_fmac_f32 v11, v31, v30 :: v_dual_add_nc_u32 v6, -11, v4
	s_delay_alu instid0(VALU_DEP_1) | instskip(SKIP_1) | instid1(VALU_DEP_1)
	v_lshlrev_b64 v[22:23], 2, v[6:7]
	v_add_nc_u32_e32 v6, 3, v16
	v_lshlrev_b64 v[17:18], 2, v[6:7]
	v_add_nc_u32_e32 v6, -6, v4
	s_delay_alu instid0(VALU_DEP_4) | instskip(SKIP_1) | instid1(VALU_DEP_3)
	v_add_co_u32 v13, vcc_lo, s8, v22
	v_add_co_ci_u32_e32 v14, vcc_lo, s9, v23, vcc_lo
	v_lshlrev_b64 v[22:23], 2, v[6:7]
	v_add_nc_u32_e32 v6, -1, v4
	v_add_co_u32 v17, vcc_lo, s10, v17
	v_add_co_ci_u32_e32 v18, vcc_lo, s11, v18, vcc_lo
	global_load_b32 v33, v[13:14], off
	v_lshlrev_b64 v[13:14], 2, v[6:7]
	v_add_nc_u32_e32 v6, -10, v4
	global_load_b32 v34, v[17:18], off
	v_add_co_u32 v17, vcc_lo, s8, v22
	v_add_co_ci_u32_e32 v18, vcc_lo, s9, v23, vcc_lo
	v_lshlrev_b64 v[22:23], 2, v[6:7]
	v_add_nc_u32_e32 v6, 4, v16
	v_add_co_u32 v13, vcc_lo, s8, v13
	v_add_co_ci_u32_e32 v14, vcc_lo, s9, v14, vcc_lo
	s_delay_alu instid0(VALU_DEP_3)
	v_lshlrev_b64 v[15:16], 2, v[6:7]
	v_add_nc_u32_e32 v6, -5, v4
	s_clause 0x1
	global_load_b32 v17, v[17:18], off
	global_load_b32 v18, v[13:14], off
	v_add_co_u32 v13, vcc_lo, s8, v22
	v_lshlrev_b64 v[5:6], 2, v[6:7]
	v_add_co_ci_u32_e32 v14, vcc_lo, s9, v23, vcc_lo
	v_add_co_u32 v15, vcc_lo, s10, v15
	v_add_co_ci_u32_e32 v16, vcc_lo, s11, v16, vcc_lo
	s_delay_alu instid0(VALU_DEP_4)
	v_add_co_u32 v5, vcc_lo, s8, v5
	v_add_co_ci_u32_e32 v6, vcc_lo, s9, v6, vcc_lo
	global_load_b32 v13, v[13:14], off
	global_load_b32 v14, v[15:16], off
	s_clause 0x1
	global_load_b32 v5, v[5:6], off
	global_load_b32 v6, v[20:21], off
	v_cmp_ge_i32_e32 vcc_lo, v2, v12
	v_add_nc_u32_e32 v4, 0x78, v4
	s_or_b32 s2, vcc_lo, s2
	s_waitcnt vmcnt(8)
	v_fmac_f32_e32 v10, v32, v30
	s_waitcnt vmcnt(6)
	v_fmac_f32_e32 v9, v33, v34
	s_waitcnt vmcnt(5)
	v_fmac_f32_e32 v11, v17, v34
	s_waitcnt vmcnt(4)
	v_fmac_f32_e32 v10, v18, v34
	s_waitcnt vmcnt(2)
	v_fmac_f32_e32 v9, v13, v14
	s_waitcnt vmcnt(1)
	v_fmac_f32_e32 v11, v5, v14
	s_waitcnt vmcnt(0)
	v_fmac_f32_e32 v10, v6, v14
	s_and_not1_b32 exec_lo, exec_lo, s2
	s_cbranch_execnz .LBB16_15
; %bb.16:
	s_or_b32 exec_lo, exec_lo, s2
.LBB16_17:
	s_delay_alu instid0(SALU_CYCLE_1)
	s_or_b32 exec_lo, exec_lo, s3
.LBB16_18:
	v_mbcnt_lo_u32_b32 v2, -1, 0
	s_mov_b32 s2, -1
	s_delay_alu instid0(VALU_DEP_1) | instskip(SKIP_1) | instid1(VALU_DEP_2)
	v_xor_b32_e32 v3, 4, v2
	v_xor_b32_e32 v6, 2, v2
	v_cmp_gt_i32_e32 vcc_lo, 32, v3
	v_cndmask_b32_e32 v3, v2, v3, vcc_lo
	s_delay_alu instid0(VALU_DEP_3) | instskip(SKIP_1) | instid1(VALU_DEP_1)
	v_cmp_gt_i32_e32 vcc_lo, 32, v6
	v_cndmask_b32_e32 v6, v2, v6, vcc_lo
	v_lshlrev_b32_e32 v6, 2, v6
	s_delay_alu instid0(VALU_DEP_4)
	v_lshlrev_b32_e32 v3, 2, v3
	ds_bpermute_b32 v4, v3, v9
	s_waitcnt lgkmcnt(0)
	v_add_f32_e32 v4, v9, v4
	ds_bpermute_b32 v5, v3, v11
	ds_bpermute_b32 v3, v3, v10
	v_xor_b32_e32 v9, 1, v2
	s_delay_alu instid0(VALU_DEP_1)
	v_cmp_gt_i32_e32 vcc_lo, 32, v9
	s_waitcnt lgkmcnt(1)
	v_add_f32_e32 v5, v11, v5
	s_waitcnt lgkmcnt(0)
	v_add_f32_e32 v7, v10, v3
	ds_bpermute_b32 v3, v6, v4
	ds_bpermute_b32 v8, v6, v5
	ds_bpermute_b32 v6, v6, v7
	v_cndmask_b32_e32 v2, v2, v9, vcc_lo
	v_cmp_eq_u32_e32 vcc_lo, 7, v0
	s_waitcnt lgkmcnt(2)
	s_delay_alu instid0(VALU_DEP_2)
	v_dual_add_f32 v2, v4, v3 :: v_dual_lshlrev_b32 v9, 2, v2
	s_waitcnt lgkmcnt(0)
	v_dual_add_f32 v3, v5, v8 :: v_dual_add_f32 v4, v7, v6
	ds_bpermute_b32 v5, v9, v2
	ds_bpermute_b32 v6, v9, v3
	;; [unrolled: 1-line block ×3, first 2 shown]
	s_and_b32 exec_lo, exec_lo, vcc_lo
	s_cbranch_execz .LBB16_23
; %bb.19:
	s_load_b64 s[0:1], s[0:1], 0x38
	s_waitcnt lgkmcnt(0)
	v_add_f32_e32 v0, v2, v5
	v_add_f32_e32 v2, v3, v6
	;; [unrolled: 1-line block ×3, first 2 shown]
	v_lshl_add_u32 v3, v1, 1, v1
	v_cmp_eq_f32_e64 s3, s12, 0
	s_delay_alu instid0(VALU_DEP_4) | instskip(NEXT) | instid1(VALU_DEP_4)
	v_dual_mul_f32 v1, s16, v2 :: v_dual_mul_f32 v0, s16, v0
	v_mul_f32_e32 v2, s16, v4
	s_delay_alu instid0(VALU_DEP_4) | instskip(NEXT) | instid1(VALU_DEP_4)
	v_ashrrev_i32_e32 v4, 31, v3
	s_and_b32 vcc_lo, exec_lo, s3
	s_cbranch_vccz .LBB16_21
; %bb.20:
	s_delay_alu instid0(VALU_DEP_1) | instskip(SKIP_1) | instid1(VALU_DEP_1)
	v_lshlrev_b64 v[5:6], 2, v[3:4]
	s_mov_b32 s2, 0
	v_add_co_u32 v5, vcc_lo, s0, v5
	s_delay_alu instid0(VALU_DEP_2)
	v_add_co_ci_u32_e32 v6, vcc_lo, s1, v6, vcc_lo
	global_store_b96 v[5:6], v[0:2], off
.LBB16_21:
	s_and_not1_b32 vcc_lo, exec_lo, s2
	s_cbranch_vccnz .LBB16_23
; %bb.22:
	v_lshlrev_b64 v[3:4], 2, v[3:4]
	s_delay_alu instid0(VALU_DEP_1) | instskip(NEXT) | instid1(VALU_DEP_2)
	v_add_co_u32 v6, vcc_lo, s0, v3
	v_add_co_ci_u32_e32 v7, vcc_lo, s1, v4, vcc_lo
	global_load_b96 v[3:5], v[6:7], off
	s_waitcnt vmcnt(0)
	v_dual_fmac_f32 v0, s12, v3 :: v_dual_fmac_f32 v1, s12, v4
	v_fmac_f32_e32 v2, s12, v5
	global_store_b96 v[6:7], v[0:2], off
.LBB16_23:
	s_nop 0
	s_sendmsg sendmsg(MSG_DEALLOC_VGPRS)
	s_endpgm
	.section	.rodata,"a",@progbits
	.p2align	6, 0x0
	.amdhsa_kernel _ZN9rocsparseL19gebsrmvn_3xn_kernelILj128ELj5ELj8EfEEvi20rocsparse_direction_NS_24const_host_device_scalarIT2_EEPKiS6_PKS3_S8_S4_PS3_21rocsparse_index_base_b
		.amdhsa_group_segment_fixed_size 0
		.amdhsa_private_segment_fixed_size 0
		.amdhsa_kernarg_size 72
		.amdhsa_user_sgpr_count 15
		.amdhsa_user_sgpr_dispatch_ptr 0
		.amdhsa_user_sgpr_queue_ptr 0
		.amdhsa_user_sgpr_kernarg_segment_ptr 1
		.amdhsa_user_sgpr_dispatch_id 0
		.amdhsa_user_sgpr_private_segment_size 0
		.amdhsa_wavefront_size32 1
		.amdhsa_uses_dynamic_stack 0
		.amdhsa_enable_private_segment 0
		.amdhsa_system_sgpr_workgroup_id_x 1
		.amdhsa_system_sgpr_workgroup_id_y 0
		.amdhsa_system_sgpr_workgroup_id_z 0
		.amdhsa_system_sgpr_workgroup_info 0
		.amdhsa_system_vgpr_workitem_id 0
		.amdhsa_next_free_vgpr 36
		.amdhsa_next_free_sgpr 20
		.amdhsa_reserve_vcc 1
		.amdhsa_float_round_mode_32 0
		.amdhsa_float_round_mode_16_64 0
		.amdhsa_float_denorm_mode_32 3
		.amdhsa_float_denorm_mode_16_64 3
		.amdhsa_dx10_clamp 1
		.amdhsa_ieee_mode 1
		.amdhsa_fp16_overflow 0
		.amdhsa_workgroup_processor_mode 1
		.amdhsa_memory_ordered 1
		.amdhsa_forward_progress 0
		.amdhsa_shared_vgpr_count 0
		.amdhsa_exception_fp_ieee_invalid_op 0
		.amdhsa_exception_fp_denorm_src 0
		.amdhsa_exception_fp_ieee_div_zero 0
		.amdhsa_exception_fp_ieee_overflow 0
		.amdhsa_exception_fp_ieee_underflow 0
		.amdhsa_exception_fp_ieee_inexact 0
		.amdhsa_exception_int_div_zero 0
	.end_amdhsa_kernel
	.section	.text._ZN9rocsparseL19gebsrmvn_3xn_kernelILj128ELj5ELj8EfEEvi20rocsparse_direction_NS_24const_host_device_scalarIT2_EEPKiS6_PKS3_S8_S4_PS3_21rocsparse_index_base_b,"axG",@progbits,_ZN9rocsparseL19gebsrmvn_3xn_kernelILj128ELj5ELj8EfEEvi20rocsparse_direction_NS_24const_host_device_scalarIT2_EEPKiS6_PKS3_S8_S4_PS3_21rocsparse_index_base_b,comdat
.Lfunc_end16:
	.size	_ZN9rocsparseL19gebsrmvn_3xn_kernelILj128ELj5ELj8EfEEvi20rocsparse_direction_NS_24const_host_device_scalarIT2_EEPKiS6_PKS3_S8_S4_PS3_21rocsparse_index_base_b, .Lfunc_end16-_ZN9rocsparseL19gebsrmvn_3xn_kernelILj128ELj5ELj8EfEEvi20rocsparse_direction_NS_24const_host_device_scalarIT2_EEPKiS6_PKS3_S8_S4_PS3_21rocsparse_index_base_b
                                        ; -- End function
	.section	.AMDGPU.csdata,"",@progbits
; Kernel info:
; codeLenInByte = 2624
; NumSgprs: 22
; NumVgprs: 36
; ScratchSize: 0
; MemoryBound: 0
; FloatMode: 240
; IeeeMode: 1
; LDSByteSize: 0 bytes/workgroup (compile time only)
; SGPRBlocks: 2
; VGPRBlocks: 4
; NumSGPRsForWavesPerEU: 22
; NumVGPRsForWavesPerEU: 36
; Occupancy: 16
; WaveLimiterHint : 1
; COMPUTE_PGM_RSRC2:SCRATCH_EN: 0
; COMPUTE_PGM_RSRC2:USER_SGPR: 15
; COMPUTE_PGM_RSRC2:TRAP_HANDLER: 0
; COMPUTE_PGM_RSRC2:TGID_X_EN: 1
; COMPUTE_PGM_RSRC2:TGID_Y_EN: 0
; COMPUTE_PGM_RSRC2:TGID_Z_EN: 0
; COMPUTE_PGM_RSRC2:TIDIG_COMP_CNT: 0
	.section	.text._ZN9rocsparseL19gebsrmvn_3xn_kernelILj128ELj5ELj16EfEEvi20rocsparse_direction_NS_24const_host_device_scalarIT2_EEPKiS6_PKS3_S8_S4_PS3_21rocsparse_index_base_b,"axG",@progbits,_ZN9rocsparseL19gebsrmvn_3xn_kernelILj128ELj5ELj16EfEEvi20rocsparse_direction_NS_24const_host_device_scalarIT2_EEPKiS6_PKS3_S8_S4_PS3_21rocsparse_index_base_b,comdat
	.globl	_ZN9rocsparseL19gebsrmvn_3xn_kernelILj128ELj5ELj16EfEEvi20rocsparse_direction_NS_24const_host_device_scalarIT2_EEPKiS6_PKS3_S8_S4_PS3_21rocsparse_index_base_b ; -- Begin function _ZN9rocsparseL19gebsrmvn_3xn_kernelILj128ELj5ELj16EfEEvi20rocsparse_direction_NS_24const_host_device_scalarIT2_EEPKiS6_PKS3_S8_S4_PS3_21rocsparse_index_base_b
	.p2align	8
	.type	_ZN9rocsparseL19gebsrmvn_3xn_kernelILj128ELj5ELj16EfEEvi20rocsparse_direction_NS_24const_host_device_scalarIT2_EEPKiS6_PKS3_S8_S4_PS3_21rocsparse_index_base_b,@function
_ZN9rocsparseL19gebsrmvn_3xn_kernelILj128ELj5ELj16EfEEvi20rocsparse_direction_NS_24const_host_device_scalarIT2_EEPKiS6_PKS3_S8_S4_PS3_21rocsparse_index_base_b: ; @_ZN9rocsparseL19gebsrmvn_3xn_kernelILj128ELj5ELj16EfEEvi20rocsparse_direction_NS_24const_host_device_scalarIT2_EEPKiS6_PKS3_S8_S4_PS3_21rocsparse_index_base_b
; %bb.0:
	s_clause 0x2
	s_load_b64 s[18:19], s[0:1], 0x40
	s_load_b64 s[16:17], s[0:1], 0x8
	;; [unrolled: 1-line block ×3, first 2 shown]
	s_waitcnt lgkmcnt(0)
	s_bitcmp1_b32 s19, 0
	s_cselect_b32 s2, -1, 0
	s_delay_alu instid0(SALU_CYCLE_1)
	s_and_b32 vcc_lo, exec_lo, s2
	s_xor_b32 s2, s2, -1
	s_cbranch_vccnz .LBB17_2
; %bb.1:
	s_load_b32 s16, s[16:17], 0x0
.LBB17_2:
	s_and_not1_b32 vcc_lo, exec_lo, s2
	s_cbranch_vccnz .LBB17_4
; %bb.3:
	s_load_b32 s12, s[12:13], 0x0
.LBB17_4:
	s_waitcnt lgkmcnt(0)
	v_cmp_eq_f32_e64 s2, s16, 0
	v_cmp_eq_f32_e64 s3, s12, 1.0
	s_delay_alu instid0(VALU_DEP_1) | instskip(NEXT) | instid1(SALU_CYCLE_1)
	s_and_b32 s2, s2, s3
	s_and_b32 vcc_lo, exec_lo, s2
	s_cbranch_vccnz .LBB17_23
; %bb.5:
	s_load_b64 s[2:3], s[0:1], 0x0
	v_lshrrev_b32_e32 v1, 4, v0
	s_delay_alu instid0(VALU_DEP_1) | instskip(SKIP_1) | instid1(VALU_DEP_1)
	v_lshl_or_b32 v1, s15, 3, v1
	s_waitcnt lgkmcnt(0)
	v_cmp_gt_i32_e32 vcc_lo, s2, v1
	s_and_saveexec_b32 s2, vcc_lo
	s_cbranch_execz .LBB17_23
; %bb.6:
	s_load_b256 s[4:11], s[0:1], 0x10
	v_ashrrev_i32_e32 v2, 31, v1
	v_and_b32_e32 v0, 15, v0
	s_cmp_lg_u32 s3, 0
	s_delay_alu instid0(VALU_DEP_2) | instskip(SKIP_1) | instid1(VALU_DEP_1)
	v_lshlrev_b64 v[2:3], 2, v[1:2]
	s_waitcnt lgkmcnt(0)
	v_add_co_u32 v2, vcc_lo, s4, v2
	s_delay_alu instid0(VALU_DEP_2) | instskip(SKIP_4) | instid1(VALU_DEP_2)
	v_add_co_ci_u32_e32 v3, vcc_lo, s5, v3, vcc_lo
	global_load_b64 v[2:3], v[2:3], off
	s_waitcnt vmcnt(0)
	v_subrev_nc_u32_e32 v2, s18, v2
	v_subrev_nc_u32_e32 v12, s18, v3
	v_add_nc_u32_e32 v2, v2, v0
	s_delay_alu instid0(VALU_DEP_1)
	v_cmp_lt_i32_e64 s2, v2, v12
	s_cbranch_scc0 .LBB17_12
; %bb.7:
	v_dual_mov_b32 v9, 0 :: v_dual_mov_b32 v10, 0
	v_mov_b32_e32 v11, 0
	s_mov_b32 s3, 0
	s_and_saveexec_b32 s4, s2
	s_cbranch_execz .LBB17_11
; %bb.8:
	v_mad_u64_u32 v[3:4], null, v2, 15, 14
	v_dual_mov_b32 v6, 0 :: v_dual_mov_b32 v7, v2
	v_dual_mov_b32 v9, 0 :: v_dual_mov_b32 v10, 0
	v_mov_b32_e32 v11, 0
	s_mov_b32 s5, 0
.LBB17_9:                               ; =>This Inner Loop Header: Depth=1
	s_delay_alu instid0(VALU_DEP_3) | instskip(SKIP_1) | instid1(VALU_DEP_2)
	v_ashrrev_i32_e32 v8, 31, v7
	v_mov_b32_e32 v14, v6
	v_lshlrev_b64 v[4:5], 2, v[7:8]
	v_add_nc_u32_e32 v7, 16, v7
	s_delay_alu instid0(VALU_DEP_2) | instskip(NEXT) | instid1(VALU_DEP_3)
	v_add_co_u32 v4, vcc_lo, s6, v4
	v_add_co_ci_u32_e32 v5, vcc_lo, s7, v5, vcc_lo
	global_load_b32 v8, v[4:5], off
	v_dual_mov_b32 v4, v6 :: v_dual_add_nc_u32 v5, -14, v3
	s_delay_alu instid0(VALU_DEP_1) | instskip(SKIP_1) | instid1(VALU_DEP_3)
	v_lshlrev_b64 v[15:16], 2, v[5:6]
	v_add_nc_u32_e32 v5, -13, v3
	v_lshlrev_b64 v[17:18], 2, v[3:4]
	s_delay_alu instid0(VALU_DEP_2)
	v_lshlrev_b64 v[19:20], 2, v[5:6]
	v_add_nc_u32_e32 v5, -12, v3
	v_add_co_u32 v15, vcc_lo, s8, v15
	v_add_co_ci_u32_e32 v16, vcc_lo, s9, v16, vcc_lo
	v_add_co_u32 v17, vcc_lo, s8, v17
	v_add_co_ci_u32_e32 v18, vcc_lo, s9, v18, vcc_lo
	v_lshlrev_b64 v[21:22], 2, v[5:6]
	v_add_nc_u32_e32 v5, -11, v3
	v_add_co_u32 v19, vcc_lo, s8, v19
	v_add_co_ci_u32_e32 v20, vcc_lo, s9, v20, vcc_lo
	s_delay_alu instid0(VALU_DEP_3)
	v_lshlrev_b64 v[4:5], 2, v[5:6]
	s_clause 0x1
	global_load_b32 v23, v[15:16], off
	global_load_b32 v24, v[19:20], off
	v_add_co_u32 v15, vcc_lo, s8, v21
	v_add_co_ci_u32_e32 v16, vcc_lo, s9, v22, vcc_lo
	v_add_co_u32 v4, vcc_lo, s8, v4
	v_add_co_ci_u32_e32 v5, vcc_lo, s9, v5, vcc_lo
	s_clause 0x1
	global_load_b32 v25, v[15:16], off
	global_load_b32 v26, v[4:5], off
	s_waitcnt vmcnt(4)
	v_subrev_nc_u32_e32 v4, s18, v8
	s_delay_alu instid0(VALU_DEP_1) | instskip(NEXT) | instid1(VALU_DEP_1)
	v_lshl_add_u32 v13, v4, 2, v4
	v_add_nc_u32_e32 v5, 1, v13
	v_lshlrev_b64 v[14:15], 2, v[13:14]
	s_delay_alu instid0(VALU_DEP_2) | instskip(SKIP_1) | instid1(VALU_DEP_3)
	v_lshlrev_b64 v[19:20], 2, v[5:6]
	v_add_nc_u32_e32 v5, -10, v3
	v_add_co_u32 v14, vcc_lo, s10, v14
	s_delay_alu instid0(VALU_DEP_4) | instskip(NEXT) | instid1(VALU_DEP_4)
	v_add_co_ci_u32_e32 v15, vcc_lo, s11, v15, vcc_lo
	v_add_co_u32 v19, vcc_lo, s10, v19
	s_delay_alu instid0(VALU_DEP_4)
	v_lshlrev_b64 v[21:22], 2, v[5:6]
	v_add_nc_u32_e32 v5, -9, v3
	v_add_co_ci_u32_e32 v20, vcc_lo, s11, v20, vcc_lo
	s_clause 0x1
	global_load_b32 v8, v[14:15], off
	global_load_b32 v27, v[19:20], off
	v_lshlrev_b64 v[14:15], 2, v[5:6]
	v_add_co_u32 v19, vcc_lo, s8, v21
	v_add_co_ci_u32_e32 v20, vcc_lo, s9, v22, vcc_lo
	v_add_nc_u32_e32 v5, -8, v3
	s_delay_alu instid0(VALU_DEP_4)
	v_add_co_u32 v14, vcc_lo, s8, v14
	v_add_co_ci_u32_e32 v15, vcc_lo, s9, v15, vcc_lo
	global_load_b32 v28, v[19:20], off
	v_lshlrev_b64 v[21:22], 2, v[5:6]
	global_load_b32 v29, v[14:15], off
	v_add_co_u32 v14, vcc_lo, s8, v21
	v_add_co_ci_u32_e32 v15, vcc_lo, s9, v22, vcc_lo
	global_load_b32 v30, v[14:15], off
	s_waitcnt vmcnt(4)
	v_fmac_f32_e32 v10, v25, v8
	v_fmac_f32_e32 v11, v24, v8
	s_waitcnt vmcnt(2)
	s_delay_alu instid0(VALU_DEP_1) | instskip(SKIP_2) | instid1(VALU_DEP_1)
	v_fmac_f32_e32 v11, v28, v27
	s_waitcnt vmcnt(1)
	v_dual_fmac_f32 v10, v29, v27 :: v_dual_add_nc_u32 v5, 2, v13
	v_lshlrev_b64 v[19:20], 2, v[5:6]
	v_add_nc_u32_e32 v5, -7, v3
	s_delay_alu instid0(VALU_DEP_1) | instskip(SKIP_1) | instid1(VALU_DEP_4)
	v_lshlrev_b64 v[21:22], 2, v[5:6]
	v_add_nc_u32_e32 v5, -6, v3
	v_add_co_u32 v19, vcc_lo, s10, v19
	v_add_co_ci_u32_e32 v20, vcc_lo, s11, v20, vcc_lo
	s_delay_alu instid0(VALU_DEP_3)
	v_lshlrev_b64 v[14:15], 2, v[5:6]
	v_add_nc_u32_e32 v5, -5, v3
	global_load_b32 v31, v[19:20], off
	v_add_co_u32 v19, vcc_lo, s8, v21
	v_add_co_ci_u32_e32 v20, vcc_lo, s9, v22, vcc_lo
	v_add_co_u32 v14, vcc_lo, s8, v14
	v_add_co_ci_u32_e32 v15, vcc_lo, s9, v15, vcc_lo
	global_load_b32 v32, v[19:20], off
	v_lshlrev_b64 v[21:22], 2, v[5:6]
	global_load_b32 v33, v[14:15], off
	v_add_co_u32 v14, vcc_lo, s8, v21
	v_add_co_ci_u32_e32 v15, vcc_lo, s9, v22, vcc_lo
	global_load_b32 v34, v[14:15], off
	s_waitcnt vmcnt(2)
	v_fmac_f32_e32 v11, v32, v31
	s_waitcnt vmcnt(1)
	v_dual_fmac_f32 v10, v33, v31 :: v_dual_add_nc_u32 v5, 3, v13
	s_delay_alu instid0(VALU_DEP_1) | instskip(SKIP_1) | instid1(VALU_DEP_1)
	v_lshlrev_b64 v[19:20], 2, v[5:6]
	v_add_nc_u32_e32 v5, -4, v3
	v_lshlrev_b64 v[21:22], 2, v[5:6]
	v_add_nc_u32_e32 v5, -3, v3
	s_delay_alu instid0(VALU_DEP_4) | instskip(SKIP_1) | instid1(VALU_DEP_3)
	v_add_co_u32 v19, vcc_lo, s10, v19
	v_add_co_ci_u32_e32 v20, vcc_lo, s11, v20, vcc_lo
	v_lshlrev_b64 v[14:15], 2, v[5:6]
	v_add_nc_u32_e32 v5, -2, v3
	global_load_b32 v35, v[19:20], off
	v_add_co_u32 v19, vcc_lo, s8, v21
	v_add_co_ci_u32_e32 v20, vcc_lo, s9, v22, vcc_lo
	v_lshlrev_b64 v[21:22], 2, v[5:6]
	v_add_nc_u32_e32 v5, 4, v13
	v_add_co_u32 v13, vcc_lo, s8, v14
	v_add_co_ci_u32_e32 v14, vcc_lo, s9, v15, vcc_lo
	s_delay_alu instid0(VALU_DEP_3)
	v_lshlrev_b64 v[15:16], 2, v[5:6]
	v_add_nc_u32_e32 v5, -1, v3
	s_clause 0x1
	global_load_b32 v19, v[19:20], off
	global_load_b32 v20, v[13:14], off
	v_add_co_u32 v13, vcc_lo, s8, v21
	v_lshlrev_b64 v[4:5], 2, v[5:6]
	v_add_co_ci_u32_e32 v14, vcc_lo, s9, v22, vcc_lo
	v_add_co_u32 v15, vcc_lo, s10, v15
	v_add_co_ci_u32_e32 v16, vcc_lo, s11, v16, vcc_lo
	s_delay_alu instid0(VALU_DEP_4)
	v_add_co_u32 v4, vcc_lo, s8, v4
	v_add_co_ci_u32_e32 v5, vcc_lo, s9, v5, vcc_lo
	global_load_b32 v13, v[13:14], off
	global_load_b32 v14, v[15:16], off
	s_clause 0x1
	global_load_b32 v4, v[4:5], off
	global_load_b32 v5, v[17:18], off
	v_cmp_ge_i32_e32 vcc_lo, v7, v12
	v_add_nc_u32_e32 v3, 0xf0, v3
	s_or_b32 s5, vcc_lo, s5
	s_waitcnt vmcnt(5)
	v_fmac_f32_e32 v11, v19, v35
	s_waitcnt vmcnt(4)
	v_dual_fmac_f32 v10, v20, v35 :: v_dual_fmac_f32 v9, v23, v8
	s_waitcnt vmcnt(1)
	s_delay_alu instid0(VALU_DEP_2) | instskip(SKIP_1) | instid1(VALU_DEP_2)
	v_fmac_f32_e32 v11, v4, v14
	s_waitcnt vmcnt(0)
	v_dual_fmac_f32 v10, v5, v14 :: v_dual_fmac_f32 v9, v26, v27
	s_delay_alu instid0(VALU_DEP_1) | instskip(NEXT) | instid1(VALU_DEP_1)
	v_fmac_f32_e32 v9, v30, v31
	v_fmac_f32_e32 v9, v34, v35
	s_delay_alu instid0(VALU_DEP_1)
	v_fmac_f32_e32 v9, v13, v14
	s_and_not1_b32 exec_lo, exec_lo, s5
	s_cbranch_execnz .LBB17_9
; %bb.10:
	s_or_b32 exec_lo, exec_lo, s5
.LBB17_11:
	s_delay_alu instid0(SALU_CYCLE_1) | instskip(NEXT) | instid1(SALU_CYCLE_1)
	s_or_b32 exec_lo, exec_lo, s4
	s_and_not1_b32 vcc_lo, exec_lo, s3
	s_cbranch_vccz .LBB17_13
	s_branch .LBB17_18
.LBB17_12:
                                        ; implicit-def: $vgpr9
                                        ; implicit-def: $vgpr10
                                        ; implicit-def: $vgpr11
.LBB17_13:
	v_dual_mov_b32 v9, 0 :: v_dual_mov_b32 v10, 0
	v_mov_b32_e32 v11, 0
	s_delay_alu instid0(VALU_DEP_3)
	s_and_saveexec_b32 s3, s2
	s_cbranch_execz .LBB17_17
; %bb.14:
	v_mad_u64_u32 v[4:5], null, v2, 15, 14
	v_dual_mov_b32 v7, 0 :: v_dual_mov_b32 v10, 0
	v_mov_b32_e32 v9, 0
	v_mov_b32_e32 v11, 0
	s_mov_b32 s2, 0
.LBB17_15:                              ; =>This Inner Loop Header: Depth=1
	v_ashrrev_i32_e32 v3, 31, v2
	v_dual_mov_b32 v14, v7 :: v_dual_add_nc_u32 v13, -9, v4
	v_dual_mov_b32 v16, v7 :: v_dual_add_nc_u32 v15, -4, v4
	s_delay_alu instid0(VALU_DEP_3) | instskip(SKIP_1) | instid1(VALU_DEP_4)
	v_lshlrev_b64 v[5:6], 2, v[2:3]
	v_add_nc_u32_e32 v2, 16, v2
	v_lshlrev_b64 v[13:14], 2, v[13:14]
	v_mov_b32_e32 v17, v7
	v_lshlrev_b64 v[15:16], 2, v[15:16]
	v_add_co_u32 v5, vcc_lo, s6, v5
	v_add_co_ci_u32_e32 v6, vcc_lo, s7, v6, vcc_lo
	global_load_b32 v3, v[5:6], off
	v_dual_mov_b32 v5, v7 :: v_dual_add_nc_u32 v6, -14, v4
	s_delay_alu instid0(VALU_DEP_1) | instskip(SKIP_1) | instid1(VALU_DEP_3)
	v_lshlrev_b64 v[18:19], 2, v[6:7]
	v_add_nc_u32_e32 v6, -13, v4
	v_lshlrev_b64 v[20:21], 2, v[4:5]
	s_delay_alu instid0(VALU_DEP_2) | instskip(NEXT) | instid1(VALU_DEP_4)
	v_lshlrev_b64 v[5:6], 2, v[6:7]
	v_add_co_u32 v18, vcc_lo, s8, v18
	v_add_co_ci_u32_e32 v19, vcc_lo, s9, v19, vcc_lo
	v_add_co_u32 v13, vcc_lo, s8, v13
	v_add_co_ci_u32_e32 v14, vcc_lo, s9, v14, vcc_lo
	;; [unrolled: 2-line block ×5, first 2 shown]
	s_clause 0x3
	global_load_b32 v8, v[18:19], off
	global_load_b32 v19, v[13:14], off
	;; [unrolled: 1-line block ×4, first 2 shown]
	s_waitcnt vmcnt(4)
	v_subrev_nc_u32_e32 v3, s18, v3
	s_delay_alu instid0(VALU_DEP_1) | instskip(NEXT) | instid1(VALU_DEP_1)
	v_lshl_add_u32 v16, v3, 2, v3
	v_lshlrev_b64 v[13:14], 2, v[16:17]
	s_delay_alu instid0(VALU_DEP_1) | instskip(NEXT) | instid1(VALU_DEP_2)
	v_add_co_u32 v13, vcc_lo, s10, v13
	v_add_co_ci_u32_e32 v14, vcc_lo, s11, v14, vcc_lo
	global_load_b32 v3, v[13:14], off
	v_add_nc_u32_e32 v6, 1, v16
	s_delay_alu instid0(VALU_DEP_1) | instskip(NEXT) | instid1(VALU_DEP_1)
	v_lshlrev_b64 v[17:18], 2, v[6:7]
	v_add_co_u32 v17, vcc_lo, s10, v17
	s_delay_alu instid0(VALU_DEP_2) | instskip(SKIP_3) | instid1(VALU_DEP_1)
	v_add_co_ci_u32_e32 v18, vcc_lo, s11, v18, vcc_lo
	global_load_b32 v26, v[17:18], off
	s_waitcnt vmcnt(1)
	v_dual_fmac_f32 v11, v19, v3 :: v_dual_add_nc_u32 v6, -8, v4
	v_lshlrev_b64 v[22:23], 2, v[6:7]
	v_dual_fmac_f32 v9, v8, v3 :: v_dual_add_nc_u32 v6, -3, v4
	v_fmac_f32_e32 v10, v24, v3
	s_delay_alu instid0(VALU_DEP_3) | instskip(NEXT) | instid1(VALU_DEP_4)
	v_add_co_u32 v17, vcc_lo, s8, v22
	v_add_co_ci_u32_e32 v18, vcc_lo, s9, v23, vcc_lo
	global_load_b32 v27, v[17:18], off
	s_waitcnt vmcnt(1)
	v_fmac_f32_e32 v9, v25, v26
	v_lshlrev_b64 v[13:14], 2, v[6:7]
	s_delay_alu instid0(VALU_DEP_1) | instskip(NEXT) | instid1(VALU_DEP_2)
	v_add_co_u32 v13, vcc_lo, s8, v13
	v_add_co_ci_u32_e32 v14, vcc_lo, s9, v14, vcc_lo
	global_load_b32 v28, v[13:14], off
	s_waitcnt vmcnt(1)
	v_dual_fmac_f32 v11, v27, v26 :: v_dual_add_nc_u32 v6, -12, v4
	s_delay_alu instid0(VALU_DEP_1) | instskip(NEXT) | instid1(VALU_DEP_1)
	v_lshlrev_b64 v[22:23], 2, v[6:7]
	v_add_co_u32 v13, vcc_lo, s8, v22
	s_delay_alu instid0(VALU_DEP_2) | instskip(SKIP_4) | instid1(VALU_DEP_2)
	v_add_co_ci_u32_e32 v14, vcc_lo, s9, v23, vcc_lo
	global_load_b32 v29, v[13:14], off
	v_add_nc_u32_e32 v6, 2, v16
	s_waitcnt vmcnt(1)
	v_fmac_f32_e32 v10, v28, v26
	v_lshlrev_b64 v[17:18], 2, v[6:7]
	s_delay_alu instid0(VALU_DEP_1) | instskip(NEXT) | instid1(VALU_DEP_2)
	v_add_co_u32 v17, vcc_lo, s10, v17
	v_add_co_ci_u32_e32 v18, vcc_lo, s11, v18, vcc_lo
	global_load_b32 v30, v[17:18], off
	v_add_nc_u32_e32 v6, -7, v4
	s_delay_alu instid0(VALU_DEP_1) | instskip(NEXT) | instid1(VALU_DEP_1)
	v_lshlrev_b64 v[22:23], 2, v[6:7]
	v_add_co_u32 v17, vcc_lo, s8, v22
	s_delay_alu instid0(VALU_DEP_2) | instskip(SKIP_3) | instid1(VALU_DEP_1)
	v_add_co_ci_u32_e32 v18, vcc_lo, s9, v23, vcc_lo
	global_load_b32 v31, v[17:18], off
	s_waitcnt vmcnt(1)
	v_dual_fmac_f32 v9, v29, v30 :: v_dual_add_nc_u32 v6, -2, v4
	v_lshlrev_b64 v[13:14], 2, v[6:7]
	s_delay_alu instid0(VALU_DEP_1) | instskip(NEXT) | instid1(VALU_DEP_2)
	v_add_co_u32 v13, vcc_lo, s8, v13
	v_add_co_ci_u32_e32 v14, vcc_lo, s9, v14, vcc_lo
	global_load_b32 v32, v[13:14], off
	s_waitcnt vmcnt(1)
	v_dual_fmac_f32 v11, v31, v30 :: v_dual_add_nc_u32 v6, -11, v4
	s_delay_alu instid0(VALU_DEP_1) | instskip(SKIP_1) | instid1(VALU_DEP_1)
	v_lshlrev_b64 v[22:23], 2, v[6:7]
	v_add_nc_u32_e32 v6, 3, v16
	v_lshlrev_b64 v[17:18], 2, v[6:7]
	v_add_nc_u32_e32 v6, -6, v4
	s_delay_alu instid0(VALU_DEP_4) | instskip(SKIP_1) | instid1(VALU_DEP_3)
	v_add_co_u32 v13, vcc_lo, s8, v22
	v_add_co_ci_u32_e32 v14, vcc_lo, s9, v23, vcc_lo
	v_lshlrev_b64 v[22:23], 2, v[6:7]
	v_add_nc_u32_e32 v6, -1, v4
	v_add_co_u32 v17, vcc_lo, s10, v17
	v_add_co_ci_u32_e32 v18, vcc_lo, s11, v18, vcc_lo
	global_load_b32 v33, v[13:14], off
	v_lshlrev_b64 v[13:14], 2, v[6:7]
	v_add_nc_u32_e32 v6, -10, v4
	global_load_b32 v34, v[17:18], off
	v_add_co_u32 v17, vcc_lo, s8, v22
	v_add_co_ci_u32_e32 v18, vcc_lo, s9, v23, vcc_lo
	v_lshlrev_b64 v[22:23], 2, v[6:7]
	v_add_nc_u32_e32 v6, 4, v16
	v_add_co_u32 v13, vcc_lo, s8, v13
	v_add_co_ci_u32_e32 v14, vcc_lo, s9, v14, vcc_lo
	s_delay_alu instid0(VALU_DEP_3)
	v_lshlrev_b64 v[15:16], 2, v[6:7]
	v_add_nc_u32_e32 v6, -5, v4
	s_clause 0x1
	global_load_b32 v17, v[17:18], off
	global_load_b32 v18, v[13:14], off
	v_add_co_u32 v13, vcc_lo, s8, v22
	v_lshlrev_b64 v[5:6], 2, v[6:7]
	v_add_co_ci_u32_e32 v14, vcc_lo, s9, v23, vcc_lo
	v_add_co_u32 v15, vcc_lo, s10, v15
	v_add_co_ci_u32_e32 v16, vcc_lo, s11, v16, vcc_lo
	s_delay_alu instid0(VALU_DEP_4)
	v_add_co_u32 v5, vcc_lo, s8, v5
	v_add_co_ci_u32_e32 v6, vcc_lo, s9, v6, vcc_lo
	global_load_b32 v13, v[13:14], off
	global_load_b32 v14, v[15:16], off
	s_clause 0x1
	global_load_b32 v5, v[5:6], off
	global_load_b32 v6, v[20:21], off
	v_cmp_ge_i32_e32 vcc_lo, v2, v12
	v_add_nc_u32_e32 v4, 0xf0, v4
	s_or_b32 s2, vcc_lo, s2
	s_waitcnt vmcnt(8)
	v_fmac_f32_e32 v10, v32, v30
	s_waitcnt vmcnt(6)
	v_fmac_f32_e32 v9, v33, v34
	;; [unrolled: 2-line block ×7, first 2 shown]
	s_and_not1_b32 exec_lo, exec_lo, s2
	s_cbranch_execnz .LBB17_15
; %bb.16:
	s_or_b32 exec_lo, exec_lo, s2
.LBB17_17:
	s_delay_alu instid0(SALU_CYCLE_1)
	s_or_b32 exec_lo, exec_lo, s3
.LBB17_18:
	v_mbcnt_lo_u32_b32 v2, -1, 0
	s_mov_b32 s2, -1
	s_delay_alu instid0(VALU_DEP_1) | instskip(SKIP_1) | instid1(VALU_DEP_2)
	v_xor_b32_e32 v3, 8, v2
	v_xor_b32_e32 v6, 4, v2
	v_cmp_gt_i32_e32 vcc_lo, 32, v3
	v_cndmask_b32_e32 v3, v2, v3, vcc_lo
	s_delay_alu instid0(VALU_DEP_3) | instskip(SKIP_1) | instid1(VALU_DEP_1)
	v_cmp_gt_i32_e32 vcc_lo, 32, v6
	v_cndmask_b32_e32 v6, v2, v6, vcc_lo
	v_lshlrev_b32_e32 v6, 2, v6
	s_delay_alu instid0(VALU_DEP_4)
	v_lshlrev_b32_e32 v3, 2, v3
	ds_bpermute_b32 v4, v3, v9
	s_waitcnt lgkmcnt(0)
	v_add_f32_e32 v4, v9, v4
	ds_bpermute_b32 v5, v3, v11
	ds_bpermute_b32 v3, v3, v10
	v_xor_b32_e32 v9, 2, v2
	ds_bpermute_b32 v7, v6, v4
	v_cmp_gt_i32_e32 vcc_lo, 32, v9
	v_cndmask_b32_e32 v9, v2, v9, vcc_lo
	s_waitcnt lgkmcnt(2)
	v_add_f32_e32 v5, v11, v5
	s_waitcnt lgkmcnt(1)
	v_add_f32_e32 v3, v10, v3
	;; [unrolled: 2-line block ×3, first 2 shown]
	ds_bpermute_b32 v8, v6, v5
	ds_bpermute_b32 v6, v6, v3
	v_lshlrev_b32_e32 v9, 2, v9
	s_waitcnt lgkmcnt(0)
	v_dual_add_f32 v5, v5, v8 :: v_dual_add_f32 v6, v3, v6
	ds_bpermute_b32 v3, v9, v4
	ds_bpermute_b32 v7, v9, v5
	;; [unrolled: 1-line block ×3, first 2 shown]
	v_xor_b32_e32 v9, 1, v2
	s_delay_alu instid0(VALU_DEP_1) | instskip(SKIP_3) | instid1(VALU_DEP_2)
	v_cmp_gt_i32_e32 vcc_lo, 32, v9
	v_cndmask_b32_e32 v2, v2, v9, vcc_lo
	v_cmp_eq_u32_e32 vcc_lo, 15, v0
	s_waitcnt lgkmcnt(2)
	v_dual_add_f32 v2, v4, v3 :: v_dual_lshlrev_b32 v9, 2, v2
	s_waitcnt lgkmcnt(0)
	v_dual_add_f32 v3, v5, v7 :: v_dual_add_f32 v4, v6, v8
	ds_bpermute_b32 v5, v9, v2
	ds_bpermute_b32 v6, v9, v3
	;; [unrolled: 1-line block ×3, first 2 shown]
	s_and_b32 exec_lo, exec_lo, vcc_lo
	s_cbranch_execz .LBB17_23
; %bb.19:
	s_load_b64 s[0:1], s[0:1], 0x38
	s_waitcnt lgkmcnt(0)
	v_add_f32_e32 v0, v2, v5
	v_add_f32_e32 v2, v3, v6
	v_add_f32_e32 v4, v4, v7
	v_lshl_add_u32 v3, v1, 1, v1
	v_cmp_eq_f32_e64 s3, s12, 0
	s_delay_alu instid0(VALU_DEP_4) | instskip(NEXT) | instid1(VALU_DEP_4)
	v_dual_mul_f32 v1, s16, v2 :: v_dual_mul_f32 v0, s16, v0
	v_mul_f32_e32 v2, s16, v4
	s_delay_alu instid0(VALU_DEP_4) | instskip(NEXT) | instid1(VALU_DEP_4)
	v_ashrrev_i32_e32 v4, 31, v3
	s_and_b32 vcc_lo, exec_lo, s3
	s_cbranch_vccz .LBB17_21
; %bb.20:
	s_delay_alu instid0(VALU_DEP_1) | instskip(SKIP_1) | instid1(VALU_DEP_1)
	v_lshlrev_b64 v[5:6], 2, v[3:4]
	s_mov_b32 s2, 0
	v_add_co_u32 v5, vcc_lo, s0, v5
	s_delay_alu instid0(VALU_DEP_2)
	v_add_co_ci_u32_e32 v6, vcc_lo, s1, v6, vcc_lo
	global_store_b96 v[5:6], v[0:2], off
.LBB17_21:
	s_and_not1_b32 vcc_lo, exec_lo, s2
	s_cbranch_vccnz .LBB17_23
; %bb.22:
	v_lshlrev_b64 v[3:4], 2, v[3:4]
	s_delay_alu instid0(VALU_DEP_1) | instskip(NEXT) | instid1(VALU_DEP_2)
	v_add_co_u32 v6, vcc_lo, s0, v3
	v_add_co_ci_u32_e32 v7, vcc_lo, s1, v4, vcc_lo
	global_load_b96 v[3:5], v[6:7], off
	s_waitcnt vmcnt(0)
	v_dual_fmac_f32 v0, s12, v3 :: v_dual_fmac_f32 v1, s12, v4
	v_fmac_f32_e32 v2, s12, v5
	global_store_b96 v[6:7], v[0:2], off
.LBB17_23:
	s_nop 0
	s_sendmsg sendmsg(MSG_DEALLOC_VGPRS)
	s_endpgm
	.section	.rodata,"a",@progbits
	.p2align	6, 0x0
	.amdhsa_kernel _ZN9rocsparseL19gebsrmvn_3xn_kernelILj128ELj5ELj16EfEEvi20rocsparse_direction_NS_24const_host_device_scalarIT2_EEPKiS6_PKS3_S8_S4_PS3_21rocsparse_index_base_b
		.amdhsa_group_segment_fixed_size 0
		.amdhsa_private_segment_fixed_size 0
		.amdhsa_kernarg_size 72
		.amdhsa_user_sgpr_count 15
		.amdhsa_user_sgpr_dispatch_ptr 0
		.amdhsa_user_sgpr_queue_ptr 0
		.amdhsa_user_sgpr_kernarg_segment_ptr 1
		.amdhsa_user_sgpr_dispatch_id 0
		.amdhsa_user_sgpr_private_segment_size 0
		.amdhsa_wavefront_size32 1
		.amdhsa_uses_dynamic_stack 0
		.amdhsa_enable_private_segment 0
		.amdhsa_system_sgpr_workgroup_id_x 1
		.amdhsa_system_sgpr_workgroup_id_y 0
		.amdhsa_system_sgpr_workgroup_id_z 0
		.amdhsa_system_sgpr_workgroup_info 0
		.amdhsa_system_vgpr_workitem_id 0
		.amdhsa_next_free_vgpr 36
		.amdhsa_next_free_sgpr 20
		.amdhsa_reserve_vcc 1
		.amdhsa_float_round_mode_32 0
		.amdhsa_float_round_mode_16_64 0
		.amdhsa_float_denorm_mode_32 3
		.amdhsa_float_denorm_mode_16_64 3
		.amdhsa_dx10_clamp 1
		.amdhsa_ieee_mode 1
		.amdhsa_fp16_overflow 0
		.amdhsa_workgroup_processor_mode 1
		.amdhsa_memory_ordered 1
		.amdhsa_forward_progress 0
		.amdhsa_shared_vgpr_count 0
		.amdhsa_exception_fp_ieee_invalid_op 0
		.amdhsa_exception_fp_denorm_src 0
		.amdhsa_exception_fp_ieee_div_zero 0
		.amdhsa_exception_fp_ieee_overflow 0
		.amdhsa_exception_fp_ieee_underflow 0
		.amdhsa_exception_fp_ieee_inexact 0
		.amdhsa_exception_int_div_zero 0
	.end_amdhsa_kernel
	.section	.text._ZN9rocsparseL19gebsrmvn_3xn_kernelILj128ELj5ELj16EfEEvi20rocsparse_direction_NS_24const_host_device_scalarIT2_EEPKiS6_PKS3_S8_S4_PS3_21rocsparse_index_base_b,"axG",@progbits,_ZN9rocsparseL19gebsrmvn_3xn_kernelILj128ELj5ELj16EfEEvi20rocsparse_direction_NS_24const_host_device_scalarIT2_EEPKiS6_PKS3_S8_S4_PS3_21rocsparse_index_base_b,comdat
.Lfunc_end17:
	.size	_ZN9rocsparseL19gebsrmvn_3xn_kernelILj128ELj5ELj16EfEEvi20rocsparse_direction_NS_24const_host_device_scalarIT2_EEPKiS6_PKS3_S8_S4_PS3_21rocsparse_index_base_b, .Lfunc_end17-_ZN9rocsparseL19gebsrmvn_3xn_kernelILj128ELj5ELj16EfEEvi20rocsparse_direction_NS_24const_host_device_scalarIT2_EEPKiS6_PKS3_S8_S4_PS3_21rocsparse_index_base_b
                                        ; -- End function
	.section	.AMDGPU.csdata,"",@progbits
; Kernel info:
; codeLenInByte = 2680
; NumSgprs: 22
; NumVgprs: 36
; ScratchSize: 0
; MemoryBound: 0
; FloatMode: 240
; IeeeMode: 1
; LDSByteSize: 0 bytes/workgroup (compile time only)
; SGPRBlocks: 2
; VGPRBlocks: 4
; NumSGPRsForWavesPerEU: 22
; NumVGPRsForWavesPerEU: 36
; Occupancy: 16
; WaveLimiterHint : 1
; COMPUTE_PGM_RSRC2:SCRATCH_EN: 0
; COMPUTE_PGM_RSRC2:USER_SGPR: 15
; COMPUTE_PGM_RSRC2:TRAP_HANDLER: 0
; COMPUTE_PGM_RSRC2:TGID_X_EN: 1
; COMPUTE_PGM_RSRC2:TGID_Y_EN: 0
; COMPUTE_PGM_RSRC2:TGID_Z_EN: 0
; COMPUTE_PGM_RSRC2:TIDIG_COMP_CNT: 0
	.section	.text._ZN9rocsparseL19gebsrmvn_3xn_kernelILj128ELj5ELj32EfEEvi20rocsparse_direction_NS_24const_host_device_scalarIT2_EEPKiS6_PKS3_S8_S4_PS3_21rocsparse_index_base_b,"axG",@progbits,_ZN9rocsparseL19gebsrmvn_3xn_kernelILj128ELj5ELj32EfEEvi20rocsparse_direction_NS_24const_host_device_scalarIT2_EEPKiS6_PKS3_S8_S4_PS3_21rocsparse_index_base_b,comdat
	.globl	_ZN9rocsparseL19gebsrmvn_3xn_kernelILj128ELj5ELj32EfEEvi20rocsparse_direction_NS_24const_host_device_scalarIT2_EEPKiS6_PKS3_S8_S4_PS3_21rocsparse_index_base_b ; -- Begin function _ZN9rocsparseL19gebsrmvn_3xn_kernelILj128ELj5ELj32EfEEvi20rocsparse_direction_NS_24const_host_device_scalarIT2_EEPKiS6_PKS3_S8_S4_PS3_21rocsparse_index_base_b
	.p2align	8
	.type	_ZN9rocsparseL19gebsrmvn_3xn_kernelILj128ELj5ELj32EfEEvi20rocsparse_direction_NS_24const_host_device_scalarIT2_EEPKiS6_PKS3_S8_S4_PS3_21rocsparse_index_base_b,@function
_ZN9rocsparseL19gebsrmvn_3xn_kernelILj128ELj5ELj32EfEEvi20rocsparse_direction_NS_24const_host_device_scalarIT2_EEPKiS6_PKS3_S8_S4_PS3_21rocsparse_index_base_b: ; @_ZN9rocsparseL19gebsrmvn_3xn_kernelILj128ELj5ELj32EfEEvi20rocsparse_direction_NS_24const_host_device_scalarIT2_EEPKiS6_PKS3_S8_S4_PS3_21rocsparse_index_base_b
; %bb.0:
	s_clause 0x2
	s_load_b64 s[18:19], s[0:1], 0x40
	s_load_b64 s[16:17], s[0:1], 0x8
	;; [unrolled: 1-line block ×3, first 2 shown]
	s_waitcnt lgkmcnt(0)
	s_bitcmp1_b32 s19, 0
	s_cselect_b32 s2, -1, 0
	s_delay_alu instid0(SALU_CYCLE_1)
	s_and_b32 vcc_lo, exec_lo, s2
	s_xor_b32 s2, s2, -1
	s_cbranch_vccnz .LBB18_2
; %bb.1:
	s_load_b32 s16, s[16:17], 0x0
.LBB18_2:
	s_and_not1_b32 vcc_lo, exec_lo, s2
	s_cbranch_vccnz .LBB18_4
; %bb.3:
	s_load_b32 s12, s[12:13], 0x0
.LBB18_4:
	s_waitcnt lgkmcnt(0)
	v_cmp_eq_f32_e64 s2, s16, 0
	v_cmp_eq_f32_e64 s3, s12, 1.0
	s_delay_alu instid0(VALU_DEP_1) | instskip(NEXT) | instid1(SALU_CYCLE_1)
	s_and_b32 s2, s2, s3
	s_and_b32 vcc_lo, exec_lo, s2
	s_cbranch_vccnz .LBB18_23
; %bb.5:
	s_load_b64 s[2:3], s[0:1], 0x0
	v_lshrrev_b32_e32 v1, 5, v0
	s_delay_alu instid0(VALU_DEP_1) | instskip(SKIP_1) | instid1(VALU_DEP_1)
	v_lshl_or_b32 v1, s15, 2, v1
	s_waitcnt lgkmcnt(0)
	v_cmp_gt_i32_e32 vcc_lo, s2, v1
	s_and_saveexec_b32 s2, vcc_lo
	s_cbranch_execz .LBB18_23
; %bb.6:
	s_load_b256 s[4:11], s[0:1], 0x10
	v_ashrrev_i32_e32 v2, 31, v1
	v_and_b32_e32 v0, 31, v0
	s_cmp_lg_u32 s3, 0
	s_delay_alu instid0(VALU_DEP_2) | instskip(SKIP_1) | instid1(VALU_DEP_1)
	v_lshlrev_b64 v[2:3], 2, v[1:2]
	s_waitcnt lgkmcnt(0)
	v_add_co_u32 v2, vcc_lo, s4, v2
	s_delay_alu instid0(VALU_DEP_2) | instskip(SKIP_4) | instid1(VALU_DEP_2)
	v_add_co_ci_u32_e32 v3, vcc_lo, s5, v3, vcc_lo
	global_load_b64 v[2:3], v[2:3], off
	s_waitcnt vmcnt(0)
	v_subrev_nc_u32_e32 v2, s18, v2
	v_subrev_nc_u32_e32 v12, s18, v3
	v_add_nc_u32_e32 v2, v2, v0
	s_delay_alu instid0(VALU_DEP_1)
	v_cmp_lt_i32_e64 s2, v2, v12
	s_cbranch_scc0 .LBB18_12
; %bb.7:
	v_dual_mov_b32 v9, 0 :: v_dual_mov_b32 v10, 0
	v_mov_b32_e32 v11, 0
	s_mov_b32 s3, 0
	s_and_saveexec_b32 s4, s2
	s_cbranch_execz .LBB18_11
; %bb.8:
	v_mad_u64_u32 v[3:4], null, v2, 15, 14
	v_dual_mov_b32 v6, 0 :: v_dual_mov_b32 v7, v2
	v_dual_mov_b32 v9, 0 :: v_dual_mov_b32 v10, 0
	v_mov_b32_e32 v11, 0
	s_mov_b32 s5, 0
.LBB18_9:                               ; =>This Inner Loop Header: Depth=1
	s_delay_alu instid0(VALU_DEP_3) | instskip(SKIP_1) | instid1(VALU_DEP_2)
	v_ashrrev_i32_e32 v8, 31, v7
	v_mov_b32_e32 v14, v6
	v_lshlrev_b64 v[4:5], 2, v[7:8]
	v_add_nc_u32_e32 v7, 32, v7
	s_delay_alu instid0(VALU_DEP_2) | instskip(NEXT) | instid1(VALU_DEP_3)
	v_add_co_u32 v4, vcc_lo, s6, v4
	v_add_co_ci_u32_e32 v5, vcc_lo, s7, v5, vcc_lo
	global_load_b32 v8, v[4:5], off
	v_dual_mov_b32 v4, v6 :: v_dual_add_nc_u32 v5, -14, v3
	s_delay_alu instid0(VALU_DEP_1) | instskip(SKIP_1) | instid1(VALU_DEP_3)
	v_lshlrev_b64 v[15:16], 2, v[5:6]
	v_add_nc_u32_e32 v5, -13, v3
	v_lshlrev_b64 v[17:18], 2, v[3:4]
	s_delay_alu instid0(VALU_DEP_2)
	v_lshlrev_b64 v[19:20], 2, v[5:6]
	v_add_nc_u32_e32 v5, -12, v3
	v_add_co_u32 v15, vcc_lo, s8, v15
	v_add_co_ci_u32_e32 v16, vcc_lo, s9, v16, vcc_lo
	v_add_co_u32 v17, vcc_lo, s8, v17
	v_add_co_ci_u32_e32 v18, vcc_lo, s9, v18, vcc_lo
	v_lshlrev_b64 v[21:22], 2, v[5:6]
	v_add_nc_u32_e32 v5, -11, v3
	v_add_co_u32 v19, vcc_lo, s8, v19
	v_add_co_ci_u32_e32 v20, vcc_lo, s9, v20, vcc_lo
	s_delay_alu instid0(VALU_DEP_3)
	v_lshlrev_b64 v[4:5], 2, v[5:6]
	s_clause 0x1
	global_load_b32 v23, v[15:16], off
	global_load_b32 v24, v[19:20], off
	v_add_co_u32 v15, vcc_lo, s8, v21
	v_add_co_ci_u32_e32 v16, vcc_lo, s9, v22, vcc_lo
	v_add_co_u32 v4, vcc_lo, s8, v4
	v_add_co_ci_u32_e32 v5, vcc_lo, s9, v5, vcc_lo
	s_clause 0x1
	global_load_b32 v25, v[15:16], off
	global_load_b32 v26, v[4:5], off
	s_waitcnt vmcnt(4)
	v_subrev_nc_u32_e32 v4, s18, v8
	s_delay_alu instid0(VALU_DEP_1) | instskip(NEXT) | instid1(VALU_DEP_1)
	v_lshl_add_u32 v13, v4, 2, v4
	v_add_nc_u32_e32 v5, 1, v13
	v_lshlrev_b64 v[14:15], 2, v[13:14]
	s_delay_alu instid0(VALU_DEP_2) | instskip(SKIP_1) | instid1(VALU_DEP_3)
	v_lshlrev_b64 v[19:20], 2, v[5:6]
	v_add_nc_u32_e32 v5, -10, v3
	v_add_co_u32 v14, vcc_lo, s10, v14
	s_delay_alu instid0(VALU_DEP_4) | instskip(NEXT) | instid1(VALU_DEP_4)
	v_add_co_ci_u32_e32 v15, vcc_lo, s11, v15, vcc_lo
	v_add_co_u32 v19, vcc_lo, s10, v19
	s_delay_alu instid0(VALU_DEP_4)
	v_lshlrev_b64 v[21:22], 2, v[5:6]
	v_add_nc_u32_e32 v5, -9, v3
	v_add_co_ci_u32_e32 v20, vcc_lo, s11, v20, vcc_lo
	s_clause 0x1
	global_load_b32 v8, v[14:15], off
	global_load_b32 v27, v[19:20], off
	v_lshlrev_b64 v[14:15], 2, v[5:6]
	v_add_co_u32 v19, vcc_lo, s8, v21
	v_add_co_ci_u32_e32 v20, vcc_lo, s9, v22, vcc_lo
	v_add_nc_u32_e32 v5, -8, v3
	s_delay_alu instid0(VALU_DEP_4)
	v_add_co_u32 v14, vcc_lo, s8, v14
	v_add_co_ci_u32_e32 v15, vcc_lo, s9, v15, vcc_lo
	global_load_b32 v28, v[19:20], off
	v_lshlrev_b64 v[21:22], 2, v[5:6]
	global_load_b32 v29, v[14:15], off
	v_add_co_u32 v14, vcc_lo, s8, v21
	v_add_co_ci_u32_e32 v15, vcc_lo, s9, v22, vcc_lo
	global_load_b32 v30, v[14:15], off
	s_waitcnt vmcnt(4)
	v_fmac_f32_e32 v10, v25, v8
	v_fmac_f32_e32 v11, v24, v8
	s_waitcnt vmcnt(2)
	s_delay_alu instid0(VALU_DEP_1) | instskip(SKIP_2) | instid1(VALU_DEP_1)
	v_fmac_f32_e32 v11, v28, v27
	s_waitcnt vmcnt(1)
	v_dual_fmac_f32 v10, v29, v27 :: v_dual_add_nc_u32 v5, 2, v13
	v_lshlrev_b64 v[19:20], 2, v[5:6]
	v_add_nc_u32_e32 v5, -7, v3
	s_delay_alu instid0(VALU_DEP_1) | instskip(SKIP_1) | instid1(VALU_DEP_4)
	v_lshlrev_b64 v[21:22], 2, v[5:6]
	v_add_nc_u32_e32 v5, -6, v3
	v_add_co_u32 v19, vcc_lo, s10, v19
	v_add_co_ci_u32_e32 v20, vcc_lo, s11, v20, vcc_lo
	s_delay_alu instid0(VALU_DEP_3)
	v_lshlrev_b64 v[14:15], 2, v[5:6]
	v_add_nc_u32_e32 v5, -5, v3
	global_load_b32 v31, v[19:20], off
	v_add_co_u32 v19, vcc_lo, s8, v21
	v_add_co_ci_u32_e32 v20, vcc_lo, s9, v22, vcc_lo
	v_add_co_u32 v14, vcc_lo, s8, v14
	v_add_co_ci_u32_e32 v15, vcc_lo, s9, v15, vcc_lo
	global_load_b32 v32, v[19:20], off
	v_lshlrev_b64 v[21:22], 2, v[5:6]
	global_load_b32 v33, v[14:15], off
	v_add_co_u32 v14, vcc_lo, s8, v21
	v_add_co_ci_u32_e32 v15, vcc_lo, s9, v22, vcc_lo
	global_load_b32 v34, v[14:15], off
	s_waitcnt vmcnt(2)
	v_fmac_f32_e32 v11, v32, v31
	s_waitcnt vmcnt(1)
	v_dual_fmac_f32 v10, v33, v31 :: v_dual_add_nc_u32 v5, 3, v13
	s_delay_alu instid0(VALU_DEP_1) | instskip(SKIP_1) | instid1(VALU_DEP_1)
	v_lshlrev_b64 v[19:20], 2, v[5:6]
	v_add_nc_u32_e32 v5, -4, v3
	v_lshlrev_b64 v[21:22], 2, v[5:6]
	v_add_nc_u32_e32 v5, -3, v3
	s_delay_alu instid0(VALU_DEP_4) | instskip(SKIP_1) | instid1(VALU_DEP_3)
	v_add_co_u32 v19, vcc_lo, s10, v19
	v_add_co_ci_u32_e32 v20, vcc_lo, s11, v20, vcc_lo
	v_lshlrev_b64 v[14:15], 2, v[5:6]
	v_add_nc_u32_e32 v5, -2, v3
	global_load_b32 v35, v[19:20], off
	v_add_co_u32 v19, vcc_lo, s8, v21
	v_add_co_ci_u32_e32 v20, vcc_lo, s9, v22, vcc_lo
	v_lshlrev_b64 v[21:22], 2, v[5:6]
	v_add_nc_u32_e32 v5, 4, v13
	v_add_co_u32 v13, vcc_lo, s8, v14
	v_add_co_ci_u32_e32 v14, vcc_lo, s9, v15, vcc_lo
	s_delay_alu instid0(VALU_DEP_3)
	v_lshlrev_b64 v[15:16], 2, v[5:6]
	v_add_nc_u32_e32 v5, -1, v3
	s_clause 0x1
	global_load_b32 v19, v[19:20], off
	global_load_b32 v20, v[13:14], off
	v_add_co_u32 v13, vcc_lo, s8, v21
	v_lshlrev_b64 v[4:5], 2, v[5:6]
	v_add_co_ci_u32_e32 v14, vcc_lo, s9, v22, vcc_lo
	v_add_co_u32 v15, vcc_lo, s10, v15
	v_add_co_ci_u32_e32 v16, vcc_lo, s11, v16, vcc_lo
	s_delay_alu instid0(VALU_DEP_4)
	v_add_co_u32 v4, vcc_lo, s8, v4
	v_add_co_ci_u32_e32 v5, vcc_lo, s9, v5, vcc_lo
	global_load_b32 v13, v[13:14], off
	global_load_b32 v14, v[15:16], off
	s_clause 0x1
	global_load_b32 v4, v[4:5], off
	global_load_b32 v5, v[17:18], off
	v_cmp_ge_i32_e32 vcc_lo, v7, v12
	v_add_nc_u32_e32 v3, 0x1e0, v3
	s_or_b32 s5, vcc_lo, s5
	s_waitcnt vmcnt(5)
	v_fmac_f32_e32 v11, v19, v35
	s_waitcnt vmcnt(4)
	v_dual_fmac_f32 v10, v20, v35 :: v_dual_fmac_f32 v9, v23, v8
	s_waitcnt vmcnt(1)
	s_delay_alu instid0(VALU_DEP_2) | instskip(SKIP_1) | instid1(VALU_DEP_2)
	v_fmac_f32_e32 v11, v4, v14
	s_waitcnt vmcnt(0)
	v_dual_fmac_f32 v10, v5, v14 :: v_dual_fmac_f32 v9, v26, v27
	s_delay_alu instid0(VALU_DEP_1) | instskip(NEXT) | instid1(VALU_DEP_1)
	v_fmac_f32_e32 v9, v30, v31
	v_fmac_f32_e32 v9, v34, v35
	s_delay_alu instid0(VALU_DEP_1)
	v_fmac_f32_e32 v9, v13, v14
	s_and_not1_b32 exec_lo, exec_lo, s5
	s_cbranch_execnz .LBB18_9
; %bb.10:
	s_or_b32 exec_lo, exec_lo, s5
.LBB18_11:
	s_delay_alu instid0(SALU_CYCLE_1) | instskip(NEXT) | instid1(SALU_CYCLE_1)
	s_or_b32 exec_lo, exec_lo, s4
	s_and_not1_b32 vcc_lo, exec_lo, s3
	s_cbranch_vccz .LBB18_13
	s_branch .LBB18_18
.LBB18_12:
                                        ; implicit-def: $vgpr9
                                        ; implicit-def: $vgpr10
                                        ; implicit-def: $vgpr11
.LBB18_13:
	v_dual_mov_b32 v9, 0 :: v_dual_mov_b32 v10, 0
	v_mov_b32_e32 v11, 0
	s_delay_alu instid0(VALU_DEP_3)
	s_and_saveexec_b32 s3, s2
	s_cbranch_execz .LBB18_17
; %bb.14:
	v_mad_u64_u32 v[4:5], null, v2, 15, 14
	v_dual_mov_b32 v7, 0 :: v_dual_mov_b32 v10, 0
	v_mov_b32_e32 v9, 0
	v_mov_b32_e32 v11, 0
	s_mov_b32 s2, 0
.LBB18_15:                              ; =>This Inner Loop Header: Depth=1
	v_ashrrev_i32_e32 v3, 31, v2
	v_dual_mov_b32 v14, v7 :: v_dual_add_nc_u32 v13, -9, v4
	v_dual_mov_b32 v16, v7 :: v_dual_add_nc_u32 v15, -4, v4
	s_delay_alu instid0(VALU_DEP_3) | instskip(SKIP_1) | instid1(VALU_DEP_4)
	v_lshlrev_b64 v[5:6], 2, v[2:3]
	v_add_nc_u32_e32 v2, 32, v2
	v_lshlrev_b64 v[13:14], 2, v[13:14]
	v_mov_b32_e32 v17, v7
	v_lshlrev_b64 v[15:16], 2, v[15:16]
	v_add_co_u32 v5, vcc_lo, s6, v5
	v_add_co_ci_u32_e32 v6, vcc_lo, s7, v6, vcc_lo
	global_load_b32 v3, v[5:6], off
	v_dual_mov_b32 v5, v7 :: v_dual_add_nc_u32 v6, -14, v4
	s_delay_alu instid0(VALU_DEP_1) | instskip(SKIP_1) | instid1(VALU_DEP_3)
	v_lshlrev_b64 v[18:19], 2, v[6:7]
	v_add_nc_u32_e32 v6, -13, v4
	v_lshlrev_b64 v[20:21], 2, v[4:5]
	s_delay_alu instid0(VALU_DEP_2) | instskip(NEXT) | instid1(VALU_DEP_4)
	v_lshlrev_b64 v[5:6], 2, v[6:7]
	v_add_co_u32 v18, vcc_lo, s8, v18
	v_add_co_ci_u32_e32 v19, vcc_lo, s9, v19, vcc_lo
	v_add_co_u32 v13, vcc_lo, s8, v13
	v_add_co_ci_u32_e32 v14, vcc_lo, s9, v14, vcc_lo
	;; [unrolled: 2-line block ×5, first 2 shown]
	s_clause 0x3
	global_load_b32 v8, v[18:19], off
	global_load_b32 v19, v[13:14], off
	;; [unrolled: 1-line block ×4, first 2 shown]
	s_waitcnt vmcnt(4)
	v_subrev_nc_u32_e32 v3, s18, v3
	s_delay_alu instid0(VALU_DEP_1) | instskip(NEXT) | instid1(VALU_DEP_1)
	v_lshl_add_u32 v16, v3, 2, v3
	v_lshlrev_b64 v[13:14], 2, v[16:17]
	s_delay_alu instid0(VALU_DEP_1) | instskip(NEXT) | instid1(VALU_DEP_2)
	v_add_co_u32 v13, vcc_lo, s10, v13
	v_add_co_ci_u32_e32 v14, vcc_lo, s11, v14, vcc_lo
	global_load_b32 v3, v[13:14], off
	v_add_nc_u32_e32 v6, 1, v16
	s_delay_alu instid0(VALU_DEP_1) | instskip(NEXT) | instid1(VALU_DEP_1)
	v_lshlrev_b64 v[17:18], 2, v[6:7]
	v_add_co_u32 v17, vcc_lo, s10, v17
	s_delay_alu instid0(VALU_DEP_2) | instskip(SKIP_3) | instid1(VALU_DEP_1)
	v_add_co_ci_u32_e32 v18, vcc_lo, s11, v18, vcc_lo
	global_load_b32 v26, v[17:18], off
	s_waitcnt vmcnt(1)
	v_dual_fmac_f32 v11, v19, v3 :: v_dual_add_nc_u32 v6, -8, v4
	v_lshlrev_b64 v[22:23], 2, v[6:7]
	v_dual_fmac_f32 v9, v8, v3 :: v_dual_add_nc_u32 v6, -3, v4
	v_fmac_f32_e32 v10, v24, v3
	s_delay_alu instid0(VALU_DEP_3) | instskip(NEXT) | instid1(VALU_DEP_4)
	v_add_co_u32 v17, vcc_lo, s8, v22
	v_add_co_ci_u32_e32 v18, vcc_lo, s9, v23, vcc_lo
	global_load_b32 v27, v[17:18], off
	s_waitcnt vmcnt(1)
	v_fmac_f32_e32 v9, v25, v26
	v_lshlrev_b64 v[13:14], 2, v[6:7]
	s_delay_alu instid0(VALU_DEP_1) | instskip(NEXT) | instid1(VALU_DEP_2)
	v_add_co_u32 v13, vcc_lo, s8, v13
	v_add_co_ci_u32_e32 v14, vcc_lo, s9, v14, vcc_lo
	global_load_b32 v28, v[13:14], off
	s_waitcnt vmcnt(1)
	v_dual_fmac_f32 v11, v27, v26 :: v_dual_add_nc_u32 v6, -12, v4
	s_delay_alu instid0(VALU_DEP_1) | instskip(NEXT) | instid1(VALU_DEP_1)
	v_lshlrev_b64 v[22:23], 2, v[6:7]
	v_add_co_u32 v13, vcc_lo, s8, v22
	s_delay_alu instid0(VALU_DEP_2) | instskip(SKIP_4) | instid1(VALU_DEP_2)
	v_add_co_ci_u32_e32 v14, vcc_lo, s9, v23, vcc_lo
	global_load_b32 v29, v[13:14], off
	v_add_nc_u32_e32 v6, 2, v16
	s_waitcnt vmcnt(1)
	v_fmac_f32_e32 v10, v28, v26
	v_lshlrev_b64 v[17:18], 2, v[6:7]
	s_delay_alu instid0(VALU_DEP_1) | instskip(NEXT) | instid1(VALU_DEP_2)
	v_add_co_u32 v17, vcc_lo, s10, v17
	v_add_co_ci_u32_e32 v18, vcc_lo, s11, v18, vcc_lo
	global_load_b32 v30, v[17:18], off
	v_add_nc_u32_e32 v6, -7, v4
	s_delay_alu instid0(VALU_DEP_1) | instskip(NEXT) | instid1(VALU_DEP_1)
	v_lshlrev_b64 v[22:23], 2, v[6:7]
	v_add_co_u32 v17, vcc_lo, s8, v22
	s_delay_alu instid0(VALU_DEP_2) | instskip(SKIP_3) | instid1(VALU_DEP_1)
	v_add_co_ci_u32_e32 v18, vcc_lo, s9, v23, vcc_lo
	global_load_b32 v31, v[17:18], off
	s_waitcnt vmcnt(1)
	v_dual_fmac_f32 v9, v29, v30 :: v_dual_add_nc_u32 v6, -2, v4
	v_lshlrev_b64 v[13:14], 2, v[6:7]
	s_delay_alu instid0(VALU_DEP_1) | instskip(NEXT) | instid1(VALU_DEP_2)
	v_add_co_u32 v13, vcc_lo, s8, v13
	v_add_co_ci_u32_e32 v14, vcc_lo, s9, v14, vcc_lo
	global_load_b32 v32, v[13:14], off
	s_waitcnt vmcnt(1)
	v_dual_fmac_f32 v11, v31, v30 :: v_dual_add_nc_u32 v6, -11, v4
	s_delay_alu instid0(VALU_DEP_1) | instskip(SKIP_1) | instid1(VALU_DEP_1)
	v_lshlrev_b64 v[22:23], 2, v[6:7]
	v_add_nc_u32_e32 v6, 3, v16
	v_lshlrev_b64 v[17:18], 2, v[6:7]
	v_add_nc_u32_e32 v6, -6, v4
	s_delay_alu instid0(VALU_DEP_4) | instskip(SKIP_1) | instid1(VALU_DEP_3)
	v_add_co_u32 v13, vcc_lo, s8, v22
	v_add_co_ci_u32_e32 v14, vcc_lo, s9, v23, vcc_lo
	v_lshlrev_b64 v[22:23], 2, v[6:7]
	v_add_nc_u32_e32 v6, -1, v4
	v_add_co_u32 v17, vcc_lo, s10, v17
	v_add_co_ci_u32_e32 v18, vcc_lo, s11, v18, vcc_lo
	global_load_b32 v33, v[13:14], off
	v_lshlrev_b64 v[13:14], 2, v[6:7]
	v_add_nc_u32_e32 v6, -10, v4
	global_load_b32 v34, v[17:18], off
	v_add_co_u32 v17, vcc_lo, s8, v22
	v_add_co_ci_u32_e32 v18, vcc_lo, s9, v23, vcc_lo
	v_lshlrev_b64 v[22:23], 2, v[6:7]
	v_add_nc_u32_e32 v6, 4, v16
	v_add_co_u32 v13, vcc_lo, s8, v13
	v_add_co_ci_u32_e32 v14, vcc_lo, s9, v14, vcc_lo
	s_delay_alu instid0(VALU_DEP_3)
	v_lshlrev_b64 v[15:16], 2, v[6:7]
	v_add_nc_u32_e32 v6, -5, v4
	s_clause 0x1
	global_load_b32 v17, v[17:18], off
	global_load_b32 v18, v[13:14], off
	v_add_co_u32 v13, vcc_lo, s8, v22
	v_lshlrev_b64 v[5:6], 2, v[6:7]
	v_add_co_ci_u32_e32 v14, vcc_lo, s9, v23, vcc_lo
	v_add_co_u32 v15, vcc_lo, s10, v15
	v_add_co_ci_u32_e32 v16, vcc_lo, s11, v16, vcc_lo
	s_delay_alu instid0(VALU_DEP_4)
	v_add_co_u32 v5, vcc_lo, s8, v5
	v_add_co_ci_u32_e32 v6, vcc_lo, s9, v6, vcc_lo
	global_load_b32 v13, v[13:14], off
	global_load_b32 v14, v[15:16], off
	s_clause 0x1
	global_load_b32 v5, v[5:6], off
	global_load_b32 v6, v[20:21], off
	v_cmp_ge_i32_e32 vcc_lo, v2, v12
	v_add_nc_u32_e32 v4, 0x1e0, v4
	s_or_b32 s2, vcc_lo, s2
	s_waitcnt vmcnt(8)
	v_fmac_f32_e32 v10, v32, v30
	s_waitcnt vmcnt(6)
	v_fmac_f32_e32 v9, v33, v34
	;; [unrolled: 2-line block ×7, first 2 shown]
	s_and_not1_b32 exec_lo, exec_lo, s2
	s_cbranch_execnz .LBB18_15
; %bb.16:
	s_or_b32 exec_lo, exec_lo, s2
.LBB18_17:
	s_delay_alu instid0(SALU_CYCLE_1)
	s_or_b32 exec_lo, exec_lo, s3
.LBB18_18:
	v_mbcnt_lo_u32_b32 v2, -1, 0
	s_mov_b32 s2, -1
	s_delay_alu instid0(VALU_DEP_1) | instskip(SKIP_1) | instid1(VALU_DEP_2)
	v_xor_b32_e32 v3, 16, v2
	v_xor_b32_e32 v6, 8, v2
	v_cmp_gt_i32_e32 vcc_lo, 32, v3
	v_cndmask_b32_e32 v3, v2, v3, vcc_lo
	s_delay_alu instid0(VALU_DEP_3) | instskip(SKIP_1) | instid1(VALU_DEP_1)
	v_cmp_gt_i32_e32 vcc_lo, 32, v6
	v_cndmask_b32_e32 v6, v2, v6, vcc_lo
	v_lshlrev_b32_e32 v6, 2, v6
	s_delay_alu instid0(VALU_DEP_4)
	v_lshlrev_b32_e32 v3, 2, v3
	ds_bpermute_b32 v4, v3, v9
	s_waitcnt lgkmcnt(0)
	v_add_f32_e32 v4, v9, v4
	ds_bpermute_b32 v5, v3, v11
	ds_bpermute_b32 v3, v3, v10
	v_xor_b32_e32 v9, 4, v2
	ds_bpermute_b32 v7, v6, v4
	v_cmp_gt_i32_e32 vcc_lo, 32, v9
	v_cndmask_b32_e32 v9, v2, v9, vcc_lo
	s_waitcnt lgkmcnt(0)
	v_dual_add_f32 v5, v11, v5 :: v_dual_add_f32 v4, v4, v7
	v_add_f32_e32 v3, v10, v3
	ds_bpermute_b32 v8, v6, v5
	ds_bpermute_b32 v6, v6, v3
	s_waitcnt lgkmcnt(1)
	v_add_f32_e32 v5, v5, v8
	s_waitcnt lgkmcnt(0)
	v_add_f32_e32 v3, v3, v6
	v_lshlrev_b32_e32 v9, 2, v9
	ds_bpermute_b32 v6, v9, v4
	ds_bpermute_b32 v8, v9, v3
	s_waitcnt lgkmcnt(1)
	v_add_f32_e32 v4, v4, v6
	s_waitcnt lgkmcnt(0)
	v_add_f32_e32 v6, v3, v8
	ds_bpermute_b32 v7, v9, v5
	v_xor_b32_e32 v9, 2, v2
	s_delay_alu instid0(VALU_DEP_1) | instskip(SKIP_1) | instid1(VALU_DEP_1)
	v_cmp_gt_i32_e32 vcc_lo, 32, v9
	v_cndmask_b32_e32 v9, v2, v9, vcc_lo
	v_lshlrev_b32_e32 v9, 2, v9
	s_waitcnt lgkmcnt(0)
	v_add_f32_e32 v5, v5, v7
	ds_bpermute_b32 v3, v9, v4
	ds_bpermute_b32 v8, v9, v6
	;; [unrolled: 1-line block ×3, first 2 shown]
	v_xor_b32_e32 v9, 1, v2
	s_delay_alu instid0(VALU_DEP_1) | instskip(SKIP_3) | instid1(VALU_DEP_2)
	v_cmp_gt_i32_e32 vcc_lo, 32, v9
	v_cndmask_b32_e32 v2, v2, v9, vcc_lo
	v_cmp_eq_u32_e32 vcc_lo, 31, v0
	s_waitcnt lgkmcnt(2)
	v_dual_add_f32 v2, v4, v3 :: v_dual_lshlrev_b32 v9, 2, v2
	s_waitcnt lgkmcnt(0)
	v_dual_add_f32 v4, v6, v8 :: v_dual_add_f32 v3, v5, v7
	ds_bpermute_b32 v5, v9, v2
	ds_bpermute_b32 v7, v9, v4
	;; [unrolled: 1-line block ×3, first 2 shown]
	s_and_b32 exec_lo, exec_lo, vcc_lo
	s_cbranch_execz .LBB18_23
; %bb.19:
	s_load_b64 s[0:1], s[0:1], 0x38
	s_waitcnt lgkmcnt(0)
	v_add_f32_e32 v0, v2, v5
	v_add_f32_e32 v2, v3, v6
	;; [unrolled: 1-line block ×3, first 2 shown]
	v_lshl_add_u32 v3, v1, 1, v1
	v_cmp_eq_f32_e64 s3, s12, 0
	s_delay_alu instid0(VALU_DEP_4) | instskip(NEXT) | instid1(VALU_DEP_4)
	v_dual_mul_f32 v1, s16, v2 :: v_dual_mul_f32 v0, s16, v0
	v_mul_f32_e32 v2, s16, v4
	s_delay_alu instid0(VALU_DEP_4) | instskip(NEXT) | instid1(VALU_DEP_4)
	v_ashrrev_i32_e32 v4, 31, v3
	s_and_b32 vcc_lo, exec_lo, s3
	s_cbranch_vccz .LBB18_21
; %bb.20:
	s_delay_alu instid0(VALU_DEP_1) | instskip(SKIP_1) | instid1(VALU_DEP_1)
	v_lshlrev_b64 v[5:6], 2, v[3:4]
	s_mov_b32 s2, 0
	v_add_co_u32 v5, vcc_lo, s0, v5
	s_delay_alu instid0(VALU_DEP_2)
	v_add_co_ci_u32_e32 v6, vcc_lo, s1, v6, vcc_lo
	global_store_b96 v[5:6], v[0:2], off
.LBB18_21:
	s_and_not1_b32 vcc_lo, exec_lo, s2
	s_cbranch_vccnz .LBB18_23
; %bb.22:
	v_lshlrev_b64 v[3:4], 2, v[3:4]
	s_delay_alu instid0(VALU_DEP_1) | instskip(NEXT) | instid1(VALU_DEP_2)
	v_add_co_u32 v6, vcc_lo, s0, v3
	v_add_co_ci_u32_e32 v7, vcc_lo, s1, v4, vcc_lo
	global_load_b96 v[3:5], v[6:7], off
	s_waitcnt vmcnt(0)
	v_dual_fmac_f32 v0, s12, v3 :: v_dual_fmac_f32 v1, s12, v4
	v_fmac_f32_e32 v2, s12, v5
	global_store_b96 v[6:7], v[0:2], off
.LBB18_23:
	s_nop 0
	s_sendmsg sendmsg(MSG_DEALLOC_VGPRS)
	s_endpgm
	.section	.rodata,"a",@progbits
	.p2align	6, 0x0
	.amdhsa_kernel _ZN9rocsparseL19gebsrmvn_3xn_kernelILj128ELj5ELj32EfEEvi20rocsparse_direction_NS_24const_host_device_scalarIT2_EEPKiS6_PKS3_S8_S4_PS3_21rocsparse_index_base_b
		.amdhsa_group_segment_fixed_size 0
		.amdhsa_private_segment_fixed_size 0
		.amdhsa_kernarg_size 72
		.amdhsa_user_sgpr_count 15
		.amdhsa_user_sgpr_dispatch_ptr 0
		.amdhsa_user_sgpr_queue_ptr 0
		.amdhsa_user_sgpr_kernarg_segment_ptr 1
		.amdhsa_user_sgpr_dispatch_id 0
		.amdhsa_user_sgpr_private_segment_size 0
		.amdhsa_wavefront_size32 1
		.amdhsa_uses_dynamic_stack 0
		.amdhsa_enable_private_segment 0
		.amdhsa_system_sgpr_workgroup_id_x 1
		.amdhsa_system_sgpr_workgroup_id_y 0
		.amdhsa_system_sgpr_workgroup_id_z 0
		.amdhsa_system_sgpr_workgroup_info 0
		.amdhsa_system_vgpr_workitem_id 0
		.amdhsa_next_free_vgpr 36
		.amdhsa_next_free_sgpr 20
		.amdhsa_reserve_vcc 1
		.amdhsa_float_round_mode_32 0
		.amdhsa_float_round_mode_16_64 0
		.amdhsa_float_denorm_mode_32 3
		.amdhsa_float_denorm_mode_16_64 3
		.amdhsa_dx10_clamp 1
		.amdhsa_ieee_mode 1
		.amdhsa_fp16_overflow 0
		.amdhsa_workgroup_processor_mode 1
		.amdhsa_memory_ordered 1
		.amdhsa_forward_progress 0
		.amdhsa_shared_vgpr_count 0
		.amdhsa_exception_fp_ieee_invalid_op 0
		.amdhsa_exception_fp_denorm_src 0
		.amdhsa_exception_fp_ieee_div_zero 0
		.amdhsa_exception_fp_ieee_overflow 0
		.amdhsa_exception_fp_ieee_underflow 0
		.amdhsa_exception_fp_ieee_inexact 0
		.amdhsa_exception_int_div_zero 0
	.end_amdhsa_kernel
	.section	.text._ZN9rocsparseL19gebsrmvn_3xn_kernelILj128ELj5ELj32EfEEvi20rocsparse_direction_NS_24const_host_device_scalarIT2_EEPKiS6_PKS3_S8_S4_PS3_21rocsparse_index_base_b,"axG",@progbits,_ZN9rocsparseL19gebsrmvn_3xn_kernelILj128ELj5ELj32EfEEvi20rocsparse_direction_NS_24const_host_device_scalarIT2_EEPKiS6_PKS3_S8_S4_PS3_21rocsparse_index_base_b,comdat
.Lfunc_end18:
	.size	_ZN9rocsparseL19gebsrmvn_3xn_kernelILj128ELj5ELj32EfEEvi20rocsparse_direction_NS_24const_host_device_scalarIT2_EEPKiS6_PKS3_S8_S4_PS3_21rocsparse_index_base_b, .Lfunc_end18-_ZN9rocsparseL19gebsrmvn_3xn_kernelILj128ELj5ELj32EfEEvi20rocsparse_direction_NS_24const_host_device_scalarIT2_EEPKiS6_PKS3_S8_S4_PS3_21rocsparse_index_base_b
                                        ; -- End function
	.section	.AMDGPU.csdata,"",@progbits
; Kernel info:
; codeLenInByte = 2744
; NumSgprs: 22
; NumVgprs: 36
; ScratchSize: 0
; MemoryBound: 0
; FloatMode: 240
; IeeeMode: 1
; LDSByteSize: 0 bytes/workgroup (compile time only)
; SGPRBlocks: 2
; VGPRBlocks: 4
; NumSGPRsForWavesPerEU: 22
; NumVGPRsForWavesPerEU: 36
; Occupancy: 16
; WaveLimiterHint : 1
; COMPUTE_PGM_RSRC2:SCRATCH_EN: 0
; COMPUTE_PGM_RSRC2:USER_SGPR: 15
; COMPUTE_PGM_RSRC2:TRAP_HANDLER: 0
; COMPUTE_PGM_RSRC2:TGID_X_EN: 1
; COMPUTE_PGM_RSRC2:TGID_Y_EN: 0
; COMPUTE_PGM_RSRC2:TGID_Z_EN: 0
; COMPUTE_PGM_RSRC2:TIDIG_COMP_CNT: 0
	.section	.text._ZN9rocsparseL19gebsrmvn_3xn_kernelILj128ELj5ELj64EfEEvi20rocsparse_direction_NS_24const_host_device_scalarIT2_EEPKiS6_PKS3_S8_S4_PS3_21rocsparse_index_base_b,"axG",@progbits,_ZN9rocsparseL19gebsrmvn_3xn_kernelILj128ELj5ELj64EfEEvi20rocsparse_direction_NS_24const_host_device_scalarIT2_EEPKiS6_PKS3_S8_S4_PS3_21rocsparse_index_base_b,comdat
	.globl	_ZN9rocsparseL19gebsrmvn_3xn_kernelILj128ELj5ELj64EfEEvi20rocsparse_direction_NS_24const_host_device_scalarIT2_EEPKiS6_PKS3_S8_S4_PS3_21rocsparse_index_base_b ; -- Begin function _ZN9rocsparseL19gebsrmvn_3xn_kernelILj128ELj5ELj64EfEEvi20rocsparse_direction_NS_24const_host_device_scalarIT2_EEPKiS6_PKS3_S8_S4_PS3_21rocsparse_index_base_b
	.p2align	8
	.type	_ZN9rocsparseL19gebsrmvn_3xn_kernelILj128ELj5ELj64EfEEvi20rocsparse_direction_NS_24const_host_device_scalarIT2_EEPKiS6_PKS3_S8_S4_PS3_21rocsparse_index_base_b,@function
_ZN9rocsparseL19gebsrmvn_3xn_kernelILj128ELj5ELj64EfEEvi20rocsparse_direction_NS_24const_host_device_scalarIT2_EEPKiS6_PKS3_S8_S4_PS3_21rocsparse_index_base_b: ; @_ZN9rocsparseL19gebsrmvn_3xn_kernelILj128ELj5ELj64EfEEvi20rocsparse_direction_NS_24const_host_device_scalarIT2_EEPKiS6_PKS3_S8_S4_PS3_21rocsparse_index_base_b
; %bb.0:
	s_clause 0x2
	s_load_b64 s[18:19], s[0:1], 0x40
	s_load_b64 s[16:17], s[0:1], 0x8
	;; [unrolled: 1-line block ×3, first 2 shown]
	s_waitcnt lgkmcnt(0)
	s_bitcmp1_b32 s19, 0
	s_cselect_b32 s2, -1, 0
	s_delay_alu instid0(SALU_CYCLE_1)
	s_and_b32 vcc_lo, exec_lo, s2
	s_xor_b32 s2, s2, -1
	s_cbranch_vccnz .LBB19_2
; %bb.1:
	s_load_b32 s16, s[16:17], 0x0
.LBB19_2:
	s_and_not1_b32 vcc_lo, exec_lo, s2
	s_cbranch_vccnz .LBB19_4
; %bb.3:
	s_load_b32 s12, s[12:13], 0x0
.LBB19_4:
	s_waitcnt lgkmcnt(0)
	v_cmp_eq_f32_e64 s2, s16, 0
	v_cmp_eq_f32_e64 s3, s12, 1.0
	s_delay_alu instid0(VALU_DEP_1) | instskip(NEXT) | instid1(SALU_CYCLE_1)
	s_and_b32 s2, s2, s3
	s_and_b32 vcc_lo, exec_lo, s2
	s_cbranch_vccnz .LBB19_23
; %bb.5:
	s_load_b64 s[2:3], s[0:1], 0x0
	v_lshrrev_b32_e32 v1, 6, v0
	s_delay_alu instid0(VALU_DEP_1) | instskip(SKIP_1) | instid1(VALU_DEP_1)
	v_lshl_or_b32 v1, s15, 1, v1
	s_waitcnt lgkmcnt(0)
	v_cmp_gt_i32_e32 vcc_lo, s2, v1
	s_and_saveexec_b32 s2, vcc_lo
	s_cbranch_execz .LBB19_23
; %bb.6:
	s_load_b256 s[4:11], s[0:1], 0x10
	v_ashrrev_i32_e32 v2, 31, v1
	v_and_b32_e32 v0, 63, v0
	s_cmp_lg_u32 s3, 0
	s_delay_alu instid0(VALU_DEP_2) | instskip(SKIP_1) | instid1(VALU_DEP_1)
	v_lshlrev_b64 v[2:3], 2, v[1:2]
	s_waitcnt lgkmcnt(0)
	v_add_co_u32 v2, vcc_lo, s4, v2
	s_delay_alu instid0(VALU_DEP_2) | instskip(SKIP_4) | instid1(VALU_DEP_2)
	v_add_co_ci_u32_e32 v3, vcc_lo, s5, v3, vcc_lo
	global_load_b64 v[2:3], v[2:3], off
	s_waitcnt vmcnt(0)
	v_subrev_nc_u32_e32 v2, s18, v2
	v_subrev_nc_u32_e32 v12, s18, v3
	v_add_nc_u32_e32 v2, v2, v0
	s_delay_alu instid0(VALU_DEP_1)
	v_cmp_lt_i32_e64 s2, v2, v12
	s_cbranch_scc0 .LBB19_12
; %bb.7:
	v_dual_mov_b32 v9, 0 :: v_dual_mov_b32 v10, 0
	v_mov_b32_e32 v11, 0
	s_mov_b32 s3, 0
	s_and_saveexec_b32 s4, s2
	s_cbranch_execz .LBB19_11
; %bb.8:
	v_mad_u64_u32 v[3:4], null, v2, 15, 14
	v_dual_mov_b32 v6, 0 :: v_dual_mov_b32 v7, v2
	v_dual_mov_b32 v9, 0 :: v_dual_mov_b32 v10, 0
	v_mov_b32_e32 v11, 0
	s_mov_b32 s5, 0
.LBB19_9:                               ; =>This Inner Loop Header: Depth=1
	s_delay_alu instid0(VALU_DEP_3) | instskip(SKIP_1) | instid1(VALU_DEP_2)
	v_ashrrev_i32_e32 v8, 31, v7
	v_mov_b32_e32 v14, v6
	v_lshlrev_b64 v[4:5], 2, v[7:8]
	v_add_nc_u32_e32 v7, 64, v7
	s_delay_alu instid0(VALU_DEP_2) | instskip(NEXT) | instid1(VALU_DEP_3)
	v_add_co_u32 v4, vcc_lo, s6, v4
	v_add_co_ci_u32_e32 v5, vcc_lo, s7, v5, vcc_lo
	global_load_b32 v8, v[4:5], off
	v_dual_mov_b32 v4, v6 :: v_dual_add_nc_u32 v5, -14, v3
	s_delay_alu instid0(VALU_DEP_1) | instskip(SKIP_1) | instid1(VALU_DEP_3)
	v_lshlrev_b64 v[15:16], 2, v[5:6]
	v_add_nc_u32_e32 v5, -13, v3
	v_lshlrev_b64 v[17:18], 2, v[3:4]
	s_delay_alu instid0(VALU_DEP_2)
	v_lshlrev_b64 v[19:20], 2, v[5:6]
	v_add_nc_u32_e32 v5, -12, v3
	v_add_co_u32 v15, vcc_lo, s8, v15
	v_add_co_ci_u32_e32 v16, vcc_lo, s9, v16, vcc_lo
	v_add_co_u32 v17, vcc_lo, s8, v17
	v_add_co_ci_u32_e32 v18, vcc_lo, s9, v18, vcc_lo
	v_lshlrev_b64 v[21:22], 2, v[5:6]
	v_add_nc_u32_e32 v5, -11, v3
	v_add_co_u32 v19, vcc_lo, s8, v19
	v_add_co_ci_u32_e32 v20, vcc_lo, s9, v20, vcc_lo
	s_delay_alu instid0(VALU_DEP_3)
	v_lshlrev_b64 v[4:5], 2, v[5:6]
	s_clause 0x1
	global_load_b32 v23, v[15:16], off
	global_load_b32 v24, v[19:20], off
	v_add_co_u32 v15, vcc_lo, s8, v21
	v_add_co_ci_u32_e32 v16, vcc_lo, s9, v22, vcc_lo
	v_add_co_u32 v4, vcc_lo, s8, v4
	v_add_co_ci_u32_e32 v5, vcc_lo, s9, v5, vcc_lo
	s_clause 0x1
	global_load_b32 v25, v[15:16], off
	global_load_b32 v26, v[4:5], off
	s_waitcnt vmcnt(4)
	v_subrev_nc_u32_e32 v4, s18, v8
	s_delay_alu instid0(VALU_DEP_1) | instskip(NEXT) | instid1(VALU_DEP_1)
	v_lshl_add_u32 v13, v4, 2, v4
	v_add_nc_u32_e32 v5, 1, v13
	v_lshlrev_b64 v[14:15], 2, v[13:14]
	s_delay_alu instid0(VALU_DEP_2) | instskip(SKIP_1) | instid1(VALU_DEP_3)
	v_lshlrev_b64 v[19:20], 2, v[5:6]
	v_add_nc_u32_e32 v5, -10, v3
	v_add_co_u32 v14, vcc_lo, s10, v14
	s_delay_alu instid0(VALU_DEP_4) | instskip(NEXT) | instid1(VALU_DEP_4)
	v_add_co_ci_u32_e32 v15, vcc_lo, s11, v15, vcc_lo
	v_add_co_u32 v19, vcc_lo, s10, v19
	s_delay_alu instid0(VALU_DEP_4)
	v_lshlrev_b64 v[21:22], 2, v[5:6]
	v_add_nc_u32_e32 v5, -9, v3
	v_add_co_ci_u32_e32 v20, vcc_lo, s11, v20, vcc_lo
	s_clause 0x1
	global_load_b32 v8, v[14:15], off
	global_load_b32 v27, v[19:20], off
	v_lshlrev_b64 v[14:15], 2, v[5:6]
	v_add_co_u32 v19, vcc_lo, s8, v21
	v_add_co_ci_u32_e32 v20, vcc_lo, s9, v22, vcc_lo
	v_add_nc_u32_e32 v5, -8, v3
	s_delay_alu instid0(VALU_DEP_4)
	v_add_co_u32 v14, vcc_lo, s8, v14
	v_add_co_ci_u32_e32 v15, vcc_lo, s9, v15, vcc_lo
	global_load_b32 v28, v[19:20], off
	v_lshlrev_b64 v[21:22], 2, v[5:6]
	global_load_b32 v29, v[14:15], off
	v_add_co_u32 v14, vcc_lo, s8, v21
	v_add_co_ci_u32_e32 v15, vcc_lo, s9, v22, vcc_lo
	global_load_b32 v30, v[14:15], off
	s_waitcnt vmcnt(4)
	v_fmac_f32_e32 v10, v25, v8
	v_fmac_f32_e32 v11, v24, v8
	s_waitcnt vmcnt(2)
	s_delay_alu instid0(VALU_DEP_1) | instskip(SKIP_2) | instid1(VALU_DEP_1)
	v_fmac_f32_e32 v11, v28, v27
	s_waitcnt vmcnt(1)
	v_dual_fmac_f32 v10, v29, v27 :: v_dual_add_nc_u32 v5, 2, v13
	v_lshlrev_b64 v[19:20], 2, v[5:6]
	v_add_nc_u32_e32 v5, -7, v3
	s_delay_alu instid0(VALU_DEP_1) | instskip(SKIP_1) | instid1(VALU_DEP_4)
	v_lshlrev_b64 v[21:22], 2, v[5:6]
	v_add_nc_u32_e32 v5, -6, v3
	v_add_co_u32 v19, vcc_lo, s10, v19
	v_add_co_ci_u32_e32 v20, vcc_lo, s11, v20, vcc_lo
	s_delay_alu instid0(VALU_DEP_3)
	v_lshlrev_b64 v[14:15], 2, v[5:6]
	v_add_nc_u32_e32 v5, -5, v3
	global_load_b32 v31, v[19:20], off
	v_add_co_u32 v19, vcc_lo, s8, v21
	v_add_co_ci_u32_e32 v20, vcc_lo, s9, v22, vcc_lo
	v_add_co_u32 v14, vcc_lo, s8, v14
	v_add_co_ci_u32_e32 v15, vcc_lo, s9, v15, vcc_lo
	global_load_b32 v32, v[19:20], off
	v_lshlrev_b64 v[21:22], 2, v[5:6]
	global_load_b32 v33, v[14:15], off
	v_add_co_u32 v14, vcc_lo, s8, v21
	v_add_co_ci_u32_e32 v15, vcc_lo, s9, v22, vcc_lo
	global_load_b32 v34, v[14:15], off
	s_waitcnt vmcnt(2)
	v_fmac_f32_e32 v11, v32, v31
	s_waitcnt vmcnt(1)
	v_dual_fmac_f32 v10, v33, v31 :: v_dual_add_nc_u32 v5, 3, v13
	s_delay_alu instid0(VALU_DEP_1) | instskip(SKIP_1) | instid1(VALU_DEP_1)
	v_lshlrev_b64 v[19:20], 2, v[5:6]
	v_add_nc_u32_e32 v5, -4, v3
	v_lshlrev_b64 v[21:22], 2, v[5:6]
	v_add_nc_u32_e32 v5, -3, v3
	s_delay_alu instid0(VALU_DEP_4) | instskip(SKIP_1) | instid1(VALU_DEP_3)
	v_add_co_u32 v19, vcc_lo, s10, v19
	v_add_co_ci_u32_e32 v20, vcc_lo, s11, v20, vcc_lo
	v_lshlrev_b64 v[14:15], 2, v[5:6]
	v_add_nc_u32_e32 v5, -2, v3
	global_load_b32 v35, v[19:20], off
	v_add_co_u32 v19, vcc_lo, s8, v21
	v_add_co_ci_u32_e32 v20, vcc_lo, s9, v22, vcc_lo
	v_lshlrev_b64 v[21:22], 2, v[5:6]
	v_add_nc_u32_e32 v5, 4, v13
	v_add_co_u32 v13, vcc_lo, s8, v14
	v_add_co_ci_u32_e32 v14, vcc_lo, s9, v15, vcc_lo
	s_delay_alu instid0(VALU_DEP_3)
	v_lshlrev_b64 v[15:16], 2, v[5:6]
	v_add_nc_u32_e32 v5, -1, v3
	s_clause 0x1
	global_load_b32 v19, v[19:20], off
	global_load_b32 v20, v[13:14], off
	v_add_co_u32 v13, vcc_lo, s8, v21
	v_lshlrev_b64 v[4:5], 2, v[5:6]
	v_add_co_ci_u32_e32 v14, vcc_lo, s9, v22, vcc_lo
	v_add_co_u32 v15, vcc_lo, s10, v15
	v_add_co_ci_u32_e32 v16, vcc_lo, s11, v16, vcc_lo
	s_delay_alu instid0(VALU_DEP_4)
	v_add_co_u32 v4, vcc_lo, s8, v4
	v_add_co_ci_u32_e32 v5, vcc_lo, s9, v5, vcc_lo
	global_load_b32 v13, v[13:14], off
	global_load_b32 v14, v[15:16], off
	s_clause 0x1
	global_load_b32 v4, v[4:5], off
	global_load_b32 v5, v[17:18], off
	v_cmp_ge_i32_e32 vcc_lo, v7, v12
	v_add_nc_u32_e32 v3, 0x3c0, v3
	s_or_b32 s5, vcc_lo, s5
	s_waitcnt vmcnt(5)
	v_fmac_f32_e32 v11, v19, v35
	s_waitcnt vmcnt(4)
	v_dual_fmac_f32 v10, v20, v35 :: v_dual_fmac_f32 v9, v23, v8
	s_waitcnt vmcnt(1)
	s_delay_alu instid0(VALU_DEP_2) | instskip(SKIP_1) | instid1(VALU_DEP_2)
	v_fmac_f32_e32 v11, v4, v14
	s_waitcnt vmcnt(0)
	v_dual_fmac_f32 v10, v5, v14 :: v_dual_fmac_f32 v9, v26, v27
	s_delay_alu instid0(VALU_DEP_1) | instskip(NEXT) | instid1(VALU_DEP_1)
	v_fmac_f32_e32 v9, v30, v31
	v_fmac_f32_e32 v9, v34, v35
	s_delay_alu instid0(VALU_DEP_1)
	v_fmac_f32_e32 v9, v13, v14
	s_and_not1_b32 exec_lo, exec_lo, s5
	s_cbranch_execnz .LBB19_9
; %bb.10:
	s_or_b32 exec_lo, exec_lo, s5
.LBB19_11:
	s_delay_alu instid0(SALU_CYCLE_1) | instskip(NEXT) | instid1(SALU_CYCLE_1)
	s_or_b32 exec_lo, exec_lo, s4
	s_and_not1_b32 vcc_lo, exec_lo, s3
	s_cbranch_vccz .LBB19_13
	s_branch .LBB19_18
.LBB19_12:
                                        ; implicit-def: $vgpr9
                                        ; implicit-def: $vgpr10
                                        ; implicit-def: $vgpr11
.LBB19_13:
	v_dual_mov_b32 v9, 0 :: v_dual_mov_b32 v10, 0
	v_mov_b32_e32 v11, 0
	s_delay_alu instid0(VALU_DEP_3)
	s_and_saveexec_b32 s3, s2
	s_cbranch_execz .LBB19_17
; %bb.14:
	v_mad_u64_u32 v[4:5], null, v2, 15, 14
	v_dual_mov_b32 v7, 0 :: v_dual_mov_b32 v10, 0
	v_mov_b32_e32 v9, 0
	v_mov_b32_e32 v11, 0
	s_mov_b32 s2, 0
.LBB19_15:                              ; =>This Inner Loop Header: Depth=1
	v_ashrrev_i32_e32 v3, 31, v2
	v_dual_mov_b32 v14, v7 :: v_dual_add_nc_u32 v13, -9, v4
	v_dual_mov_b32 v16, v7 :: v_dual_add_nc_u32 v15, -4, v4
	s_delay_alu instid0(VALU_DEP_3) | instskip(SKIP_1) | instid1(VALU_DEP_4)
	v_lshlrev_b64 v[5:6], 2, v[2:3]
	v_add_nc_u32_e32 v2, 64, v2
	v_lshlrev_b64 v[13:14], 2, v[13:14]
	v_mov_b32_e32 v17, v7
	v_lshlrev_b64 v[15:16], 2, v[15:16]
	v_add_co_u32 v5, vcc_lo, s6, v5
	v_add_co_ci_u32_e32 v6, vcc_lo, s7, v6, vcc_lo
	global_load_b32 v3, v[5:6], off
	v_dual_mov_b32 v5, v7 :: v_dual_add_nc_u32 v6, -14, v4
	s_delay_alu instid0(VALU_DEP_1) | instskip(SKIP_1) | instid1(VALU_DEP_3)
	v_lshlrev_b64 v[18:19], 2, v[6:7]
	v_add_nc_u32_e32 v6, -13, v4
	v_lshlrev_b64 v[20:21], 2, v[4:5]
	s_delay_alu instid0(VALU_DEP_2) | instskip(NEXT) | instid1(VALU_DEP_4)
	v_lshlrev_b64 v[5:6], 2, v[6:7]
	v_add_co_u32 v18, vcc_lo, s8, v18
	v_add_co_ci_u32_e32 v19, vcc_lo, s9, v19, vcc_lo
	v_add_co_u32 v13, vcc_lo, s8, v13
	v_add_co_ci_u32_e32 v14, vcc_lo, s9, v14, vcc_lo
	;; [unrolled: 2-line block ×5, first 2 shown]
	s_clause 0x3
	global_load_b32 v8, v[18:19], off
	global_load_b32 v19, v[13:14], off
	;; [unrolled: 1-line block ×4, first 2 shown]
	s_waitcnt vmcnt(4)
	v_subrev_nc_u32_e32 v3, s18, v3
	s_delay_alu instid0(VALU_DEP_1) | instskip(NEXT) | instid1(VALU_DEP_1)
	v_lshl_add_u32 v16, v3, 2, v3
	v_lshlrev_b64 v[13:14], 2, v[16:17]
	s_delay_alu instid0(VALU_DEP_1) | instskip(NEXT) | instid1(VALU_DEP_2)
	v_add_co_u32 v13, vcc_lo, s10, v13
	v_add_co_ci_u32_e32 v14, vcc_lo, s11, v14, vcc_lo
	global_load_b32 v3, v[13:14], off
	v_add_nc_u32_e32 v6, 1, v16
	s_delay_alu instid0(VALU_DEP_1) | instskip(NEXT) | instid1(VALU_DEP_1)
	v_lshlrev_b64 v[17:18], 2, v[6:7]
	v_add_co_u32 v17, vcc_lo, s10, v17
	s_delay_alu instid0(VALU_DEP_2) | instskip(SKIP_3) | instid1(VALU_DEP_1)
	v_add_co_ci_u32_e32 v18, vcc_lo, s11, v18, vcc_lo
	global_load_b32 v26, v[17:18], off
	s_waitcnt vmcnt(1)
	v_dual_fmac_f32 v11, v19, v3 :: v_dual_add_nc_u32 v6, -8, v4
	v_lshlrev_b64 v[22:23], 2, v[6:7]
	v_dual_fmac_f32 v9, v8, v3 :: v_dual_add_nc_u32 v6, -3, v4
	v_fmac_f32_e32 v10, v24, v3
	s_delay_alu instid0(VALU_DEP_3) | instskip(NEXT) | instid1(VALU_DEP_4)
	v_add_co_u32 v17, vcc_lo, s8, v22
	v_add_co_ci_u32_e32 v18, vcc_lo, s9, v23, vcc_lo
	global_load_b32 v27, v[17:18], off
	s_waitcnt vmcnt(1)
	v_fmac_f32_e32 v9, v25, v26
	v_lshlrev_b64 v[13:14], 2, v[6:7]
	s_delay_alu instid0(VALU_DEP_1) | instskip(NEXT) | instid1(VALU_DEP_2)
	v_add_co_u32 v13, vcc_lo, s8, v13
	v_add_co_ci_u32_e32 v14, vcc_lo, s9, v14, vcc_lo
	global_load_b32 v28, v[13:14], off
	s_waitcnt vmcnt(1)
	v_dual_fmac_f32 v11, v27, v26 :: v_dual_add_nc_u32 v6, -12, v4
	s_delay_alu instid0(VALU_DEP_1) | instskip(NEXT) | instid1(VALU_DEP_1)
	v_lshlrev_b64 v[22:23], 2, v[6:7]
	v_add_co_u32 v13, vcc_lo, s8, v22
	s_delay_alu instid0(VALU_DEP_2) | instskip(SKIP_4) | instid1(VALU_DEP_2)
	v_add_co_ci_u32_e32 v14, vcc_lo, s9, v23, vcc_lo
	global_load_b32 v29, v[13:14], off
	v_add_nc_u32_e32 v6, 2, v16
	s_waitcnt vmcnt(1)
	v_fmac_f32_e32 v10, v28, v26
	v_lshlrev_b64 v[17:18], 2, v[6:7]
	s_delay_alu instid0(VALU_DEP_1) | instskip(NEXT) | instid1(VALU_DEP_2)
	v_add_co_u32 v17, vcc_lo, s10, v17
	v_add_co_ci_u32_e32 v18, vcc_lo, s11, v18, vcc_lo
	global_load_b32 v30, v[17:18], off
	v_add_nc_u32_e32 v6, -7, v4
	s_delay_alu instid0(VALU_DEP_1) | instskip(NEXT) | instid1(VALU_DEP_1)
	v_lshlrev_b64 v[22:23], 2, v[6:7]
	v_add_co_u32 v17, vcc_lo, s8, v22
	s_delay_alu instid0(VALU_DEP_2) | instskip(SKIP_3) | instid1(VALU_DEP_1)
	v_add_co_ci_u32_e32 v18, vcc_lo, s9, v23, vcc_lo
	global_load_b32 v31, v[17:18], off
	s_waitcnt vmcnt(1)
	v_dual_fmac_f32 v9, v29, v30 :: v_dual_add_nc_u32 v6, -2, v4
	v_lshlrev_b64 v[13:14], 2, v[6:7]
	s_delay_alu instid0(VALU_DEP_1) | instskip(NEXT) | instid1(VALU_DEP_2)
	v_add_co_u32 v13, vcc_lo, s8, v13
	v_add_co_ci_u32_e32 v14, vcc_lo, s9, v14, vcc_lo
	global_load_b32 v32, v[13:14], off
	s_waitcnt vmcnt(1)
	v_dual_fmac_f32 v11, v31, v30 :: v_dual_add_nc_u32 v6, -11, v4
	s_delay_alu instid0(VALU_DEP_1) | instskip(SKIP_1) | instid1(VALU_DEP_1)
	v_lshlrev_b64 v[22:23], 2, v[6:7]
	v_add_nc_u32_e32 v6, 3, v16
	v_lshlrev_b64 v[17:18], 2, v[6:7]
	v_add_nc_u32_e32 v6, -6, v4
	s_delay_alu instid0(VALU_DEP_4) | instskip(SKIP_1) | instid1(VALU_DEP_3)
	v_add_co_u32 v13, vcc_lo, s8, v22
	v_add_co_ci_u32_e32 v14, vcc_lo, s9, v23, vcc_lo
	v_lshlrev_b64 v[22:23], 2, v[6:7]
	v_add_nc_u32_e32 v6, -1, v4
	v_add_co_u32 v17, vcc_lo, s10, v17
	v_add_co_ci_u32_e32 v18, vcc_lo, s11, v18, vcc_lo
	global_load_b32 v33, v[13:14], off
	v_lshlrev_b64 v[13:14], 2, v[6:7]
	v_add_nc_u32_e32 v6, -10, v4
	global_load_b32 v34, v[17:18], off
	v_add_co_u32 v17, vcc_lo, s8, v22
	v_add_co_ci_u32_e32 v18, vcc_lo, s9, v23, vcc_lo
	v_lshlrev_b64 v[22:23], 2, v[6:7]
	v_add_nc_u32_e32 v6, 4, v16
	v_add_co_u32 v13, vcc_lo, s8, v13
	v_add_co_ci_u32_e32 v14, vcc_lo, s9, v14, vcc_lo
	s_delay_alu instid0(VALU_DEP_3)
	v_lshlrev_b64 v[15:16], 2, v[6:7]
	v_add_nc_u32_e32 v6, -5, v4
	s_clause 0x1
	global_load_b32 v17, v[17:18], off
	global_load_b32 v18, v[13:14], off
	v_add_co_u32 v13, vcc_lo, s8, v22
	v_lshlrev_b64 v[5:6], 2, v[6:7]
	v_add_co_ci_u32_e32 v14, vcc_lo, s9, v23, vcc_lo
	v_add_co_u32 v15, vcc_lo, s10, v15
	v_add_co_ci_u32_e32 v16, vcc_lo, s11, v16, vcc_lo
	s_delay_alu instid0(VALU_DEP_4)
	v_add_co_u32 v5, vcc_lo, s8, v5
	v_add_co_ci_u32_e32 v6, vcc_lo, s9, v6, vcc_lo
	global_load_b32 v13, v[13:14], off
	global_load_b32 v14, v[15:16], off
	s_clause 0x1
	global_load_b32 v5, v[5:6], off
	global_load_b32 v6, v[20:21], off
	v_cmp_ge_i32_e32 vcc_lo, v2, v12
	v_add_nc_u32_e32 v4, 0x3c0, v4
	s_or_b32 s2, vcc_lo, s2
	s_waitcnt vmcnt(8)
	v_fmac_f32_e32 v10, v32, v30
	s_waitcnt vmcnt(6)
	v_fmac_f32_e32 v9, v33, v34
	;; [unrolled: 2-line block ×7, first 2 shown]
	s_and_not1_b32 exec_lo, exec_lo, s2
	s_cbranch_execnz .LBB19_15
; %bb.16:
	s_or_b32 exec_lo, exec_lo, s2
.LBB19_17:
	s_delay_alu instid0(SALU_CYCLE_1)
	s_or_b32 exec_lo, exec_lo, s3
.LBB19_18:
	v_mbcnt_lo_u32_b32 v2, -1, 0
	s_mov_b32 s2, -1
	s_delay_alu instid0(VALU_DEP_1) | instskip(SKIP_1) | instid1(VALU_DEP_2)
	v_or_b32_e32 v3, 32, v2
	v_xor_b32_e32 v6, 16, v2
	v_cmp_gt_i32_e32 vcc_lo, 32, v3
	v_cndmask_b32_e32 v3, v2, v3, vcc_lo
	s_delay_alu instid0(VALU_DEP_3) | instskip(SKIP_1) | instid1(VALU_DEP_1)
	v_cmp_gt_i32_e32 vcc_lo, 32, v6
	v_cndmask_b32_e32 v6, v2, v6, vcc_lo
	v_lshlrev_b32_e32 v6, 2, v6
	s_delay_alu instid0(VALU_DEP_4)
	v_lshlrev_b32_e32 v3, 2, v3
	ds_bpermute_b32 v4, v3, v9
	s_waitcnt lgkmcnt(0)
	v_add_f32_e32 v4, v9, v4
	ds_bpermute_b32 v5, v3, v11
	ds_bpermute_b32 v3, v3, v10
	v_xor_b32_e32 v9, 8, v2
	ds_bpermute_b32 v7, v6, v4
	v_cmp_gt_i32_e32 vcc_lo, 32, v9
	v_cndmask_b32_e32 v9, v2, v9, vcc_lo
	s_waitcnt lgkmcnt(0)
	v_dual_add_f32 v5, v11, v5 :: v_dual_add_f32 v4, v4, v7
	v_add_f32_e32 v3, v10, v3
	ds_bpermute_b32 v8, v6, v5
	v_lshlrev_b32_e32 v9, 2, v9
	ds_bpermute_b32 v6, v6, v3
	s_waitcnt lgkmcnt(1)
	v_add_f32_e32 v5, v5, v8
	s_waitcnt lgkmcnt(0)
	v_add_f32_e32 v3, v3, v6
	ds_bpermute_b32 v6, v9, v4
	ds_bpermute_b32 v7, v9, v5
	ds_bpermute_b32 v8, v9, v3
	v_xor_b32_e32 v9, 4, v2
	s_delay_alu instid0(VALU_DEP_1)
	v_cmp_gt_i32_e32 vcc_lo, 32, v9
	s_waitcnt lgkmcnt(1)
	v_dual_add_f32 v4, v4, v6 :: v_dual_add_f32 v5, v5, v7
	s_waitcnt lgkmcnt(0)
	v_add_f32_e32 v3, v3, v8
	v_cndmask_b32_e32 v9, v2, v9, vcc_lo
	s_delay_alu instid0(VALU_DEP_1) | instskip(SKIP_4) | instid1(VALU_DEP_1)
	v_lshlrev_b32_e32 v9, 2, v9
	ds_bpermute_b32 v6, v9, v4
	ds_bpermute_b32 v7, v9, v5
	ds_bpermute_b32 v8, v9, v3
	v_xor_b32_e32 v9, 2, v2
	v_cmp_gt_i32_e32 vcc_lo, 32, v9
	v_cndmask_b32_e32 v9, v2, v9, vcc_lo
	s_waitcnt lgkmcnt(2)
	s_delay_alu instid0(VALU_DEP_1)
	v_dual_add_f32 v4, v4, v6 :: v_dual_lshlrev_b32 v9, 2, v9
	s_waitcnt lgkmcnt(0)
	v_dual_add_f32 v5, v5, v7 :: v_dual_add_f32 v6, v3, v8
	ds_bpermute_b32 v3, v9, v4
	ds_bpermute_b32 v7, v9, v5
	;; [unrolled: 1-line block ×3, first 2 shown]
	v_xor_b32_e32 v9, 1, v2
	s_delay_alu instid0(VALU_DEP_1) | instskip(SKIP_3) | instid1(VALU_DEP_2)
	v_cmp_gt_i32_e32 vcc_lo, 32, v9
	v_cndmask_b32_e32 v2, v2, v9, vcc_lo
	v_cmp_eq_u32_e32 vcc_lo, 63, v0
	s_waitcnt lgkmcnt(2)
	v_dual_add_f32 v2, v4, v3 :: v_dual_lshlrev_b32 v9, 2, v2
	s_waitcnt lgkmcnt(0)
	v_dual_add_f32 v3, v5, v7 :: v_dual_add_f32 v4, v6, v8
	ds_bpermute_b32 v5, v9, v2
	ds_bpermute_b32 v6, v9, v3
	;; [unrolled: 1-line block ×3, first 2 shown]
	s_and_b32 exec_lo, exec_lo, vcc_lo
	s_cbranch_execz .LBB19_23
; %bb.19:
	s_load_b64 s[0:1], s[0:1], 0x38
	s_waitcnt lgkmcnt(0)
	v_add_f32_e32 v0, v2, v5
	v_add_f32_e32 v2, v3, v6
	;; [unrolled: 1-line block ×3, first 2 shown]
	v_lshl_add_u32 v3, v1, 1, v1
	v_cmp_eq_f32_e64 s3, s12, 0
	s_delay_alu instid0(VALU_DEP_4) | instskip(NEXT) | instid1(VALU_DEP_4)
	v_dual_mul_f32 v1, s16, v2 :: v_dual_mul_f32 v0, s16, v0
	v_mul_f32_e32 v2, s16, v4
	s_delay_alu instid0(VALU_DEP_4) | instskip(NEXT) | instid1(VALU_DEP_4)
	v_ashrrev_i32_e32 v4, 31, v3
	s_and_b32 vcc_lo, exec_lo, s3
	s_cbranch_vccz .LBB19_21
; %bb.20:
	s_delay_alu instid0(VALU_DEP_1) | instskip(SKIP_1) | instid1(VALU_DEP_1)
	v_lshlrev_b64 v[5:6], 2, v[3:4]
	s_mov_b32 s2, 0
	v_add_co_u32 v5, vcc_lo, s0, v5
	s_delay_alu instid0(VALU_DEP_2)
	v_add_co_ci_u32_e32 v6, vcc_lo, s1, v6, vcc_lo
	global_store_b96 v[5:6], v[0:2], off
.LBB19_21:
	s_and_not1_b32 vcc_lo, exec_lo, s2
	s_cbranch_vccnz .LBB19_23
; %bb.22:
	v_lshlrev_b64 v[3:4], 2, v[3:4]
	s_delay_alu instid0(VALU_DEP_1) | instskip(NEXT) | instid1(VALU_DEP_2)
	v_add_co_u32 v6, vcc_lo, s0, v3
	v_add_co_ci_u32_e32 v7, vcc_lo, s1, v4, vcc_lo
	global_load_b96 v[3:5], v[6:7], off
	s_waitcnt vmcnt(0)
	v_dual_fmac_f32 v0, s12, v3 :: v_dual_fmac_f32 v1, s12, v4
	v_fmac_f32_e32 v2, s12, v5
	global_store_b96 v[6:7], v[0:2], off
.LBB19_23:
	s_nop 0
	s_sendmsg sendmsg(MSG_DEALLOC_VGPRS)
	s_endpgm
	.section	.rodata,"a",@progbits
	.p2align	6, 0x0
	.amdhsa_kernel _ZN9rocsparseL19gebsrmvn_3xn_kernelILj128ELj5ELj64EfEEvi20rocsparse_direction_NS_24const_host_device_scalarIT2_EEPKiS6_PKS3_S8_S4_PS3_21rocsparse_index_base_b
		.amdhsa_group_segment_fixed_size 0
		.amdhsa_private_segment_fixed_size 0
		.amdhsa_kernarg_size 72
		.amdhsa_user_sgpr_count 15
		.amdhsa_user_sgpr_dispatch_ptr 0
		.amdhsa_user_sgpr_queue_ptr 0
		.amdhsa_user_sgpr_kernarg_segment_ptr 1
		.amdhsa_user_sgpr_dispatch_id 0
		.amdhsa_user_sgpr_private_segment_size 0
		.amdhsa_wavefront_size32 1
		.amdhsa_uses_dynamic_stack 0
		.amdhsa_enable_private_segment 0
		.amdhsa_system_sgpr_workgroup_id_x 1
		.amdhsa_system_sgpr_workgroup_id_y 0
		.amdhsa_system_sgpr_workgroup_id_z 0
		.amdhsa_system_sgpr_workgroup_info 0
		.amdhsa_system_vgpr_workitem_id 0
		.amdhsa_next_free_vgpr 36
		.amdhsa_next_free_sgpr 20
		.amdhsa_reserve_vcc 1
		.amdhsa_float_round_mode_32 0
		.amdhsa_float_round_mode_16_64 0
		.amdhsa_float_denorm_mode_32 3
		.amdhsa_float_denorm_mode_16_64 3
		.amdhsa_dx10_clamp 1
		.amdhsa_ieee_mode 1
		.amdhsa_fp16_overflow 0
		.amdhsa_workgroup_processor_mode 1
		.amdhsa_memory_ordered 1
		.amdhsa_forward_progress 0
		.amdhsa_shared_vgpr_count 0
		.amdhsa_exception_fp_ieee_invalid_op 0
		.amdhsa_exception_fp_denorm_src 0
		.amdhsa_exception_fp_ieee_div_zero 0
		.amdhsa_exception_fp_ieee_overflow 0
		.amdhsa_exception_fp_ieee_underflow 0
		.amdhsa_exception_fp_ieee_inexact 0
		.amdhsa_exception_int_div_zero 0
	.end_amdhsa_kernel
	.section	.text._ZN9rocsparseL19gebsrmvn_3xn_kernelILj128ELj5ELj64EfEEvi20rocsparse_direction_NS_24const_host_device_scalarIT2_EEPKiS6_PKS3_S8_S4_PS3_21rocsparse_index_base_b,"axG",@progbits,_ZN9rocsparseL19gebsrmvn_3xn_kernelILj128ELj5ELj64EfEEvi20rocsparse_direction_NS_24const_host_device_scalarIT2_EEPKiS6_PKS3_S8_S4_PS3_21rocsparse_index_base_b,comdat
.Lfunc_end19:
	.size	_ZN9rocsparseL19gebsrmvn_3xn_kernelILj128ELj5ELj64EfEEvi20rocsparse_direction_NS_24const_host_device_scalarIT2_EEPKiS6_PKS3_S8_S4_PS3_21rocsparse_index_base_b, .Lfunc_end19-_ZN9rocsparseL19gebsrmvn_3xn_kernelILj128ELj5ELj64EfEEvi20rocsparse_direction_NS_24const_host_device_scalarIT2_EEPKiS6_PKS3_S8_S4_PS3_21rocsparse_index_base_b
                                        ; -- End function
	.section	.AMDGPU.csdata,"",@progbits
; Kernel info:
; codeLenInByte = 2808
; NumSgprs: 22
; NumVgprs: 36
; ScratchSize: 0
; MemoryBound: 0
; FloatMode: 240
; IeeeMode: 1
; LDSByteSize: 0 bytes/workgroup (compile time only)
; SGPRBlocks: 2
; VGPRBlocks: 4
; NumSGPRsForWavesPerEU: 22
; NumVGPRsForWavesPerEU: 36
; Occupancy: 16
; WaveLimiterHint : 1
; COMPUTE_PGM_RSRC2:SCRATCH_EN: 0
; COMPUTE_PGM_RSRC2:USER_SGPR: 15
; COMPUTE_PGM_RSRC2:TRAP_HANDLER: 0
; COMPUTE_PGM_RSRC2:TGID_X_EN: 1
; COMPUTE_PGM_RSRC2:TGID_Y_EN: 0
; COMPUTE_PGM_RSRC2:TGID_Z_EN: 0
; COMPUTE_PGM_RSRC2:TIDIG_COMP_CNT: 0
	.section	.text._ZN9rocsparseL19gebsrmvn_3xn_kernelILj128ELj6ELj4EfEEvi20rocsparse_direction_NS_24const_host_device_scalarIT2_EEPKiS6_PKS3_S8_S4_PS3_21rocsparse_index_base_b,"axG",@progbits,_ZN9rocsparseL19gebsrmvn_3xn_kernelILj128ELj6ELj4EfEEvi20rocsparse_direction_NS_24const_host_device_scalarIT2_EEPKiS6_PKS3_S8_S4_PS3_21rocsparse_index_base_b,comdat
	.globl	_ZN9rocsparseL19gebsrmvn_3xn_kernelILj128ELj6ELj4EfEEvi20rocsparse_direction_NS_24const_host_device_scalarIT2_EEPKiS6_PKS3_S8_S4_PS3_21rocsparse_index_base_b ; -- Begin function _ZN9rocsparseL19gebsrmvn_3xn_kernelILj128ELj6ELj4EfEEvi20rocsparse_direction_NS_24const_host_device_scalarIT2_EEPKiS6_PKS3_S8_S4_PS3_21rocsparse_index_base_b
	.p2align	8
	.type	_ZN9rocsparseL19gebsrmvn_3xn_kernelILj128ELj6ELj4EfEEvi20rocsparse_direction_NS_24const_host_device_scalarIT2_EEPKiS6_PKS3_S8_S4_PS3_21rocsparse_index_base_b,@function
_ZN9rocsparseL19gebsrmvn_3xn_kernelILj128ELj6ELj4EfEEvi20rocsparse_direction_NS_24const_host_device_scalarIT2_EEPKiS6_PKS3_S8_S4_PS3_21rocsparse_index_base_b: ; @_ZN9rocsparseL19gebsrmvn_3xn_kernelILj128ELj6ELj4EfEEvi20rocsparse_direction_NS_24const_host_device_scalarIT2_EEPKiS6_PKS3_S8_S4_PS3_21rocsparse_index_base_b
; %bb.0:
	s_clause 0x2
	s_load_b64 s[18:19], s[0:1], 0x40
	s_load_b64 s[16:17], s[0:1], 0x8
	;; [unrolled: 1-line block ×3, first 2 shown]
	s_waitcnt lgkmcnt(0)
	s_bitcmp1_b32 s19, 0
	s_cselect_b32 s2, -1, 0
	s_delay_alu instid0(SALU_CYCLE_1)
	s_and_b32 vcc_lo, exec_lo, s2
	s_xor_b32 s2, s2, -1
	s_cbranch_vccnz .LBB20_2
; %bb.1:
	s_load_b32 s16, s[16:17], 0x0
.LBB20_2:
	s_and_not1_b32 vcc_lo, exec_lo, s2
	s_cbranch_vccnz .LBB20_4
; %bb.3:
	s_load_b32 s12, s[12:13], 0x0
.LBB20_4:
	s_waitcnt lgkmcnt(0)
	v_cmp_eq_f32_e64 s2, s16, 0
	v_cmp_eq_f32_e64 s3, s12, 1.0
	s_delay_alu instid0(VALU_DEP_1) | instskip(NEXT) | instid1(SALU_CYCLE_1)
	s_and_b32 s2, s2, s3
	s_and_b32 vcc_lo, exec_lo, s2
	s_cbranch_vccnz .LBB20_23
; %bb.5:
	s_load_b64 s[2:3], s[0:1], 0x0
	v_lshrrev_b32_e32 v1, 2, v0
	s_delay_alu instid0(VALU_DEP_1) | instskip(SKIP_1) | instid1(VALU_DEP_1)
	v_lshl_or_b32 v1, s15, 5, v1
	s_waitcnt lgkmcnt(0)
	v_cmp_gt_i32_e32 vcc_lo, s2, v1
	s_and_saveexec_b32 s2, vcc_lo
	s_cbranch_execz .LBB20_23
; %bb.6:
	s_load_b256 s[4:11], s[0:1], 0x10
	v_ashrrev_i32_e32 v2, 31, v1
	v_and_b32_e32 v0, 3, v0
	s_cmp_lg_u32 s3, 0
	s_delay_alu instid0(VALU_DEP_2) | instskip(SKIP_1) | instid1(VALU_DEP_1)
	v_lshlrev_b64 v[2:3], 2, v[1:2]
	s_waitcnt lgkmcnt(0)
	v_add_co_u32 v2, vcc_lo, s4, v2
	s_delay_alu instid0(VALU_DEP_2) | instskip(SKIP_4) | instid1(VALU_DEP_2)
	v_add_co_ci_u32_e32 v3, vcc_lo, s5, v3, vcc_lo
	global_load_b64 v[2:3], v[2:3], off
	s_waitcnt vmcnt(0)
	v_subrev_nc_u32_e32 v2, s18, v2
	v_subrev_nc_u32_e32 v12, s18, v3
	v_add_nc_u32_e32 v2, v2, v0
	s_delay_alu instid0(VALU_DEP_1)
	v_cmp_lt_i32_e64 s2, v2, v12
	s_cbranch_scc0 .LBB20_12
; %bb.7:
	v_dual_mov_b32 v9, 0 :: v_dual_mov_b32 v10, 0
	v_mov_b32_e32 v11, 0
	s_mov_b32 s3, 0
	s_and_saveexec_b32 s4, s2
	s_cbranch_execz .LBB20_11
; %bb.8:
	v_mad_u64_u32 v[3:4], null, v2, 18, 17
	v_dual_mov_b32 v6, 0 :: v_dual_mov_b32 v7, v2
	v_dual_mov_b32 v9, 0 :: v_dual_mov_b32 v10, 0
	v_mov_b32_e32 v11, 0
	s_mov_b32 s5, 0
.LBB20_9:                               ; =>This Inner Loop Header: Depth=1
	s_delay_alu instid0(VALU_DEP_3) | instskip(SKIP_1) | instid1(VALU_DEP_2)
	v_ashrrev_i32_e32 v8, 31, v7
	v_mov_b32_e32 v14, v6
	v_lshlrev_b64 v[4:5], 2, v[7:8]
	v_add_nc_u32_e32 v7, 4, v7
	s_delay_alu instid0(VALU_DEP_2) | instskip(NEXT) | instid1(VALU_DEP_3)
	v_add_co_u32 v4, vcc_lo, s6, v4
	v_add_co_ci_u32_e32 v5, vcc_lo, s7, v5, vcc_lo
	global_load_b32 v8, v[4:5], off
	v_subrev_nc_u32_e32 v5, 17, v3
	v_mov_b32_e32 v4, v6
	s_delay_alu instid0(VALU_DEP_2) | instskip(SKIP_1) | instid1(VALU_DEP_1)
	v_lshlrev_b64 v[15:16], 2, v[5:6]
	v_add_nc_u32_e32 v5, -15, v3
	v_lshlrev_b64 v[19:20], 2, v[5:6]
	v_add_nc_u32_e32 v5, -14, v3
	v_lshlrev_b64 v[17:18], 2, v[3:4]
	v_add_co_u32 v15, vcc_lo, s8, v15
	v_add_co_ci_u32_e32 v16, vcc_lo, s9, v16, vcc_lo
	s_delay_alu instid0(VALU_DEP_4) | instskip(NEXT) | instid1(VALU_DEP_4)
	v_lshlrev_b64 v[21:22], 2, v[5:6]
	v_add_co_u32 v17, vcc_lo, s8, v17
	v_add_co_ci_u32_e32 v18, vcc_lo, s9, v18, vcc_lo
	v_add_nc_u32_e32 v5, -13, v3
	v_add_co_u32 v19, vcc_lo, s8, v19
	v_add_co_ci_u32_e32 v20, vcc_lo, s9, v20, vcc_lo
	s_delay_alu instid0(VALU_DEP_3)
	v_lshlrev_b64 v[23:24], 2, v[5:6]
	v_add_nc_u32_e32 v5, -12, v3
	s_clause 0x1
	global_load_b64 v[15:16], v[15:16], off
	global_load_b32 v29, v[19:20], off
	v_add_co_u32 v19, vcc_lo, s8, v21
	v_add_co_ci_u32_e32 v20, vcc_lo, s9, v22, vcc_lo
	v_lshlrev_b64 v[21:22], 2, v[5:6]
	v_add_nc_u32_e32 v5, -11, v3
	v_add_co_u32 v23, vcc_lo, s8, v23
	v_add_co_ci_u32_e32 v24, vcc_lo, s9, v24, vcc_lo
	s_delay_alu instid0(VALU_DEP_3)
	v_lshlrev_b64 v[4:5], 2, v[5:6]
	s_clause 0x1
	global_load_b32 v30, v[19:20], off
	global_load_b32 v31, v[23:24], off
	v_add_co_u32 v19, vcc_lo, s8, v21
	v_add_co_ci_u32_e32 v20, vcc_lo, s9, v22, vcc_lo
	v_add_co_u32 v4, vcc_lo, s8, v4
	v_add_co_ci_u32_e32 v5, vcc_lo, s9, v5, vcc_lo
	s_clause 0x1
	global_load_b32 v32, v[19:20], off
	global_load_b32 v33, v[4:5], off
	s_waitcnt vmcnt(6)
	v_subrev_nc_u32_e32 v4, s18, v8
	s_delay_alu instid0(VALU_DEP_1) | instskip(NEXT) | instid1(VALU_DEP_1)
	v_mul_lo_u32 v13, v4, 6
	v_lshlrev_b64 v[19:20], 2, v[13:14]
	s_delay_alu instid0(VALU_DEP_1) | instskip(NEXT) | instid1(VALU_DEP_2)
	v_add_co_u32 v19, vcc_lo, s10, v19
	v_add_co_ci_u32_e32 v20, vcc_lo, s11, v20, vcc_lo
	global_load_b64 v[19:20], v[19:20], off
	v_add_nc_u32_e32 v5, 2, v13
	s_delay_alu instid0(VALU_DEP_1) | instskip(SKIP_1) | instid1(VALU_DEP_1)
	v_lshlrev_b64 v[21:22], 2, v[5:6]
	v_add_nc_u32_e32 v5, -10, v3
	v_lshlrev_b64 v[23:24], 2, v[5:6]
	v_add_nc_u32_e32 v5, -9, v3
	s_delay_alu instid0(VALU_DEP_4) | instskip(SKIP_1) | instid1(VALU_DEP_3)
	v_add_co_u32 v21, vcc_lo, s10, v21
	v_add_co_ci_u32_e32 v22, vcc_lo, s11, v22, vcc_lo
	v_lshlrev_b64 v[25:26], 2, v[5:6]
	v_add_nc_u32_e32 v5, -8, v3
	v_add_co_u32 v23, vcc_lo, s8, v23
	v_add_co_ci_u32_e32 v24, vcc_lo, s9, v24, vcc_lo
	s_delay_alu instid0(VALU_DEP_3)
	v_lshlrev_b64 v[27:28], 2, v[5:6]
	v_add_nc_u32_e32 v5, -7, v3
	global_load_b64 v[21:22], v[21:22], off
	global_load_b32 v8, v[23:24], off
	v_add_co_u32 v23, vcc_lo, s8, v25
	v_add_co_ci_u32_e32 v24, vcc_lo, s9, v26, vcc_lo
	v_lshlrev_b64 v[25:26], 2, v[5:6]
	v_add_co_u32 v27, vcc_lo, s8, v27
	v_add_co_ci_u32_e32 v28, vcc_lo, s9, v28, vcc_lo
	v_add_nc_u32_e32 v5, -6, v3
	s_delay_alu instid0(VALU_DEP_4)
	v_add_co_u32 v25, vcc_lo, s8, v25
	v_add_co_ci_u32_e32 v26, vcc_lo, s9, v26, vcc_lo
	s_clause 0x2
	global_load_b32 v34, v[23:24], off
	global_load_b32 v35, v[27:28], off
	;; [unrolled: 1-line block ×3, first 2 shown]
	v_lshlrev_b64 v[23:24], 2, v[5:6]
	v_add_nc_u32_e32 v5, -5, v3
	s_delay_alu instid0(VALU_DEP_1) | instskip(SKIP_1) | instid1(VALU_DEP_4)
	v_lshlrev_b64 v[27:28], 2, v[5:6]
	v_add_nc_u32_e32 v5, 4, v13
	v_add_co_u32 v13, vcc_lo, s8, v23
	v_add_co_ci_u32_e32 v14, vcc_lo, s9, v24, vcc_lo
	s_delay_alu instid0(VALU_DEP_3)
	v_lshlrev_b64 v[23:24], 2, v[5:6]
	v_add_nc_u32_e32 v5, -4, v3
	global_load_b32 v37, v[13:14], off
	v_add_co_u32 v13, vcc_lo, s8, v27
	v_add_co_ci_u32_e32 v14, vcc_lo, s9, v28, vcc_lo
	v_lshlrev_b64 v[25:26], 2, v[5:6]
	v_add_nc_u32_e32 v5, -3, v3
	v_add_co_u32 v23, vcc_lo, s10, v23
	global_load_b32 v38, v[13:14], off
	v_add_co_ci_u32_e32 v24, vcc_lo, s11, v24, vcc_lo
	v_lshlrev_b64 v[13:14], 2, v[5:6]
	v_add_nc_u32_e32 v5, -2, v3
	v_add_co_u32 v25, vcc_lo, s8, v25
	v_add_co_ci_u32_e32 v26, vcc_lo, s9, v26, vcc_lo
	s_delay_alu instid0(VALU_DEP_3) | instskip(SKIP_3) | instid1(VALU_DEP_3)
	v_lshlrev_b64 v[27:28], 2, v[5:6]
	v_add_nc_u32_e32 v5, -1, v3
	v_add_co_u32 v13, vcc_lo, s8, v13
	v_add_co_ci_u32_e32 v14, vcc_lo, s9, v14, vcc_lo
	v_lshlrev_b64 v[4:5], 2, v[5:6]
	global_load_b32 v25, v[25:26], off
	global_load_b64 v[23:24], v[23:24], off
	global_load_b32 v26, v[13:14], off
	v_add_co_u32 v13, vcc_lo, s8, v27
	v_add_co_ci_u32_e32 v14, vcc_lo, s9, v28, vcc_lo
	v_add_co_u32 v4, vcc_lo, s8, v4
	v_add_co_ci_u32_e32 v5, vcc_lo, s9, v5, vcc_lo
	s_clause 0x2
	global_load_b32 v13, v[13:14], off
	global_load_b32 v4, v[4:5], off
	;; [unrolled: 1-line block ×3, first 2 shown]
	v_cmp_ge_i32_e32 vcc_lo, v7, v12
	v_add_nc_u32_e32 v3, 0x48, v3
	s_or_b32 s5, vcc_lo, s5
	s_waitcnt vmcnt(13)
	v_fmac_f32_e32 v10, v29, v19
	v_fmac_f32_e32 v11, v16, v19
	s_delay_alu instid0(VALU_DEP_2) | instskip(NEXT) | instid1(VALU_DEP_2)
	v_fmac_f32_e32 v10, v32, v20
	v_fmac_f32_e32 v11, v31, v20
	s_waitcnt vmcnt(11)
	s_delay_alu instid0(VALU_DEP_1) | instskip(SKIP_1) | instid1(VALU_DEP_1)
	v_fmac_f32_e32 v11, v8, v21
	s_waitcnt vmcnt(8)
	v_dual_fmac_f32 v10, v34, v21 :: v_dual_fmac_f32 v11, v36, v22
	s_waitcnt vmcnt(7)
	s_delay_alu instid0(VALU_DEP_1) | instskip(SKIP_1) | instid1(VALU_DEP_2)
	v_fmac_f32_e32 v10, v37, v22
	s_waitcnt vmcnt(4)
	v_fmac_f32_e32 v11, v25, v23
	s_waitcnt vmcnt(3)
	s_delay_alu instid0(VALU_DEP_2)
	v_fmac_f32_e32 v10, v26, v23
	v_fmac_f32_e32 v9, v15, v19
	s_waitcnt vmcnt(1)
	v_fmac_f32_e32 v11, v4, v24
	s_waitcnt vmcnt(0)
	v_fmac_f32_e32 v10, v5, v24
	v_fmac_f32_e32 v9, v30, v20
	s_delay_alu instid0(VALU_DEP_1) | instskip(NEXT) | instid1(VALU_DEP_1)
	v_fmac_f32_e32 v9, v33, v21
	v_fmac_f32_e32 v9, v35, v22
	s_delay_alu instid0(VALU_DEP_1) | instskip(NEXT) | instid1(VALU_DEP_1)
	v_fmac_f32_e32 v9, v38, v23
	v_fmac_f32_e32 v9, v13, v24
	s_and_not1_b32 exec_lo, exec_lo, s5
	s_cbranch_execnz .LBB20_9
; %bb.10:
	s_or_b32 exec_lo, exec_lo, s5
.LBB20_11:
	s_delay_alu instid0(SALU_CYCLE_1) | instskip(NEXT) | instid1(SALU_CYCLE_1)
	s_or_b32 exec_lo, exec_lo, s4
	s_and_not1_b32 vcc_lo, exec_lo, s3
	s_cbranch_vccz .LBB20_13
	s_branch .LBB20_18
.LBB20_12:
                                        ; implicit-def: $vgpr9
                                        ; implicit-def: $vgpr10
                                        ; implicit-def: $vgpr11
.LBB20_13:
	v_dual_mov_b32 v9, 0 :: v_dual_mov_b32 v10, 0
	v_mov_b32_e32 v11, 0
	s_delay_alu instid0(VALU_DEP_3)
	s_and_saveexec_b32 s3, s2
	s_cbranch_execz .LBB20_17
; %bb.14:
	v_mad_u64_u32 v[4:5], null, v2, 18, 17
	v_dual_mov_b32 v7, 0 :: v_dual_mov_b32 v10, 0
	v_mov_b32_e32 v9, 0
	v_mov_b32_e32 v11, 0
	s_mov_b32 s2, 0
.LBB20_15:                              ; =>This Inner Loop Header: Depth=1
	v_ashrrev_i32_e32 v3, 31, v2
	v_dual_mov_b32 v14, v7 :: v_dual_add_nc_u32 v13, -11, v4
	v_dual_mov_b32 v16, v7 :: v_dual_add_nc_u32 v15, -5, v4
	s_delay_alu instid0(VALU_DEP_3) | instskip(SKIP_1) | instid1(VALU_DEP_4)
	v_lshlrev_b64 v[5:6], 2, v[2:3]
	v_mov_b32_e32 v17, v7
	v_lshlrev_b64 v[13:14], 2, v[13:14]
	v_add_nc_u32_e32 v2, 4, v2
	v_lshlrev_b64 v[15:16], 2, v[15:16]
	v_add_co_u32 v5, vcc_lo, s6, v5
	v_add_co_ci_u32_e32 v6, vcc_lo, s7, v6, vcc_lo
	global_load_b32 v3, v[5:6], off
	v_subrev_nc_u32_e32 v6, 17, v4
	v_mov_b32_e32 v5, v7
	s_delay_alu instid0(VALU_DEP_2) | instskip(SKIP_1) | instid1(VALU_DEP_1)
	v_lshlrev_b64 v[18:19], 2, v[6:7]
	v_add_nc_u32_e32 v6, -10, v4
	v_lshlrev_b64 v[22:23], 2, v[6:7]
	v_add_nc_u32_e32 v6, -4, v4
	s_delay_alu instid0(VALU_DEP_4)
	v_add_co_u32 v18, vcc_lo, s8, v18
	v_add_co_ci_u32_e32 v19, vcc_lo, s9, v19, vcc_lo
	v_add_co_u32 v13, vcc_lo, s8, v13
	v_add_co_ci_u32_e32 v14, vcc_lo, s9, v14, vcc_lo
	v_add_co_u32 v15, vcc_lo, s8, v15
	v_lshlrev_b64 v[20:21], 2, v[4:5]
	v_add_co_ci_u32_e32 v16, vcc_lo, s9, v16, vcc_lo
	v_lshlrev_b64 v[24:25], 2, v[6:7]
	s_clause 0x2
	global_load_b64 v[18:19], v[18:19], off
	global_load_b32 v8, v[13:14], off
	global_load_b32 v30, v[15:16], off
	v_add_nc_u32_e32 v6, -15, v4
	v_add_co_u32 v20, vcc_lo, s8, v20
	v_add_co_ci_u32_e32 v21, vcc_lo, s9, v21, vcc_lo
	v_add_co_u32 v22, vcc_lo, s8, v22
	s_delay_alu instid0(VALU_DEP_4) | instskip(SKIP_3) | instid1(VALU_DEP_4)
	v_lshlrev_b64 v[5:6], 2, v[6:7]
	v_add_co_ci_u32_e32 v23, vcc_lo, s9, v23, vcc_lo
	v_add_co_u32 v13, vcc_lo, s8, v24
	v_add_co_ci_u32_e32 v14, vcc_lo, s9, v25, vcc_lo
	v_add_co_u32 v5, vcc_lo, s8, v5
	v_add_co_ci_u32_e32 v6, vcc_lo, s9, v6, vcc_lo
	s_clause 0x2
	global_load_b32 v31, v[22:23], off
	global_load_b32 v32, v[13:14], off
	;; [unrolled: 1-line block ×3, first 2 shown]
	s_waitcnt vmcnt(6)
	v_subrev_nc_u32_e32 v3, s18, v3
	s_delay_alu instid0(VALU_DEP_1) | instskip(NEXT) | instid1(VALU_DEP_1)
	v_mul_lo_u32 v16, v3, 6
	v_lshlrev_b64 v[13:14], 2, v[16:17]
	s_delay_alu instid0(VALU_DEP_1) | instskip(NEXT) | instid1(VALU_DEP_2)
	v_add_co_u32 v13, vcc_lo, s10, v13
	v_add_co_ci_u32_e32 v14, vcc_lo, s11, v14, vcc_lo
	global_load_b64 v[13:14], v[13:14], off
	s_waitcnt vmcnt(0)
	v_dual_fmac_f32 v11, v8, v13 :: v_dual_add_nc_u32 v6, 2, v16
	s_delay_alu instid0(VALU_DEP_1) | instskip(SKIP_1) | instid1(VALU_DEP_3)
	v_lshlrev_b64 v[22:23], 2, v[6:7]
	v_dual_fmac_f32 v9, v18, v13 :: v_dual_add_nc_u32 v6, -9, v4
	v_fmac_f32_e32 v11, v31, v14
	s_delay_alu instid0(VALU_DEP_2) | instskip(NEXT) | instid1(VALU_DEP_3)
	v_fmac_f32_e32 v9, v19, v14
	v_lshlrev_b64 v[24:25], 2, v[6:7]
	v_add_co_u32 v22, vcc_lo, s10, v22
	v_add_co_ci_u32_e32 v23, vcc_lo, s11, v23, vcc_lo
	v_add_nc_u32_e32 v6, -3, v4
	s_delay_alu instid0(VALU_DEP_4)
	v_add_co_u32 v24, vcc_lo, s8, v24
	v_add_co_ci_u32_e32 v25, vcc_lo, s9, v25, vcc_lo
	global_load_b64 v[22:23], v[22:23], off
	v_lshlrev_b64 v[26:27], 2, v[6:7]
	v_add_nc_u32_e32 v6, -14, v4
	global_load_b32 v3, v[24:25], off
	v_add_co_u32 v24, vcc_lo, s8, v26
	v_add_co_ci_u32_e32 v25, vcc_lo, s9, v27, vcc_lo
	global_load_b32 v17, v[24:25], off
	s_waitcnt vmcnt(2)
	v_fmac_f32_e32 v9, v33, v22
	v_lshlrev_b64 v[28:29], 2, v[6:7]
	s_waitcnt vmcnt(1)
	v_dual_fmac_f32 v11, v3, v22 :: v_dual_add_nc_u32 v6, -8, v4
	s_delay_alu instid0(VALU_DEP_1) | instskip(NEXT) | instid1(VALU_DEP_3)
	v_lshlrev_b64 v[26:27], 2, v[6:7]
	v_add_co_u32 v28, vcc_lo, s8, v28
	s_delay_alu instid0(VALU_DEP_4) | instskip(NEXT) | instid1(VALU_DEP_3)
	v_add_co_ci_u32_e32 v29, vcc_lo, s9, v29, vcc_lo
	v_add_co_u32 v26, vcc_lo, s8, v26
	global_load_b32 v34, v[28:29], off
	v_add_co_ci_u32_e32 v27, vcc_lo, s9, v27, vcc_lo
	global_load_b32 v35, v[26:27], off
	s_waitcnt vmcnt(1)
	v_dual_fmac_f32 v9, v34, v23 :: v_dual_add_nc_u32 v6, -2, v4
	s_delay_alu instid0(VALU_DEP_1) | instskip(SKIP_2) | instid1(VALU_DEP_1)
	v_lshlrev_b64 v[24:25], 2, v[6:7]
	s_waitcnt vmcnt(0)
	v_dual_fmac_f32 v11, v35, v23 :: v_dual_add_nc_u32 v6, -13, v4
	v_lshlrev_b64 v[28:29], 2, v[6:7]
	v_add_nc_u32_e32 v6, 4, v16
	s_delay_alu instid0(VALU_DEP_4) | instskip(SKIP_1) | instid1(VALU_DEP_3)
	v_add_co_u32 v15, vcc_lo, s8, v24
	v_add_co_ci_u32_e32 v16, vcc_lo, s9, v25, vcc_lo
	v_lshlrev_b64 v[24:25], 2, v[6:7]
	global_load_b32 v36, v[15:16], off
	v_add_co_u32 v15, vcc_lo, s8, v28
	v_add_co_ci_u32_e32 v16, vcc_lo, s9, v29, vcc_lo
	v_add_co_u32 v24, vcc_lo, s10, v24
	v_add_co_ci_u32_e32 v25, vcc_lo, s11, v25, vcc_lo
	global_load_b32 v37, v[15:16], off
	global_load_b64 v[24:25], v[24:25], off
	v_add_nc_u32_e32 v6, -7, v4
	v_fmac_f32_e32 v10, v30, v13
	s_delay_alu instid0(VALU_DEP_2) | instskip(SKIP_1) | instid1(VALU_DEP_1)
	v_lshlrev_b64 v[26:27], 2, v[6:7]
	v_add_nc_u32_e32 v6, -1, v4
	v_lshlrev_b64 v[15:16], 2, v[6:7]
	v_add_nc_u32_e32 v6, -12, v4
	s_delay_alu instid0(VALU_DEP_4) | instskip(SKIP_1) | instid1(VALU_DEP_3)
	v_add_co_u32 v26, vcc_lo, s8, v26
	v_add_co_ci_u32_e32 v27, vcc_lo, s9, v27, vcc_lo
	v_lshlrev_b64 v[28:29], 2, v[6:7]
	v_add_nc_u32_e32 v6, -6, v4
	v_add_co_u32 v15, vcc_lo, s8, v15
	global_load_b32 v26, v[26:27], off
	v_add_co_ci_u32_e32 v16, vcc_lo, s9, v16, vcc_lo
	v_lshlrev_b64 v[5:6], 2, v[6:7]
	v_add_nc_u32_e32 v4, 0x48, v4
	global_load_b32 v27, v[15:16], off
	v_add_co_u32 v15, vcc_lo, s8, v28
	v_add_co_ci_u32_e32 v16, vcc_lo, s9, v29, vcc_lo
	v_add_co_u32 v5, vcc_lo, s8, v5
	v_add_co_ci_u32_e32 v6, vcc_lo, s9, v6, vcc_lo
	s_clause 0x2
	global_load_b32 v15, v[15:16], off
	global_load_b32 v5, v[5:6], off
	;; [unrolled: 1-line block ×3, first 2 shown]
	v_cmp_ge_i32_e32 vcc_lo, v2, v12
	s_or_b32 s2, vcc_lo, s2
	s_waitcnt vmcnt(5)
	v_dual_fmac_f32 v9, v37, v24 :: v_dual_fmac_f32 v10, v32, v14
	s_waitcnt vmcnt(4)
	s_delay_alu instid0(VALU_DEP_1) | instskip(NEXT) | instid1(VALU_DEP_1)
	v_dual_fmac_f32 v11, v26, v24 :: v_dual_fmac_f32 v10, v17, v22
	v_fmac_f32_e32 v10, v36, v23
	s_waitcnt vmcnt(3)
	s_delay_alu instid0(VALU_DEP_1)
	v_fmac_f32_e32 v10, v27, v24
	s_waitcnt vmcnt(2)
	v_fmac_f32_e32 v9, v15, v25
	s_waitcnt vmcnt(1)
	;; [unrolled: 2-line block ×3, first 2 shown]
	v_fmac_f32_e32 v10, v6, v25
	s_and_not1_b32 exec_lo, exec_lo, s2
	s_cbranch_execnz .LBB20_15
; %bb.16:
	s_or_b32 exec_lo, exec_lo, s2
.LBB20_17:
	s_delay_alu instid0(SALU_CYCLE_1)
	s_or_b32 exec_lo, exec_lo, s3
.LBB20_18:
	v_mbcnt_lo_u32_b32 v2, -1, 0
	s_mov_b32 s2, -1
	s_delay_alu instid0(VALU_DEP_1) | instskip(NEXT) | instid1(VALU_DEP_1)
	v_xor_b32_e32 v3, 2, v2
	v_cmp_gt_i32_e32 vcc_lo, 32, v3
	v_cndmask_b32_e32 v3, v2, v3, vcc_lo
	s_delay_alu instid0(VALU_DEP_1) | instskip(SKIP_4) | instid1(VALU_DEP_1)
	v_lshlrev_b32_e32 v3, 2, v3
	ds_bpermute_b32 v4, v3, v9
	ds_bpermute_b32 v5, v3, v11
	ds_bpermute_b32 v6, v3, v10
	v_xor_b32_e32 v3, 1, v2
	v_cmp_gt_i32_e32 vcc_lo, 32, v3
	v_cndmask_b32_e32 v2, v2, v3, vcc_lo
	v_cmp_eq_u32_e32 vcc_lo, 3, v0
	s_waitcnt lgkmcnt(1)
	v_add_f32_e32 v3, v11, v5
	s_delay_alu instid0(VALU_DEP_3)
	v_dual_add_f32 v2, v9, v4 :: v_dual_lshlrev_b32 v7, 2, v2
	s_waitcnt lgkmcnt(0)
	v_add_f32_e32 v4, v10, v6
	ds_bpermute_b32 v6, v7, v3
	ds_bpermute_b32 v5, v7, v2
	;; [unrolled: 1-line block ×3, first 2 shown]
	s_and_b32 exec_lo, exec_lo, vcc_lo
	s_cbranch_execz .LBB20_23
; %bb.19:
	s_load_b64 s[0:1], s[0:1], 0x38
	s_waitcnt lgkmcnt(0)
	v_add_f32_e32 v0, v2, v5
	v_add_f32_e32 v2, v3, v6
	v_add_f32_e32 v4, v4, v7
	v_lshl_add_u32 v3, v1, 1, v1
	v_cmp_eq_f32_e64 s3, s12, 0
	s_delay_alu instid0(VALU_DEP_4) | instskip(NEXT) | instid1(VALU_DEP_4)
	v_dual_mul_f32 v1, s16, v2 :: v_dual_mul_f32 v0, s16, v0
	v_mul_f32_e32 v2, s16, v4
	s_delay_alu instid0(VALU_DEP_4) | instskip(NEXT) | instid1(VALU_DEP_4)
	v_ashrrev_i32_e32 v4, 31, v3
	s_and_b32 vcc_lo, exec_lo, s3
	s_cbranch_vccz .LBB20_21
; %bb.20:
	s_delay_alu instid0(VALU_DEP_1) | instskip(SKIP_1) | instid1(VALU_DEP_1)
	v_lshlrev_b64 v[5:6], 2, v[3:4]
	s_mov_b32 s2, 0
	v_add_co_u32 v5, vcc_lo, s0, v5
	s_delay_alu instid0(VALU_DEP_2)
	v_add_co_ci_u32_e32 v6, vcc_lo, s1, v6, vcc_lo
	global_store_b96 v[5:6], v[0:2], off
.LBB20_21:
	s_and_not1_b32 vcc_lo, exec_lo, s2
	s_cbranch_vccnz .LBB20_23
; %bb.22:
	v_lshlrev_b64 v[3:4], 2, v[3:4]
	s_delay_alu instid0(VALU_DEP_1) | instskip(NEXT) | instid1(VALU_DEP_2)
	v_add_co_u32 v6, vcc_lo, s0, v3
	v_add_co_ci_u32_e32 v7, vcc_lo, s1, v4, vcc_lo
	global_load_b96 v[3:5], v[6:7], off
	s_waitcnt vmcnt(0)
	v_dual_fmac_f32 v0, s12, v3 :: v_dual_fmac_f32 v1, s12, v4
	v_fmac_f32_e32 v2, s12, v5
	global_store_b96 v[6:7], v[0:2], off
.LBB20_23:
	s_nop 0
	s_sendmsg sendmsg(MSG_DEALLOC_VGPRS)
	s_endpgm
	.section	.rodata,"a",@progbits
	.p2align	6, 0x0
	.amdhsa_kernel _ZN9rocsparseL19gebsrmvn_3xn_kernelILj128ELj6ELj4EfEEvi20rocsparse_direction_NS_24const_host_device_scalarIT2_EEPKiS6_PKS3_S8_S4_PS3_21rocsparse_index_base_b
		.amdhsa_group_segment_fixed_size 0
		.amdhsa_private_segment_fixed_size 0
		.amdhsa_kernarg_size 72
		.amdhsa_user_sgpr_count 15
		.amdhsa_user_sgpr_dispatch_ptr 0
		.amdhsa_user_sgpr_queue_ptr 0
		.amdhsa_user_sgpr_kernarg_segment_ptr 1
		.amdhsa_user_sgpr_dispatch_id 0
		.amdhsa_user_sgpr_private_segment_size 0
		.amdhsa_wavefront_size32 1
		.amdhsa_uses_dynamic_stack 0
		.amdhsa_enable_private_segment 0
		.amdhsa_system_sgpr_workgroup_id_x 1
		.amdhsa_system_sgpr_workgroup_id_y 0
		.amdhsa_system_sgpr_workgroup_id_z 0
		.amdhsa_system_sgpr_workgroup_info 0
		.amdhsa_system_vgpr_workitem_id 0
		.amdhsa_next_free_vgpr 39
		.amdhsa_next_free_sgpr 20
		.amdhsa_reserve_vcc 1
		.amdhsa_float_round_mode_32 0
		.amdhsa_float_round_mode_16_64 0
		.amdhsa_float_denorm_mode_32 3
		.amdhsa_float_denorm_mode_16_64 3
		.amdhsa_dx10_clamp 1
		.amdhsa_ieee_mode 1
		.amdhsa_fp16_overflow 0
		.amdhsa_workgroup_processor_mode 1
		.amdhsa_memory_ordered 1
		.amdhsa_forward_progress 0
		.amdhsa_shared_vgpr_count 0
		.amdhsa_exception_fp_ieee_invalid_op 0
		.amdhsa_exception_fp_denorm_src 0
		.amdhsa_exception_fp_ieee_div_zero 0
		.amdhsa_exception_fp_ieee_overflow 0
		.amdhsa_exception_fp_ieee_underflow 0
		.amdhsa_exception_fp_ieee_inexact 0
		.amdhsa_exception_int_div_zero 0
	.end_amdhsa_kernel
	.section	.text._ZN9rocsparseL19gebsrmvn_3xn_kernelILj128ELj6ELj4EfEEvi20rocsparse_direction_NS_24const_host_device_scalarIT2_EEPKiS6_PKS3_S8_S4_PS3_21rocsparse_index_base_b,"axG",@progbits,_ZN9rocsparseL19gebsrmvn_3xn_kernelILj128ELj6ELj4EfEEvi20rocsparse_direction_NS_24const_host_device_scalarIT2_EEPKiS6_PKS3_S8_S4_PS3_21rocsparse_index_base_b,comdat
.Lfunc_end20:
	.size	_ZN9rocsparseL19gebsrmvn_3xn_kernelILj128ELj6ELj4EfEEvi20rocsparse_direction_NS_24const_host_device_scalarIT2_EEPKiS6_PKS3_S8_S4_PS3_21rocsparse_index_base_b, .Lfunc_end20-_ZN9rocsparseL19gebsrmvn_3xn_kernelILj128ELj6ELj4EfEEvi20rocsparse_direction_NS_24const_host_device_scalarIT2_EEPKiS6_PKS3_S8_S4_PS3_21rocsparse_index_base_b
                                        ; -- End function
	.section	.AMDGPU.csdata,"",@progbits
; Kernel info:
; codeLenInByte = 2560
; NumSgprs: 22
; NumVgprs: 39
; ScratchSize: 0
; MemoryBound: 0
; FloatMode: 240
; IeeeMode: 1
; LDSByteSize: 0 bytes/workgroup (compile time only)
; SGPRBlocks: 2
; VGPRBlocks: 4
; NumSGPRsForWavesPerEU: 22
; NumVGPRsForWavesPerEU: 39
; Occupancy: 16
; WaveLimiterHint : 1
; COMPUTE_PGM_RSRC2:SCRATCH_EN: 0
; COMPUTE_PGM_RSRC2:USER_SGPR: 15
; COMPUTE_PGM_RSRC2:TRAP_HANDLER: 0
; COMPUTE_PGM_RSRC2:TGID_X_EN: 1
; COMPUTE_PGM_RSRC2:TGID_Y_EN: 0
; COMPUTE_PGM_RSRC2:TGID_Z_EN: 0
; COMPUTE_PGM_RSRC2:TIDIG_COMP_CNT: 0
	.section	.text._ZN9rocsparseL19gebsrmvn_3xn_kernelILj128ELj6ELj8EfEEvi20rocsparse_direction_NS_24const_host_device_scalarIT2_EEPKiS6_PKS3_S8_S4_PS3_21rocsparse_index_base_b,"axG",@progbits,_ZN9rocsparseL19gebsrmvn_3xn_kernelILj128ELj6ELj8EfEEvi20rocsparse_direction_NS_24const_host_device_scalarIT2_EEPKiS6_PKS3_S8_S4_PS3_21rocsparse_index_base_b,comdat
	.globl	_ZN9rocsparseL19gebsrmvn_3xn_kernelILj128ELj6ELj8EfEEvi20rocsparse_direction_NS_24const_host_device_scalarIT2_EEPKiS6_PKS3_S8_S4_PS3_21rocsparse_index_base_b ; -- Begin function _ZN9rocsparseL19gebsrmvn_3xn_kernelILj128ELj6ELj8EfEEvi20rocsparse_direction_NS_24const_host_device_scalarIT2_EEPKiS6_PKS3_S8_S4_PS3_21rocsparse_index_base_b
	.p2align	8
	.type	_ZN9rocsparseL19gebsrmvn_3xn_kernelILj128ELj6ELj8EfEEvi20rocsparse_direction_NS_24const_host_device_scalarIT2_EEPKiS6_PKS3_S8_S4_PS3_21rocsparse_index_base_b,@function
_ZN9rocsparseL19gebsrmvn_3xn_kernelILj128ELj6ELj8EfEEvi20rocsparse_direction_NS_24const_host_device_scalarIT2_EEPKiS6_PKS3_S8_S4_PS3_21rocsparse_index_base_b: ; @_ZN9rocsparseL19gebsrmvn_3xn_kernelILj128ELj6ELj8EfEEvi20rocsparse_direction_NS_24const_host_device_scalarIT2_EEPKiS6_PKS3_S8_S4_PS3_21rocsparse_index_base_b
; %bb.0:
	s_clause 0x2
	s_load_b64 s[18:19], s[0:1], 0x40
	s_load_b64 s[16:17], s[0:1], 0x8
	;; [unrolled: 1-line block ×3, first 2 shown]
	s_waitcnt lgkmcnt(0)
	s_bitcmp1_b32 s19, 0
	s_cselect_b32 s2, -1, 0
	s_delay_alu instid0(SALU_CYCLE_1)
	s_and_b32 vcc_lo, exec_lo, s2
	s_xor_b32 s2, s2, -1
	s_cbranch_vccnz .LBB21_2
; %bb.1:
	s_load_b32 s16, s[16:17], 0x0
.LBB21_2:
	s_and_not1_b32 vcc_lo, exec_lo, s2
	s_cbranch_vccnz .LBB21_4
; %bb.3:
	s_load_b32 s12, s[12:13], 0x0
.LBB21_4:
	s_waitcnt lgkmcnt(0)
	v_cmp_eq_f32_e64 s2, s16, 0
	v_cmp_eq_f32_e64 s3, s12, 1.0
	s_delay_alu instid0(VALU_DEP_1) | instskip(NEXT) | instid1(SALU_CYCLE_1)
	s_and_b32 s2, s2, s3
	s_and_b32 vcc_lo, exec_lo, s2
	s_cbranch_vccnz .LBB21_23
; %bb.5:
	s_load_b64 s[2:3], s[0:1], 0x0
	v_lshrrev_b32_e32 v1, 3, v0
	s_delay_alu instid0(VALU_DEP_1) | instskip(SKIP_1) | instid1(VALU_DEP_1)
	v_lshl_or_b32 v1, s15, 4, v1
	s_waitcnt lgkmcnt(0)
	v_cmp_gt_i32_e32 vcc_lo, s2, v1
	s_and_saveexec_b32 s2, vcc_lo
	s_cbranch_execz .LBB21_23
; %bb.6:
	s_load_b256 s[4:11], s[0:1], 0x10
	v_ashrrev_i32_e32 v2, 31, v1
	v_and_b32_e32 v0, 7, v0
	s_cmp_lg_u32 s3, 0
	s_delay_alu instid0(VALU_DEP_2) | instskip(SKIP_1) | instid1(VALU_DEP_1)
	v_lshlrev_b64 v[2:3], 2, v[1:2]
	s_waitcnt lgkmcnt(0)
	v_add_co_u32 v2, vcc_lo, s4, v2
	s_delay_alu instid0(VALU_DEP_2) | instskip(SKIP_4) | instid1(VALU_DEP_2)
	v_add_co_ci_u32_e32 v3, vcc_lo, s5, v3, vcc_lo
	global_load_b64 v[2:3], v[2:3], off
	s_waitcnt vmcnt(0)
	v_subrev_nc_u32_e32 v2, s18, v2
	v_subrev_nc_u32_e32 v12, s18, v3
	v_add_nc_u32_e32 v2, v2, v0
	s_delay_alu instid0(VALU_DEP_1)
	v_cmp_lt_i32_e64 s2, v2, v12
	s_cbranch_scc0 .LBB21_12
; %bb.7:
	v_dual_mov_b32 v9, 0 :: v_dual_mov_b32 v10, 0
	v_mov_b32_e32 v11, 0
	s_mov_b32 s3, 0
	s_and_saveexec_b32 s4, s2
	s_cbranch_execz .LBB21_11
; %bb.8:
	v_mad_u64_u32 v[3:4], null, v2, 18, 17
	v_dual_mov_b32 v6, 0 :: v_dual_mov_b32 v7, v2
	v_dual_mov_b32 v9, 0 :: v_dual_mov_b32 v10, 0
	v_mov_b32_e32 v11, 0
	s_mov_b32 s5, 0
.LBB21_9:                               ; =>This Inner Loop Header: Depth=1
	s_delay_alu instid0(VALU_DEP_3) | instskip(SKIP_1) | instid1(VALU_DEP_2)
	v_ashrrev_i32_e32 v8, 31, v7
	v_mov_b32_e32 v14, v6
	v_lshlrev_b64 v[4:5], 2, v[7:8]
	v_add_nc_u32_e32 v7, 8, v7
	s_delay_alu instid0(VALU_DEP_2) | instskip(NEXT) | instid1(VALU_DEP_3)
	v_add_co_u32 v4, vcc_lo, s6, v4
	v_add_co_ci_u32_e32 v5, vcc_lo, s7, v5, vcc_lo
	global_load_b32 v8, v[4:5], off
	v_subrev_nc_u32_e32 v5, 17, v3
	v_mov_b32_e32 v4, v6
	s_delay_alu instid0(VALU_DEP_2) | instskip(SKIP_1) | instid1(VALU_DEP_1)
	v_lshlrev_b64 v[15:16], 2, v[5:6]
	v_add_nc_u32_e32 v5, -15, v3
	v_lshlrev_b64 v[19:20], 2, v[5:6]
	v_add_nc_u32_e32 v5, -14, v3
	v_lshlrev_b64 v[17:18], 2, v[3:4]
	v_add_co_u32 v15, vcc_lo, s8, v15
	v_add_co_ci_u32_e32 v16, vcc_lo, s9, v16, vcc_lo
	s_delay_alu instid0(VALU_DEP_4) | instskip(NEXT) | instid1(VALU_DEP_4)
	v_lshlrev_b64 v[21:22], 2, v[5:6]
	v_add_co_u32 v17, vcc_lo, s8, v17
	v_add_co_ci_u32_e32 v18, vcc_lo, s9, v18, vcc_lo
	v_add_nc_u32_e32 v5, -13, v3
	v_add_co_u32 v19, vcc_lo, s8, v19
	v_add_co_ci_u32_e32 v20, vcc_lo, s9, v20, vcc_lo
	s_delay_alu instid0(VALU_DEP_3)
	v_lshlrev_b64 v[23:24], 2, v[5:6]
	v_add_nc_u32_e32 v5, -12, v3
	s_clause 0x1
	global_load_b64 v[15:16], v[15:16], off
	global_load_b32 v29, v[19:20], off
	v_add_co_u32 v19, vcc_lo, s8, v21
	v_add_co_ci_u32_e32 v20, vcc_lo, s9, v22, vcc_lo
	v_lshlrev_b64 v[21:22], 2, v[5:6]
	v_add_nc_u32_e32 v5, -11, v3
	v_add_co_u32 v23, vcc_lo, s8, v23
	v_add_co_ci_u32_e32 v24, vcc_lo, s9, v24, vcc_lo
	s_delay_alu instid0(VALU_DEP_3)
	v_lshlrev_b64 v[4:5], 2, v[5:6]
	s_clause 0x1
	global_load_b32 v30, v[19:20], off
	global_load_b32 v31, v[23:24], off
	v_add_co_u32 v19, vcc_lo, s8, v21
	v_add_co_ci_u32_e32 v20, vcc_lo, s9, v22, vcc_lo
	v_add_co_u32 v4, vcc_lo, s8, v4
	v_add_co_ci_u32_e32 v5, vcc_lo, s9, v5, vcc_lo
	s_clause 0x1
	global_load_b32 v32, v[19:20], off
	global_load_b32 v33, v[4:5], off
	s_waitcnt vmcnt(6)
	v_subrev_nc_u32_e32 v4, s18, v8
	s_delay_alu instid0(VALU_DEP_1) | instskip(NEXT) | instid1(VALU_DEP_1)
	v_mul_lo_u32 v13, v4, 6
	v_lshlrev_b64 v[19:20], 2, v[13:14]
	s_delay_alu instid0(VALU_DEP_1) | instskip(NEXT) | instid1(VALU_DEP_2)
	v_add_co_u32 v19, vcc_lo, s10, v19
	v_add_co_ci_u32_e32 v20, vcc_lo, s11, v20, vcc_lo
	global_load_b64 v[19:20], v[19:20], off
	v_add_nc_u32_e32 v5, 2, v13
	s_delay_alu instid0(VALU_DEP_1) | instskip(SKIP_1) | instid1(VALU_DEP_1)
	v_lshlrev_b64 v[21:22], 2, v[5:6]
	v_add_nc_u32_e32 v5, -10, v3
	v_lshlrev_b64 v[23:24], 2, v[5:6]
	v_add_nc_u32_e32 v5, -9, v3
	s_delay_alu instid0(VALU_DEP_4) | instskip(SKIP_1) | instid1(VALU_DEP_3)
	v_add_co_u32 v21, vcc_lo, s10, v21
	v_add_co_ci_u32_e32 v22, vcc_lo, s11, v22, vcc_lo
	v_lshlrev_b64 v[25:26], 2, v[5:6]
	v_add_nc_u32_e32 v5, -8, v3
	v_add_co_u32 v23, vcc_lo, s8, v23
	v_add_co_ci_u32_e32 v24, vcc_lo, s9, v24, vcc_lo
	s_delay_alu instid0(VALU_DEP_3)
	v_lshlrev_b64 v[27:28], 2, v[5:6]
	v_add_nc_u32_e32 v5, -7, v3
	global_load_b64 v[21:22], v[21:22], off
	global_load_b32 v8, v[23:24], off
	v_add_co_u32 v23, vcc_lo, s8, v25
	v_add_co_ci_u32_e32 v24, vcc_lo, s9, v26, vcc_lo
	v_lshlrev_b64 v[25:26], 2, v[5:6]
	v_add_co_u32 v27, vcc_lo, s8, v27
	v_add_co_ci_u32_e32 v28, vcc_lo, s9, v28, vcc_lo
	v_add_nc_u32_e32 v5, -6, v3
	s_delay_alu instid0(VALU_DEP_4)
	v_add_co_u32 v25, vcc_lo, s8, v25
	v_add_co_ci_u32_e32 v26, vcc_lo, s9, v26, vcc_lo
	s_clause 0x2
	global_load_b32 v34, v[23:24], off
	global_load_b32 v35, v[27:28], off
	;; [unrolled: 1-line block ×3, first 2 shown]
	v_lshlrev_b64 v[23:24], 2, v[5:6]
	v_add_nc_u32_e32 v5, -5, v3
	s_delay_alu instid0(VALU_DEP_1) | instskip(SKIP_1) | instid1(VALU_DEP_4)
	v_lshlrev_b64 v[27:28], 2, v[5:6]
	v_add_nc_u32_e32 v5, 4, v13
	v_add_co_u32 v13, vcc_lo, s8, v23
	v_add_co_ci_u32_e32 v14, vcc_lo, s9, v24, vcc_lo
	s_delay_alu instid0(VALU_DEP_3)
	v_lshlrev_b64 v[23:24], 2, v[5:6]
	v_add_nc_u32_e32 v5, -4, v3
	global_load_b32 v37, v[13:14], off
	v_add_co_u32 v13, vcc_lo, s8, v27
	v_add_co_ci_u32_e32 v14, vcc_lo, s9, v28, vcc_lo
	v_lshlrev_b64 v[25:26], 2, v[5:6]
	v_add_nc_u32_e32 v5, -3, v3
	v_add_co_u32 v23, vcc_lo, s10, v23
	global_load_b32 v38, v[13:14], off
	v_add_co_ci_u32_e32 v24, vcc_lo, s11, v24, vcc_lo
	v_lshlrev_b64 v[13:14], 2, v[5:6]
	v_add_nc_u32_e32 v5, -2, v3
	v_add_co_u32 v25, vcc_lo, s8, v25
	v_add_co_ci_u32_e32 v26, vcc_lo, s9, v26, vcc_lo
	s_delay_alu instid0(VALU_DEP_3) | instskip(SKIP_3) | instid1(VALU_DEP_3)
	v_lshlrev_b64 v[27:28], 2, v[5:6]
	v_add_nc_u32_e32 v5, -1, v3
	v_add_co_u32 v13, vcc_lo, s8, v13
	v_add_co_ci_u32_e32 v14, vcc_lo, s9, v14, vcc_lo
	v_lshlrev_b64 v[4:5], 2, v[5:6]
	global_load_b32 v25, v[25:26], off
	global_load_b64 v[23:24], v[23:24], off
	global_load_b32 v26, v[13:14], off
	v_add_co_u32 v13, vcc_lo, s8, v27
	v_add_co_ci_u32_e32 v14, vcc_lo, s9, v28, vcc_lo
	v_add_co_u32 v4, vcc_lo, s8, v4
	v_add_co_ci_u32_e32 v5, vcc_lo, s9, v5, vcc_lo
	s_clause 0x2
	global_load_b32 v13, v[13:14], off
	global_load_b32 v4, v[4:5], off
	;; [unrolled: 1-line block ×3, first 2 shown]
	v_cmp_ge_i32_e32 vcc_lo, v7, v12
	v_add_nc_u32_e32 v3, 0x90, v3
	s_or_b32 s5, vcc_lo, s5
	s_waitcnt vmcnt(13)
	v_fmac_f32_e32 v10, v29, v19
	v_fmac_f32_e32 v11, v16, v19
	s_delay_alu instid0(VALU_DEP_2) | instskip(NEXT) | instid1(VALU_DEP_2)
	v_fmac_f32_e32 v10, v32, v20
	v_fmac_f32_e32 v11, v31, v20
	s_waitcnt vmcnt(11)
	s_delay_alu instid0(VALU_DEP_1) | instskip(SKIP_1) | instid1(VALU_DEP_1)
	v_fmac_f32_e32 v11, v8, v21
	s_waitcnt vmcnt(8)
	v_dual_fmac_f32 v10, v34, v21 :: v_dual_fmac_f32 v11, v36, v22
	s_waitcnt vmcnt(7)
	s_delay_alu instid0(VALU_DEP_1) | instskip(SKIP_1) | instid1(VALU_DEP_2)
	v_fmac_f32_e32 v10, v37, v22
	s_waitcnt vmcnt(4)
	v_fmac_f32_e32 v11, v25, v23
	s_waitcnt vmcnt(3)
	s_delay_alu instid0(VALU_DEP_2)
	v_fmac_f32_e32 v10, v26, v23
	v_fmac_f32_e32 v9, v15, v19
	s_waitcnt vmcnt(1)
	v_fmac_f32_e32 v11, v4, v24
	s_waitcnt vmcnt(0)
	v_fmac_f32_e32 v10, v5, v24
	v_fmac_f32_e32 v9, v30, v20
	s_delay_alu instid0(VALU_DEP_1) | instskip(NEXT) | instid1(VALU_DEP_1)
	v_fmac_f32_e32 v9, v33, v21
	v_fmac_f32_e32 v9, v35, v22
	s_delay_alu instid0(VALU_DEP_1) | instskip(NEXT) | instid1(VALU_DEP_1)
	v_fmac_f32_e32 v9, v38, v23
	v_fmac_f32_e32 v9, v13, v24
	s_and_not1_b32 exec_lo, exec_lo, s5
	s_cbranch_execnz .LBB21_9
; %bb.10:
	s_or_b32 exec_lo, exec_lo, s5
.LBB21_11:
	s_delay_alu instid0(SALU_CYCLE_1) | instskip(NEXT) | instid1(SALU_CYCLE_1)
	s_or_b32 exec_lo, exec_lo, s4
	s_and_not1_b32 vcc_lo, exec_lo, s3
	s_cbranch_vccz .LBB21_13
	s_branch .LBB21_18
.LBB21_12:
                                        ; implicit-def: $vgpr9
                                        ; implicit-def: $vgpr10
                                        ; implicit-def: $vgpr11
.LBB21_13:
	v_dual_mov_b32 v9, 0 :: v_dual_mov_b32 v10, 0
	v_mov_b32_e32 v11, 0
	s_delay_alu instid0(VALU_DEP_3)
	s_and_saveexec_b32 s3, s2
	s_cbranch_execz .LBB21_17
; %bb.14:
	v_mad_u64_u32 v[4:5], null, v2, 18, 17
	v_dual_mov_b32 v7, 0 :: v_dual_mov_b32 v10, 0
	v_mov_b32_e32 v9, 0
	v_mov_b32_e32 v11, 0
	s_mov_b32 s2, 0
.LBB21_15:                              ; =>This Inner Loop Header: Depth=1
	v_ashrrev_i32_e32 v3, 31, v2
	v_dual_mov_b32 v14, v7 :: v_dual_add_nc_u32 v13, -11, v4
	v_dual_mov_b32 v16, v7 :: v_dual_add_nc_u32 v15, -5, v4
	s_delay_alu instid0(VALU_DEP_3) | instskip(SKIP_1) | instid1(VALU_DEP_4)
	v_lshlrev_b64 v[5:6], 2, v[2:3]
	v_mov_b32_e32 v17, v7
	v_lshlrev_b64 v[13:14], 2, v[13:14]
	v_add_nc_u32_e32 v2, 8, v2
	v_lshlrev_b64 v[15:16], 2, v[15:16]
	v_add_co_u32 v5, vcc_lo, s6, v5
	v_add_co_ci_u32_e32 v6, vcc_lo, s7, v6, vcc_lo
	global_load_b32 v3, v[5:6], off
	v_subrev_nc_u32_e32 v6, 17, v4
	v_mov_b32_e32 v5, v7
	s_delay_alu instid0(VALU_DEP_2) | instskip(SKIP_1) | instid1(VALU_DEP_1)
	v_lshlrev_b64 v[18:19], 2, v[6:7]
	v_add_nc_u32_e32 v6, -10, v4
	v_lshlrev_b64 v[22:23], 2, v[6:7]
	v_add_nc_u32_e32 v6, -4, v4
	s_delay_alu instid0(VALU_DEP_4)
	v_add_co_u32 v18, vcc_lo, s8, v18
	v_add_co_ci_u32_e32 v19, vcc_lo, s9, v19, vcc_lo
	v_add_co_u32 v13, vcc_lo, s8, v13
	v_add_co_ci_u32_e32 v14, vcc_lo, s9, v14, vcc_lo
	v_add_co_u32 v15, vcc_lo, s8, v15
	v_lshlrev_b64 v[20:21], 2, v[4:5]
	v_add_co_ci_u32_e32 v16, vcc_lo, s9, v16, vcc_lo
	v_lshlrev_b64 v[24:25], 2, v[6:7]
	s_clause 0x2
	global_load_b64 v[18:19], v[18:19], off
	global_load_b32 v8, v[13:14], off
	global_load_b32 v30, v[15:16], off
	v_add_nc_u32_e32 v6, -15, v4
	v_add_co_u32 v20, vcc_lo, s8, v20
	v_add_co_ci_u32_e32 v21, vcc_lo, s9, v21, vcc_lo
	v_add_co_u32 v22, vcc_lo, s8, v22
	s_delay_alu instid0(VALU_DEP_4) | instskip(SKIP_3) | instid1(VALU_DEP_4)
	v_lshlrev_b64 v[5:6], 2, v[6:7]
	v_add_co_ci_u32_e32 v23, vcc_lo, s9, v23, vcc_lo
	v_add_co_u32 v13, vcc_lo, s8, v24
	v_add_co_ci_u32_e32 v14, vcc_lo, s9, v25, vcc_lo
	v_add_co_u32 v5, vcc_lo, s8, v5
	v_add_co_ci_u32_e32 v6, vcc_lo, s9, v6, vcc_lo
	s_clause 0x2
	global_load_b32 v31, v[22:23], off
	global_load_b32 v32, v[13:14], off
	global_load_b32 v33, v[5:6], off
	s_waitcnt vmcnt(6)
	v_subrev_nc_u32_e32 v3, s18, v3
	s_delay_alu instid0(VALU_DEP_1) | instskip(NEXT) | instid1(VALU_DEP_1)
	v_mul_lo_u32 v16, v3, 6
	v_lshlrev_b64 v[13:14], 2, v[16:17]
	s_delay_alu instid0(VALU_DEP_1) | instskip(NEXT) | instid1(VALU_DEP_2)
	v_add_co_u32 v13, vcc_lo, s10, v13
	v_add_co_ci_u32_e32 v14, vcc_lo, s11, v14, vcc_lo
	global_load_b64 v[13:14], v[13:14], off
	s_waitcnt vmcnt(0)
	v_dual_fmac_f32 v11, v8, v13 :: v_dual_add_nc_u32 v6, 2, v16
	s_delay_alu instid0(VALU_DEP_1) | instskip(SKIP_1) | instid1(VALU_DEP_3)
	v_lshlrev_b64 v[22:23], 2, v[6:7]
	v_dual_fmac_f32 v9, v18, v13 :: v_dual_add_nc_u32 v6, -9, v4
	v_fmac_f32_e32 v11, v31, v14
	s_delay_alu instid0(VALU_DEP_2) | instskip(NEXT) | instid1(VALU_DEP_3)
	v_fmac_f32_e32 v9, v19, v14
	v_lshlrev_b64 v[24:25], 2, v[6:7]
	v_add_co_u32 v22, vcc_lo, s10, v22
	v_add_co_ci_u32_e32 v23, vcc_lo, s11, v23, vcc_lo
	v_add_nc_u32_e32 v6, -3, v4
	s_delay_alu instid0(VALU_DEP_4)
	v_add_co_u32 v24, vcc_lo, s8, v24
	v_add_co_ci_u32_e32 v25, vcc_lo, s9, v25, vcc_lo
	global_load_b64 v[22:23], v[22:23], off
	v_lshlrev_b64 v[26:27], 2, v[6:7]
	v_add_nc_u32_e32 v6, -14, v4
	global_load_b32 v3, v[24:25], off
	v_add_co_u32 v24, vcc_lo, s8, v26
	v_add_co_ci_u32_e32 v25, vcc_lo, s9, v27, vcc_lo
	global_load_b32 v17, v[24:25], off
	s_waitcnt vmcnt(2)
	v_fmac_f32_e32 v9, v33, v22
	v_lshlrev_b64 v[28:29], 2, v[6:7]
	s_waitcnt vmcnt(1)
	v_dual_fmac_f32 v11, v3, v22 :: v_dual_add_nc_u32 v6, -8, v4
	s_delay_alu instid0(VALU_DEP_1) | instskip(NEXT) | instid1(VALU_DEP_3)
	v_lshlrev_b64 v[26:27], 2, v[6:7]
	v_add_co_u32 v28, vcc_lo, s8, v28
	s_delay_alu instid0(VALU_DEP_4) | instskip(NEXT) | instid1(VALU_DEP_3)
	v_add_co_ci_u32_e32 v29, vcc_lo, s9, v29, vcc_lo
	v_add_co_u32 v26, vcc_lo, s8, v26
	global_load_b32 v34, v[28:29], off
	v_add_co_ci_u32_e32 v27, vcc_lo, s9, v27, vcc_lo
	global_load_b32 v35, v[26:27], off
	s_waitcnt vmcnt(1)
	v_dual_fmac_f32 v9, v34, v23 :: v_dual_add_nc_u32 v6, -2, v4
	s_delay_alu instid0(VALU_DEP_1) | instskip(SKIP_2) | instid1(VALU_DEP_1)
	v_lshlrev_b64 v[24:25], 2, v[6:7]
	s_waitcnt vmcnt(0)
	v_dual_fmac_f32 v11, v35, v23 :: v_dual_add_nc_u32 v6, -13, v4
	v_lshlrev_b64 v[28:29], 2, v[6:7]
	v_add_nc_u32_e32 v6, 4, v16
	s_delay_alu instid0(VALU_DEP_4) | instskip(SKIP_1) | instid1(VALU_DEP_3)
	v_add_co_u32 v15, vcc_lo, s8, v24
	v_add_co_ci_u32_e32 v16, vcc_lo, s9, v25, vcc_lo
	v_lshlrev_b64 v[24:25], 2, v[6:7]
	global_load_b32 v36, v[15:16], off
	v_add_co_u32 v15, vcc_lo, s8, v28
	v_add_co_ci_u32_e32 v16, vcc_lo, s9, v29, vcc_lo
	v_add_co_u32 v24, vcc_lo, s10, v24
	v_add_co_ci_u32_e32 v25, vcc_lo, s11, v25, vcc_lo
	global_load_b32 v37, v[15:16], off
	global_load_b64 v[24:25], v[24:25], off
	v_add_nc_u32_e32 v6, -7, v4
	v_fmac_f32_e32 v10, v30, v13
	s_delay_alu instid0(VALU_DEP_2) | instskip(SKIP_1) | instid1(VALU_DEP_1)
	v_lshlrev_b64 v[26:27], 2, v[6:7]
	v_add_nc_u32_e32 v6, -1, v4
	v_lshlrev_b64 v[15:16], 2, v[6:7]
	v_add_nc_u32_e32 v6, -12, v4
	s_delay_alu instid0(VALU_DEP_4) | instskip(SKIP_1) | instid1(VALU_DEP_3)
	v_add_co_u32 v26, vcc_lo, s8, v26
	v_add_co_ci_u32_e32 v27, vcc_lo, s9, v27, vcc_lo
	v_lshlrev_b64 v[28:29], 2, v[6:7]
	v_add_nc_u32_e32 v6, -6, v4
	v_add_co_u32 v15, vcc_lo, s8, v15
	global_load_b32 v26, v[26:27], off
	v_add_co_ci_u32_e32 v16, vcc_lo, s9, v16, vcc_lo
	v_lshlrev_b64 v[5:6], 2, v[6:7]
	v_add_nc_u32_e32 v4, 0x90, v4
	global_load_b32 v27, v[15:16], off
	v_add_co_u32 v15, vcc_lo, s8, v28
	v_add_co_ci_u32_e32 v16, vcc_lo, s9, v29, vcc_lo
	v_add_co_u32 v5, vcc_lo, s8, v5
	v_add_co_ci_u32_e32 v6, vcc_lo, s9, v6, vcc_lo
	s_clause 0x2
	global_load_b32 v15, v[15:16], off
	global_load_b32 v5, v[5:6], off
	;; [unrolled: 1-line block ×3, first 2 shown]
	v_cmp_ge_i32_e32 vcc_lo, v2, v12
	s_or_b32 s2, vcc_lo, s2
	s_waitcnt vmcnt(5)
	v_dual_fmac_f32 v9, v37, v24 :: v_dual_fmac_f32 v10, v32, v14
	s_waitcnt vmcnt(4)
	s_delay_alu instid0(VALU_DEP_1) | instskip(NEXT) | instid1(VALU_DEP_1)
	v_dual_fmac_f32 v11, v26, v24 :: v_dual_fmac_f32 v10, v17, v22
	v_fmac_f32_e32 v10, v36, v23
	s_waitcnt vmcnt(3)
	s_delay_alu instid0(VALU_DEP_1)
	v_fmac_f32_e32 v10, v27, v24
	s_waitcnt vmcnt(2)
	v_fmac_f32_e32 v9, v15, v25
	s_waitcnt vmcnt(1)
	;; [unrolled: 2-line block ×3, first 2 shown]
	v_fmac_f32_e32 v10, v6, v25
	s_and_not1_b32 exec_lo, exec_lo, s2
	s_cbranch_execnz .LBB21_15
; %bb.16:
	s_or_b32 exec_lo, exec_lo, s2
.LBB21_17:
	s_delay_alu instid0(SALU_CYCLE_1)
	s_or_b32 exec_lo, exec_lo, s3
.LBB21_18:
	v_mbcnt_lo_u32_b32 v2, -1, 0
	s_mov_b32 s2, -1
	s_delay_alu instid0(VALU_DEP_1) | instskip(SKIP_1) | instid1(VALU_DEP_2)
	v_xor_b32_e32 v3, 4, v2
	v_xor_b32_e32 v6, 2, v2
	v_cmp_gt_i32_e32 vcc_lo, 32, v3
	v_cndmask_b32_e32 v3, v2, v3, vcc_lo
	s_delay_alu instid0(VALU_DEP_3) | instskip(SKIP_1) | instid1(VALU_DEP_1)
	v_cmp_gt_i32_e32 vcc_lo, 32, v6
	v_cndmask_b32_e32 v6, v2, v6, vcc_lo
	v_lshlrev_b32_e32 v6, 2, v6
	s_delay_alu instid0(VALU_DEP_4)
	v_lshlrev_b32_e32 v3, 2, v3
	ds_bpermute_b32 v4, v3, v9
	s_waitcnt lgkmcnt(0)
	v_add_f32_e32 v4, v9, v4
	ds_bpermute_b32 v5, v3, v11
	ds_bpermute_b32 v3, v3, v10
	v_xor_b32_e32 v9, 1, v2
	s_delay_alu instid0(VALU_DEP_1)
	v_cmp_gt_i32_e32 vcc_lo, 32, v9
	s_waitcnt lgkmcnt(1)
	v_add_f32_e32 v5, v11, v5
	s_waitcnt lgkmcnt(0)
	v_add_f32_e32 v7, v10, v3
	ds_bpermute_b32 v3, v6, v4
	ds_bpermute_b32 v8, v6, v5
	;; [unrolled: 1-line block ×3, first 2 shown]
	v_cndmask_b32_e32 v2, v2, v9, vcc_lo
	v_cmp_eq_u32_e32 vcc_lo, 7, v0
	s_waitcnt lgkmcnt(2)
	s_delay_alu instid0(VALU_DEP_2)
	v_dual_add_f32 v2, v4, v3 :: v_dual_lshlrev_b32 v9, 2, v2
	s_waitcnt lgkmcnt(0)
	v_dual_add_f32 v3, v5, v8 :: v_dual_add_f32 v4, v7, v6
	ds_bpermute_b32 v5, v9, v2
	ds_bpermute_b32 v6, v9, v3
	;; [unrolled: 1-line block ×3, first 2 shown]
	s_and_b32 exec_lo, exec_lo, vcc_lo
	s_cbranch_execz .LBB21_23
; %bb.19:
	s_load_b64 s[0:1], s[0:1], 0x38
	s_waitcnt lgkmcnt(0)
	v_add_f32_e32 v0, v2, v5
	v_add_f32_e32 v2, v3, v6
	v_add_f32_e32 v4, v4, v7
	v_lshl_add_u32 v3, v1, 1, v1
	v_cmp_eq_f32_e64 s3, s12, 0
	s_delay_alu instid0(VALU_DEP_4) | instskip(NEXT) | instid1(VALU_DEP_4)
	v_dual_mul_f32 v1, s16, v2 :: v_dual_mul_f32 v0, s16, v0
	v_mul_f32_e32 v2, s16, v4
	s_delay_alu instid0(VALU_DEP_4) | instskip(NEXT) | instid1(VALU_DEP_4)
	v_ashrrev_i32_e32 v4, 31, v3
	s_and_b32 vcc_lo, exec_lo, s3
	s_cbranch_vccz .LBB21_21
; %bb.20:
	s_delay_alu instid0(VALU_DEP_1) | instskip(SKIP_1) | instid1(VALU_DEP_1)
	v_lshlrev_b64 v[5:6], 2, v[3:4]
	s_mov_b32 s2, 0
	v_add_co_u32 v5, vcc_lo, s0, v5
	s_delay_alu instid0(VALU_DEP_2)
	v_add_co_ci_u32_e32 v6, vcc_lo, s1, v6, vcc_lo
	global_store_b96 v[5:6], v[0:2], off
.LBB21_21:
	s_and_not1_b32 vcc_lo, exec_lo, s2
	s_cbranch_vccnz .LBB21_23
; %bb.22:
	v_lshlrev_b64 v[3:4], 2, v[3:4]
	s_delay_alu instid0(VALU_DEP_1) | instskip(NEXT) | instid1(VALU_DEP_2)
	v_add_co_u32 v6, vcc_lo, s0, v3
	v_add_co_ci_u32_e32 v7, vcc_lo, s1, v4, vcc_lo
	global_load_b96 v[3:5], v[6:7], off
	s_waitcnt vmcnt(0)
	v_dual_fmac_f32 v0, s12, v3 :: v_dual_fmac_f32 v1, s12, v4
	v_fmac_f32_e32 v2, s12, v5
	global_store_b96 v[6:7], v[0:2], off
.LBB21_23:
	s_nop 0
	s_sendmsg sendmsg(MSG_DEALLOC_VGPRS)
	s_endpgm
	.section	.rodata,"a",@progbits
	.p2align	6, 0x0
	.amdhsa_kernel _ZN9rocsparseL19gebsrmvn_3xn_kernelILj128ELj6ELj8EfEEvi20rocsparse_direction_NS_24const_host_device_scalarIT2_EEPKiS6_PKS3_S8_S4_PS3_21rocsparse_index_base_b
		.amdhsa_group_segment_fixed_size 0
		.amdhsa_private_segment_fixed_size 0
		.amdhsa_kernarg_size 72
		.amdhsa_user_sgpr_count 15
		.amdhsa_user_sgpr_dispatch_ptr 0
		.amdhsa_user_sgpr_queue_ptr 0
		.amdhsa_user_sgpr_kernarg_segment_ptr 1
		.amdhsa_user_sgpr_dispatch_id 0
		.amdhsa_user_sgpr_private_segment_size 0
		.amdhsa_wavefront_size32 1
		.amdhsa_uses_dynamic_stack 0
		.amdhsa_enable_private_segment 0
		.amdhsa_system_sgpr_workgroup_id_x 1
		.amdhsa_system_sgpr_workgroup_id_y 0
		.amdhsa_system_sgpr_workgroup_id_z 0
		.amdhsa_system_sgpr_workgroup_info 0
		.amdhsa_system_vgpr_workitem_id 0
		.amdhsa_next_free_vgpr 39
		.amdhsa_next_free_sgpr 20
		.amdhsa_reserve_vcc 1
		.amdhsa_float_round_mode_32 0
		.amdhsa_float_round_mode_16_64 0
		.amdhsa_float_denorm_mode_32 3
		.amdhsa_float_denorm_mode_16_64 3
		.amdhsa_dx10_clamp 1
		.amdhsa_ieee_mode 1
		.amdhsa_fp16_overflow 0
		.amdhsa_workgroup_processor_mode 1
		.amdhsa_memory_ordered 1
		.amdhsa_forward_progress 0
		.amdhsa_shared_vgpr_count 0
		.amdhsa_exception_fp_ieee_invalid_op 0
		.amdhsa_exception_fp_denorm_src 0
		.amdhsa_exception_fp_ieee_div_zero 0
		.amdhsa_exception_fp_ieee_overflow 0
		.amdhsa_exception_fp_ieee_underflow 0
		.amdhsa_exception_fp_ieee_inexact 0
		.amdhsa_exception_int_div_zero 0
	.end_amdhsa_kernel
	.section	.text._ZN9rocsparseL19gebsrmvn_3xn_kernelILj128ELj6ELj8EfEEvi20rocsparse_direction_NS_24const_host_device_scalarIT2_EEPKiS6_PKS3_S8_S4_PS3_21rocsparse_index_base_b,"axG",@progbits,_ZN9rocsparseL19gebsrmvn_3xn_kernelILj128ELj6ELj8EfEEvi20rocsparse_direction_NS_24const_host_device_scalarIT2_EEPKiS6_PKS3_S8_S4_PS3_21rocsparse_index_base_b,comdat
.Lfunc_end21:
	.size	_ZN9rocsparseL19gebsrmvn_3xn_kernelILj128ELj6ELj8EfEEvi20rocsparse_direction_NS_24const_host_device_scalarIT2_EEPKiS6_PKS3_S8_S4_PS3_21rocsparse_index_base_b, .Lfunc_end21-_ZN9rocsparseL19gebsrmvn_3xn_kernelILj128ELj6ELj8EfEEvi20rocsparse_direction_NS_24const_host_device_scalarIT2_EEPKiS6_PKS3_S8_S4_PS3_21rocsparse_index_base_b
                                        ; -- End function
	.section	.AMDGPU.csdata,"",@progbits
; Kernel info:
; codeLenInByte = 2632
; NumSgprs: 22
; NumVgprs: 39
; ScratchSize: 0
; MemoryBound: 0
; FloatMode: 240
; IeeeMode: 1
; LDSByteSize: 0 bytes/workgroup (compile time only)
; SGPRBlocks: 2
; VGPRBlocks: 4
; NumSGPRsForWavesPerEU: 22
; NumVGPRsForWavesPerEU: 39
; Occupancy: 16
; WaveLimiterHint : 1
; COMPUTE_PGM_RSRC2:SCRATCH_EN: 0
; COMPUTE_PGM_RSRC2:USER_SGPR: 15
; COMPUTE_PGM_RSRC2:TRAP_HANDLER: 0
; COMPUTE_PGM_RSRC2:TGID_X_EN: 1
; COMPUTE_PGM_RSRC2:TGID_Y_EN: 0
; COMPUTE_PGM_RSRC2:TGID_Z_EN: 0
; COMPUTE_PGM_RSRC2:TIDIG_COMP_CNT: 0
	.section	.text._ZN9rocsparseL19gebsrmvn_3xn_kernelILj128ELj6ELj16EfEEvi20rocsparse_direction_NS_24const_host_device_scalarIT2_EEPKiS6_PKS3_S8_S4_PS3_21rocsparse_index_base_b,"axG",@progbits,_ZN9rocsparseL19gebsrmvn_3xn_kernelILj128ELj6ELj16EfEEvi20rocsparse_direction_NS_24const_host_device_scalarIT2_EEPKiS6_PKS3_S8_S4_PS3_21rocsparse_index_base_b,comdat
	.globl	_ZN9rocsparseL19gebsrmvn_3xn_kernelILj128ELj6ELj16EfEEvi20rocsparse_direction_NS_24const_host_device_scalarIT2_EEPKiS6_PKS3_S8_S4_PS3_21rocsparse_index_base_b ; -- Begin function _ZN9rocsparseL19gebsrmvn_3xn_kernelILj128ELj6ELj16EfEEvi20rocsparse_direction_NS_24const_host_device_scalarIT2_EEPKiS6_PKS3_S8_S4_PS3_21rocsparse_index_base_b
	.p2align	8
	.type	_ZN9rocsparseL19gebsrmvn_3xn_kernelILj128ELj6ELj16EfEEvi20rocsparse_direction_NS_24const_host_device_scalarIT2_EEPKiS6_PKS3_S8_S4_PS3_21rocsparse_index_base_b,@function
_ZN9rocsparseL19gebsrmvn_3xn_kernelILj128ELj6ELj16EfEEvi20rocsparse_direction_NS_24const_host_device_scalarIT2_EEPKiS6_PKS3_S8_S4_PS3_21rocsparse_index_base_b: ; @_ZN9rocsparseL19gebsrmvn_3xn_kernelILj128ELj6ELj16EfEEvi20rocsparse_direction_NS_24const_host_device_scalarIT2_EEPKiS6_PKS3_S8_S4_PS3_21rocsparse_index_base_b
; %bb.0:
	s_clause 0x2
	s_load_b64 s[18:19], s[0:1], 0x40
	s_load_b64 s[16:17], s[0:1], 0x8
	;; [unrolled: 1-line block ×3, first 2 shown]
	s_waitcnt lgkmcnt(0)
	s_bitcmp1_b32 s19, 0
	s_cselect_b32 s2, -1, 0
	s_delay_alu instid0(SALU_CYCLE_1)
	s_and_b32 vcc_lo, exec_lo, s2
	s_xor_b32 s2, s2, -1
	s_cbranch_vccnz .LBB22_2
; %bb.1:
	s_load_b32 s16, s[16:17], 0x0
.LBB22_2:
	s_and_not1_b32 vcc_lo, exec_lo, s2
	s_cbranch_vccnz .LBB22_4
; %bb.3:
	s_load_b32 s12, s[12:13], 0x0
.LBB22_4:
	s_waitcnt lgkmcnt(0)
	v_cmp_eq_f32_e64 s2, s16, 0
	v_cmp_eq_f32_e64 s3, s12, 1.0
	s_delay_alu instid0(VALU_DEP_1) | instskip(NEXT) | instid1(SALU_CYCLE_1)
	s_and_b32 s2, s2, s3
	s_and_b32 vcc_lo, exec_lo, s2
	s_cbranch_vccnz .LBB22_23
; %bb.5:
	s_load_b64 s[2:3], s[0:1], 0x0
	v_lshrrev_b32_e32 v1, 4, v0
	s_delay_alu instid0(VALU_DEP_1) | instskip(SKIP_1) | instid1(VALU_DEP_1)
	v_lshl_or_b32 v1, s15, 3, v1
	s_waitcnt lgkmcnt(0)
	v_cmp_gt_i32_e32 vcc_lo, s2, v1
	s_and_saveexec_b32 s2, vcc_lo
	s_cbranch_execz .LBB22_23
; %bb.6:
	s_load_b256 s[4:11], s[0:1], 0x10
	v_ashrrev_i32_e32 v2, 31, v1
	v_and_b32_e32 v0, 15, v0
	s_cmp_lg_u32 s3, 0
	s_delay_alu instid0(VALU_DEP_2) | instskip(SKIP_1) | instid1(VALU_DEP_1)
	v_lshlrev_b64 v[2:3], 2, v[1:2]
	s_waitcnt lgkmcnt(0)
	v_add_co_u32 v2, vcc_lo, s4, v2
	s_delay_alu instid0(VALU_DEP_2) | instskip(SKIP_4) | instid1(VALU_DEP_2)
	v_add_co_ci_u32_e32 v3, vcc_lo, s5, v3, vcc_lo
	global_load_b64 v[2:3], v[2:3], off
	s_waitcnt vmcnt(0)
	v_subrev_nc_u32_e32 v2, s18, v2
	v_subrev_nc_u32_e32 v12, s18, v3
	v_add_nc_u32_e32 v2, v2, v0
	s_delay_alu instid0(VALU_DEP_1)
	v_cmp_lt_i32_e64 s2, v2, v12
	s_cbranch_scc0 .LBB22_12
; %bb.7:
	v_dual_mov_b32 v9, 0 :: v_dual_mov_b32 v10, 0
	v_mov_b32_e32 v11, 0
	s_mov_b32 s3, 0
	s_and_saveexec_b32 s4, s2
	s_cbranch_execz .LBB22_11
; %bb.8:
	v_mad_u64_u32 v[3:4], null, v2, 18, 17
	v_dual_mov_b32 v6, 0 :: v_dual_mov_b32 v7, v2
	v_dual_mov_b32 v9, 0 :: v_dual_mov_b32 v10, 0
	v_mov_b32_e32 v11, 0
	s_mov_b32 s5, 0
.LBB22_9:                               ; =>This Inner Loop Header: Depth=1
	s_delay_alu instid0(VALU_DEP_3) | instskip(SKIP_1) | instid1(VALU_DEP_2)
	v_ashrrev_i32_e32 v8, 31, v7
	v_mov_b32_e32 v14, v6
	v_lshlrev_b64 v[4:5], 2, v[7:8]
	v_add_nc_u32_e32 v7, 16, v7
	s_delay_alu instid0(VALU_DEP_2) | instskip(NEXT) | instid1(VALU_DEP_3)
	v_add_co_u32 v4, vcc_lo, s6, v4
	v_add_co_ci_u32_e32 v5, vcc_lo, s7, v5, vcc_lo
	global_load_b32 v8, v[4:5], off
	v_subrev_nc_u32_e32 v5, 17, v3
	v_mov_b32_e32 v4, v6
	s_delay_alu instid0(VALU_DEP_2) | instskip(SKIP_1) | instid1(VALU_DEP_1)
	v_lshlrev_b64 v[15:16], 2, v[5:6]
	v_add_nc_u32_e32 v5, -15, v3
	v_lshlrev_b64 v[19:20], 2, v[5:6]
	v_add_nc_u32_e32 v5, -14, v3
	v_lshlrev_b64 v[17:18], 2, v[3:4]
	v_add_co_u32 v15, vcc_lo, s8, v15
	v_add_co_ci_u32_e32 v16, vcc_lo, s9, v16, vcc_lo
	s_delay_alu instid0(VALU_DEP_4) | instskip(NEXT) | instid1(VALU_DEP_4)
	v_lshlrev_b64 v[21:22], 2, v[5:6]
	v_add_co_u32 v17, vcc_lo, s8, v17
	v_add_co_ci_u32_e32 v18, vcc_lo, s9, v18, vcc_lo
	v_add_nc_u32_e32 v5, -13, v3
	v_add_co_u32 v19, vcc_lo, s8, v19
	v_add_co_ci_u32_e32 v20, vcc_lo, s9, v20, vcc_lo
	s_delay_alu instid0(VALU_DEP_3)
	v_lshlrev_b64 v[23:24], 2, v[5:6]
	v_add_nc_u32_e32 v5, -12, v3
	s_clause 0x1
	global_load_b64 v[15:16], v[15:16], off
	global_load_b32 v29, v[19:20], off
	v_add_co_u32 v19, vcc_lo, s8, v21
	v_add_co_ci_u32_e32 v20, vcc_lo, s9, v22, vcc_lo
	v_lshlrev_b64 v[21:22], 2, v[5:6]
	v_add_nc_u32_e32 v5, -11, v3
	v_add_co_u32 v23, vcc_lo, s8, v23
	v_add_co_ci_u32_e32 v24, vcc_lo, s9, v24, vcc_lo
	s_delay_alu instid0(VALU_DEP_3)
	v_lshlrev_b64 v[4:5], 2, v[5:6]
	s_clause 0x1
	global_load_b32 v30, v[19:20], off
	global_load_b32 v31, v[23:24], off
	v_add_co_u32 v19, vcc_lo, s8, v21
	v_add_co_ci_u32_e32 v20, vcc_lo, s9, v22, vcc_lo
	v_add_co_u32 v4, vcc_lo, s8, v4
	v_add_co_ci_u32_e32 v5, vcc_lo, s9, v5, vcc_lo
	s_clause 0x1
	global_load_b32 v32, v[19:20], off
	global_load_b32 v33, v[4:5], off
	s_waitcnt vmcnt(6)
	v_subrev_nc_u32_e32 v4, s18, v8
	s_delay_alu instid0(VALU_DEP_1) | instskip(NEXT) | instid1(VALU_DEP_1)
	v_mul_lo_u32 v13, v4, 6
	v_lshlrev_b64 v[19:20], 2, v[13:14]
	s_delay_alu instid0(VALU_DEP_1) | instskip(NEXT) | instid1(VALU_DEP_2)
	v_add_co_u32 v19, vcc_lo, s10, v19
	v_add_co_ci_u32_e32 v20, vcc_lo, s11, v20, vcc_lo
	global_load_b64 v[19:20], v[19:20], off
	v_add_nc_u32_e32 v5, 2, v13
	s_delay_alu instid0(VALU_DEP_1) | instskip(SKIP_1) | instid1(VALU_DEP_1)
	v_lshlrev_b64 v[21:22], 2, v[5:6]
	v_add_nc_u32_e32 v5, -10, v3
	v_lshlrev_b64 v[23:24], 2, v[5:6]
	v_add_nc_u32_e32 v5, -9, v3
	s_delay_alu instid0(VALU_DEP_4) | instskip(SKIP_1) | instid1(VALU_DEP_3)
	v_add_co_u32 v21, vcc_lo, s10, v21
	v_add_co_ci_u32_e32 v22, vcc_lo, s11, v22, vcc_lo
	v_lshlrev_b64 v[25:26], 2, v[5:6]
	v_add_nc_u32_e32 v5, -8, v3
	v_add_co_u32 v23, vcc_lo, s8, v23
	v_add_co_ci_u32_e32 v24, vcc_lo, s9, v24, vcc_lo
	s_delay_alu instid0(VALU_DEP_3)
	v_lshlrev_b64 v[27:28], 2, v[5:6]
	v_add_nc_u32_e32 v5, -7, v3
	global_load_b64 v[21:22], v[21:22], off
	global_load_b32 v8, v[23:24], off
	v_add_co_u32 v23, vcc_lo, s8, v25
	v_add_co_ci_u32_e32 v24, vcc_lo, s9, v26, vcc_lo
	v_lshlrev_b64 v[25:26], 2, v[5:6]
	v_add_co_u32 v27, vcc_lo, s8, v27
	v_add_co_ci_u32_e32 v28, vcc_lo, s9, v28, vcc_lo
	v_add_nc_u32_e32 v5, -6, v3
	s_delay_alu instid0(VALU_DEP_4)
	v_add_co_u32 v25, vcc_lo, s8, v25
	v_add_co_ci_u32_e32 v26, vcc_lo, s9, v26, vcc_lo
	s_clause 0x2
	global_load_b32 v34, v[23:24], off
	global_load_b32 v35, v[27:28], off
	global_load_b32 v36, v[25:26], off
	v_lshlrev_b64 v[23:24], 2, v[5:6]
	v_add_nc_u32_e32 v5, -5, v3
	s_delay_alu instid0(VALU_DEP_1) | instskip(SKIP_1) | instid1(VALU_DEP_4)
	v_lshlrev_b64 v[27:28], 2, v[5:6]
	v_add_nc_u32_e32 v5, 4, v13
	v_add_co_u32 v13, vcc_lo, s8, v23
	v_add_co_ci_u32_e32 v14, vcc_lo, s9, v24, vcc_lo
	s_delay_alu instid0(VALU_DEP_3)
	v_lshlrev_b64 v[23:24], 2, v[5:6]
	v_add_nc_u32_e32 v5, -4, v3
	global_load_b32 v37, v[13:14], off
	v_add_co_u32 v13, vcc_lo, s8, v27
	v_add_co_ci_u32_e32 v14, vcc_lo, s9, v28, vcc_lo
	v_lshlrev_b64 v[25:26], 2, v[5:6]
	v_add_nc_u32_e32 v5, -3, v3
	v_add_co_u32 v23, vcc_lo, s10, v23
	global_load_b32 v38, v[13:14], off
	v_add_co_ci_u32_e32 v24, vcc_lo, s11, v24, vcc_lo
	v_lshlrev_b64 v[13:14], 2, v[5:6]
	v_add_nc_u32_e32 v5, -2, v3
	v_add_co_u32 v25, vcc_lo, s8, v25
	v_add_co_ci_u32_e32 v26, vcc_lo, s9, v26, vcc_lo
	s_delay_alu instid0(VALU_DEP_3) | instskip(SKIP_3) | instid1(VALU_DEP_3)
	v_lshlrev_b64 v[27:28], 2, v[5:6]
	v_add_nc_u32_e32 v5, -1, v3
	v_add_co_u32 v13, vcc_lo, s8, v13
	v_add_co_ci_u32_e32 v14, vcc_lo, s9, v14, vcc_lo
	v_lshlrev_b64 v[4:5], 2, v[5:6]
	global_load_b32 v25, v[25:26], off
	global_load_b64 v[23:24], v[23:24], off
	global_load_b32 v26, v[13:14], off
	v_add_co_u32 v13, vcc_lo, s8, v27
	v_add_co_ci_u32_e32 v14, vcc_lo, s9, v28, vcc_lo
	v_add_co_u32 v4, vcc_lo, s8, v4
	v_add_co_ci_u32_e32 v5, vcc_lo, s9, v5, vcc_lo
	s_clause 0x2
	global_load_b32 v13, v[13:14], off
	global_load_b32 v4, v[4:5], off
	;; [unrolled: 1-line block ×3, first 2 shown]
	v_cmp_ge_i32_e32 vcc_lo, v7, v12
	v_add_nc_u32_e32 v3, 0x120, v3
	s_or_b32 s5, vcc_lo, s5
	s_waitcnt vmcnt(13)
	v_fmac_f32_e32 v10, v29, v19
	v_fmac_f32_e32 v11, v16, v19
	s_delay_alu instid0(VALU_DEP_2) | instskip(NEXT) | instid1(VALU_DEP_2)
	v_fmac_f32_e32 v10, v32, v20
	v_fmac_f32_e32 v11, v31, v20
	s_waitcnt vmcnt(11)
	s_delay_alu instid0(VALU_DEP_1) | instskip(SKIP_1) | instid1(VALU_DEP_1)
	v_fmac_f32_e32 v11, v8, v21
	s_waitcnt vmcnt(8)
	v_dual_fmac_f32 v10, v34, v21 :: v_dual_fmac_f32 v11, v36, v22
	s_waitcnt vmcnt(7)
	s_delay_alu instid0(VALU_DEP_1) | instskip(SKIP_1) | instid1(VALU_DEP_2)
	v_fmac_f32_e32 v10, v37, v22
	s_waitcnt vmcnt(4)
	v_fmac_f32_e32 v11, v25, v23
	s_waitcnt vmcnt(3)
	s_delay_alu instid0(VALU_DEP_2)
	v_fmac_f32_e32 v10, v26, v23
	v_fmac_f32_e32 v9, v15, v19
	s_waitcnt vmcnt(1)
	v_fmac_f32_e32 v11, v4, v24
	s_waitcnt vmcnt(0)
	v_fmac_f32_e32 v10, v5, v24
	v_fmac_f32_e32 v9, v30, v20
	s_delay_alu instid0(VALU_DEP_1) | instskip(NEXT) | instid1(VALU_DEP_1)
	v_fmac_f32_e32 v9, v33, v21
	v_fmac_f32_e32 v9, v35, v22
	s_delay_alu instid0(VALU_DEP_1) | instskip(NEXT) | instid1(VALU_DEP_1)
	v_fmac_f32_e32 v9, v38, v23
	v_fmac_f32_e32 v9, v13, v24
	s_and_not1_b32 exec_lo, exec_lo, s5
	s_cbranch_execnz .LBB22_9
; %bb.10:
	s_or_b32 exec_lo, exec_lo, s5
.LBB22_11:
	s_delay_alu instid0(SALU_CYCLE_1) | instskip(NEXT) | instid1(SALU_CYCLE_1)
	s_or_b32 exec_lo, exec_lo, s4
	s_and_not1_b32 vcc_lo, exec_lo, s3
	s_cbranch_vccz .LBB22_13
	s_branch .LBB22_18
.LBB22_12:
                                        ; implicit-def: $vgpr9
                                        ; implicit-def: $vgpr10
                                        ; implicit-def: $vgpr11
.LBB22_13:
	v_dual_mov_b32 v9, 0 :: v_dual_mov_b32 v10, 0
	v_mov_b32_e32 v11, 0
	s_delay_alu instid0(VALU_DEP_3)
	s_and_saveexec_b32 s3, s2
	s_cbranch_execz .LBB22_17
; %bb.14:
	v_mad_u64_u32 v[4:5], null, v2, 18, 17
	v_dual_mov_b32 v7, 0 :: v_dual_mov_b32 v10, 0
	v_mov_b32_e32 v9, 0
	v_mov_b32_e32 v11, 0
	s_mov_b32 s2, 0
.LBB22_15:                              ; =>This Inner Loop Header: Depth=1
	v_ashrrev_i32_e32 v3, 31, v2
	v_dual_mov_b32 v14, v7 :: v_dual_add_nc_u32 v13, -11, v4
	v_dual_mov_b32 v16, v7 :: v_dual_add_nc_u32 v15, -5, v4
	s_delay_alu instid0(VALU_DEP_3) | instskip(SKIP_1) | instid1(VALU_DEP_4)
	v_lshlrev_b64 v[5:6], 2, v[2:3]
	v_mov_b32_e32 v17, v7
	v_lshlrev_b64 v[13:14], 2, v[13:14]
	v_add_nc_u32_e32 v2, 16, v2
	v_lshlrev_b64 v[15:16], 2, v[15:16]
	v_add_co_u32 v5, vcc_lo, s6, v5
	v_add_co_ci_u32_e32 v6, vcc_lo, s7, v6, vcc_lo
	global_load_b32 v3, v[5:6], off
	v_subrev_nc_u32_e32 v6, 17, v4
	v_mov_b32_e32 v5, v7
	s_delay_alu instid0(VALU_DEP_2) | instskip(SKIP_1) | instid1(VALU_DEP_1)
	v_lshlrev_b64 v[18:19], 2, v[6:7]
	v_add_nc_u32_e32 v6, -10, v4
	v_lshlrev_b64 v[22:23], 2, v[6:7]
	v_add_nc_u32_e32 v6, -4, v4
	s_delay_alu instid0(VALU_DEP_4)
	v_add_co_u32 v18, vcc_lo, s8, v18
	v_add_co_ci_u32_e32 v19, vcc_lo, s9, v19, vcc_lo
	v_add_co_u32 v13, vcc_lo, s8, v13
	v_add_co_ci_u32_e32 v14, vcc_lo, s9, v14, vcc_lo
	v_add_co_u32 v15, vcc_lo, s8, v15
	v_lshlrev_b64 v[20:21], 2, v[4:5]
	v_add_co_ci_u32_e32 v16, vcc_lo, s9, v16, vcc_lo
	v_lshlrev_b64 v[24:25], 2, v[6:7]
	s_clause 0x2
	global_load_b64 v[18:19], v[18:19], off
	global_load_b32 v8, v[13:14], off
	global_load_b32 v30, v[15:16], off
	v_add_nc_u32_e32 v6, -15, v4
	v_add_co_u32 v20, vcc_lo, s8, v20
	v_add_co_ci_u32_e32 v21, vcc_lo, s9, v21, vcc_lo
	v_add_co_u32 v22, vcc_lo, s8, v22
	s_delay_alu instid0(VALU_DEP_4) | instskip(SKIP_3) | instid1(VALU_DEP_4)
	v_lshlrev_b64 v[5:6], 2, v[6:7]
	v_add_co_ci_u32_e32 v23, vcc_lo, s9, v23, vcc_lo
	v_add_co_u32 v13, vcc_lo, s8, v24
	v_add_co_ci_u32_e32 v14, vcc_lo, s9, v25, vcc_lo
	v_add_co_u32 v5, vcc_lo, s8, v5
	v_add_co_ci_u32_e32 v6, vcc_lo, s9, v6, vcc_lo
	s_clause 0x2
	global_load_b32 v31, v[22:23], off
	global_load_b32 v32, v[13:14], off
	;; [unrolled: 1-line block ×3, first 2 shown]
	s_waitcnt vmcnt(6)
	v_subrev_nc_u32_e32 v3, s18, v3
	s_delay_alu instid0(VALU_DEP_1) | instskip(NEXT) | instid1(VALU_DEP_1)
	v_mul_lo_u32 v16, v3, 6
	v_lshlrev_b64 v[13:14], 2, v[16:17]
	s_delay_alu instid0(VALU_DEP_1) | instskip(NEXT) | instid1(VALU_DEP_2)
	v_add_co_u32 v13, vcc_lo, s10, v13
	v_add_co_ci_u32_e32 v14, vcc_lo, s11, v14, vcc_lo
	global_load_b64 v[13:14], v[13:14], off
	s_waitcnt vmcnt(0)
	v_dual_fmac_f32 v11, v8, v13 :: v_dual_add_nc_u32 v6, 2, v16
	s_delay_alu instid0(VALU_DEP_1) | instskip(SKIP_1) | instid1(VALU_DEP_3)
	v_lshlrev_b64 v[22:23], 2, v[6:7]
	v_dual_fmac_f32 v9, v18, v13 :: v_dual_add_nc_u32 v6, -9, v4
	v_fmac_f32_e32 v11, v31, v14
	s_delay_alu instid0(VALU_DEP_2) | instskip(NEXT) | instid1(VALU_DEP_3)
	v_fmac_f32_e32 v9, v19, v14
	v_lshlrev_b64 v[24:25], 2, v[6:7]
	v_add_co_u32 v22, vcc_lo, s10, v22
	v_add_co_ci_u32_e32 v23, vcc_lo, s11, v23, vcc_lo
	v_add_nc_u32_e32 v6, -3, v4
	s_delay_alu instid0(VALU_DEP_4)
	v_add_co_u32 v24, vcc_lo, s8, v24
	v_add_co_ci_u32_e32 v25, vcc_lo, s9, v25, vcc_lo
	global_load_b64 v[22:23], v[22:23], off
	v_lshlrev_b64 v[26:27], 2, v[6:7]
	v_add_nc_u32_e32 v6, -14, v4
	global_load_b32 v3, v[24:25], off
	v_add_co_u32 v24, vcc_lo, s8, v26
	v_add_co_ci_u32_e32 v25, vcc_lo, s9, v27, vcc_lo
	global_load_b32 v17, v[24:25], off
	s_waitcnt vmcnt(2)
	v_fmac_f32_e32 v9, v33, v22
	v_lshlrev_b64 v[28:29], 2, v[6:7]
	s_waitcnt vmcnt(1)
	v_dual_fmac_f32 v11, v3, v22 :: v_dual_add_nc_u32 v6, -8, v4
	s_delay_alu instid0(VALU_DEP_1) | instskip(NEXT) | instid1(VALU_DEP_3)
	v_lshlrev_b64 v[26:27], 2, v[6:7]
	v_add_co_u32 v28, vcc_lo, s8, v28
	s_delay_alu instid0(VALU_DEP_4) | instskip(NEXT) | instid1(VALU_DEP_3)
	v_add_co_ci_u32_e32 v29, vcc_lo, s9, v29, vcc_lo
	v_add_co_u32 v26, vcc_lo, s8, v26
	global_load_b32 v34, v[28:29], off
	v_add_co_ci_u32_e32 v27, vcc_lo, s9, v27, vcc_lo
	global_load_b32 v35, v[26:27], off
	s_waitcnt vmcnt(1)
	v_dual_fmac_f32 v9, v34, v23 :: v_dual_add_nc_u32 v6, -2, v4
	s_delay_alu instid0(VALU_DEP_1) | instskip(SKIP_2) | instid1(VALU_DEP_1)
	v_lshlrev_b64 v[24:25], 2, v[6:7]
	s_waitcnt vmcnt(0)
	v_dual_fmac_f32 v11, v35, v23 :: v_dual_add_nc_u32 v6, -13, v4
	v_lshlrev_b64 v[28:29], 2, v[6:7]
	v_add_nc_u32_e32 v6, 4, v16
	s_delay_alu instid0(VALU_DEP_4) | instskip(SKIP_1) | instid1(VALU_DEP_3)
	v_add_co_u32 v15, vcc_lo, s8, v24
	v_add_co_ci_u32_e32 v16, vcc_lo, s9, v25, vcc_lo
	v_lshlrev_b64 v[24:25], 2, v[6:7]
	global_load_b32 v36, v[15:16], off
	v_add_co_u32 v15, vcc_lo, s8, v28
	v_add_co_ci_u32_e32 v16, vcc_lo, s9, v29, vcc_lo
	v_add_co_u32 v24, vcc_lo, s10, v24
	v_add_co_ci_u32_e32 v25, vcc_lo, s11, v25, vcc_lo
	global_load_b32 v37, v[15:16], off
	global_load_b64 v[24:25], v[24:25], off
	v_add_nc_u32_e32 v6, -7, v4
	v_fmac_f32_e32 v10, v30, v13
	s_delay_alu instid0(VALU_DEP_2) | instskip(SKIP_1) | instid1(VALU_DEP_1)
	v_lshlrev_b64 v[26:27], 2, v[6:7]
	v_add_nc_u32_e32 v6, -1, v4
	v_lshlrev_b64 v[15:16], 2, v[6:7]
	v_add_nc_u32_e32 v6, -12, v4
	s_delay_alu instid0(VALU_DEP_4) | instskip(SKIP_1) | instid1(VALU_DEP_3)
	v_add_co_u32 v26, vcc_lo, s8, v26
	v_add_co_ci_u32_e32 v27, vcc_lo, s9, v27, vcc_lo
	v_lshlrev_b64 v[28:29], 2, v[6:7]
	v_add_nc_u32_e32 v6, -6, v4
	v_add_co_u32 v15, vcc_lo, s8, v15
	global_load_b32 v26, v[26:27], off
	v_add_co_ci_u32_e32 v16, vcc_lo, s9, v16, vcc_lo
	v_lshlrev_b64 v[5:6], 2, v[6:7]
	v_add_nc_u32_e32 v4, 0x120, v4
	global_load_b32 v27, v[15:16], off
	v_add_co_u32 v15, vcc_lo, s8, v28
	v_add_co_ci_u32_e32 v16, vcc_lo, s9, v29, vcc_lo
	v_add_co_u32 v5, vcc_lo, s8, v5
	v_add_co_ci_u32_e32 v6, vcc_lo, s9, v6, vcc_lo
	s_clause 0x2
	global_load_b32 v15, v[15:16], off
	global_load_b32 v5, v[5:6], off
	global_load_b32 v6, v[20:21], off
	v_cmp_ge_i32_e32 vcc_lo, v2, v12
	s_or_b32 s2, vcc_lo, s2
	s_waitcnt vmcnt(5)
	v_dual_fmac_f32 v9, v37, v24 :: v_dual_fmac_f32 v10, v32, v14
	s_waitcnt vmcnt(4)
	s_delay_alu instid0(VALU_DEP_1) | instskip(NEXT) | instid1(VALU_DEP_1)
	v_dual_fmac_f32 v11, v26, v24 :: v_dual_fmac_f32 v10, v17, v22
	v_fmac_f32_e32 v10, v36, v23
	s_waitcnt vmcnt(3)
	s_delay_alu instid0(VALU_DEP_1)
	v_fmac_f32_e32 v10, v27, v24
	s_waitcnt vmcnt(2)
	v_fmac_f32_e32 v9, v15, v25
	s_waitcnt vmcnt(1)
	;; [unrolled: 2-line block ×3, first 2 shown]
	v_fmac_f32_e32 v10, v6, v25
	s_and_not1_b32 exec_lo, exec_lo, s2
	s_cbranch_execnz .LBB22_15
; %bb.16:
	s_or_b32 exec_lo, exec_lo, s2
.LBB22_17:
	s_delay_alu instid0(SALU_CYCLE_1)
	s_or_b32 exec_lo, exec_lo, s3
.LBB22_18:
	v_mbcnt_lo_u32_b32 v2, -1, 0
	s_mov_b32 s2, -1
	s_delay_alu instid0(VALU_DEP_1) | instskip(SKIP_1) | instid1(VALU_DEP_2)
	v_xor_b32_e32 v3, 8, v2
	v_xor_b32_e32 v6, 4, v2
	v_cmp_gt_i32_e32 vcc_lo, 32, v3
	v_cndmask_b32_e32 v3, v2, v3, vcc_lo
	s_delay_alu instid0(VALU_DEP_3) | instskip(SKIP_1) | instid1(VALU_DEP_1)
	v_cmp_gt_i32_e32 vcc_lo, 32, v6
	v_cndmask_b32_e32 v6, v2, v6, vcc_lo
	v_lshlrev_b32_e32 v6, 2, v6
	s_delay_alu instid0(VALU_DEP_4)
	v_lshlrev_b32_e32 v3, 2, v3
	ds_bpermute_b32 v4, v3, v9
	s_waitcnt lgkmcnt(0)
	v_add_f32_e32 v4, v9, v4
	ds_bpermute_b32 v5, v3, v11
	ds_bpermute_b32 v3, v3, v10
	v_xor_b32_e32 v9, 2, v2
	ds_bpermute_b32 v7, v6, v4
	v_cmp_gt_i32_e32 vcc_lo, 32, v9
	v_cndmask_b32_e32 v9, v2, v9, vcc_lo
	s_waitcnt lgkmcnt(2)
	v_add_f32_e32 v5, v11, v5
	s_waitcnt lgkmcnt(1)
	v_add_f32_e32 v3, v10, v3
	;; [unrolled: 2-line block ×3, first 2 shown]
	ds_bpermute_b32 v8, v6, v5
	ds_bpermute_b32 v6, v6, v3
	v_lshlrev_b32_e32 v9, 2, v9
	s_waitcnt lgkmcnt(0)
	v_dual_add_f32 v5, v5, v8 :: v_dual_add_f32 v6, v3, v6
	ds_bpermute_b32 v3, v9, v4
	ds_bpermute_b32 v7, v9, v5
	;; [unrolled: 1-line block ×3, first 2 shown]
	v_xor_b32_e32 v9, 1, v2
	s_delay_alu instid0(VALU_DEP_1) | instskip(SKIP_3) | instid1(VALU_DEP_2)
	v_cmp_gt_i32_e32 vcc_lo, 32, v9
	v_cndmask_b32_e32 v2, v2, v9, vcc_lo
	v_cmp_eq_u32_e32 vcc_lo, 15, v0
	s_waitcnt lgkmcnt(2)
	v_dual_add_f32 v2, v4, v3 :: v_dual_lshlrev_b32 v9, 2, v2
	s_waitcnt lgkmcnt(0)
	v_dual_add_f32 v3, v5, v7 :: v_dual_add_f32 v4, v6, v8
	ds_bpermute_b32 v5, v9, v2
	ds_bpermute_b32 v6, v9, v3
	;; [unrolled: 1-line block ×3, first 2 shown]
	s_and_b32 exec_lo, exec_lo, vcc_lo
	s_cbranch_execz .LBB22_23
; %bb.19:
	s_load_b64 s[0:1], s[0:1], 0x38
	s_waitcnt lgkmcnt(0)
	v_add_f32_e32 v0, v2, v5
	v_add_f32_e32 v2, v3, v6
	;; [unrolled: 1-line block ×3, first 2 shown]
	v_lshl_add_u32 v3, v1, 1, v1
	v_cmp_eq_f32_e64 s3, s12, 0
	s_delay_alu instid0(VALU_DEP_4) | instskip(NEXT) | instid1(VALU_DEP_4)
	v_dual_mul_f32 v1, s16, v2 :: v_dual_mul_f32 v0, s16, v0
	v_mul_f32_e32 v2, s16, v4
	s_delay_alu instid0(VALU_DEP_4) | instskip(NEXT) | instid1(VALU_DEP_4)
	v_ashrrev_i32_e32 v4, 31, v3
	s_and_b32 vcc_lo, exec_lo, s3
	s_cbranch_vccz .LBB22_21
; %bb.20:
	s_delay_alu instid0(VALU_DEP_1) | instskip(SKIP_1) | instid1(VALU_DEP_1)
	v_lshlrev_b64 v[5:6], 2, v[3:4]
	s_mov_b32 s2, 0
	v_add_co_u32 v5, vcc_lo, s0, v5
	s_delay_alu instid0(VALU_DEP_2)
	v_add_co_ci_u32_e32 v6, vcc_lo, s1, v6, vcc_lo
	global_store_b96 v[5:6], v[0:2], off
.LBB22_21:
	s_and_not1_b32 vcc_lo, exec_lo, s2
	s_cbranch_vccnz .LBB22_23
; %bb.22:
	v_lshlrev_b64 v[3:4], 2, v[3:4]
	s_delay_alu instid0(VALU_DEP_1) | instskip(NEXT) | instid1(VALU_DEP_2)
	v_add_co_u32 v6, vcc_lo, s0, v3
	v_add_co_ci_u32_e32 v7, vcc_lo, s1, v4, vcc_lo
	global_load_b96 v[3:5], v[6:7], off
	s_waitcnt vmcnt(0)
	v_dual_fmac_f32 v0, s12, v3 :: v_dual_fmac_f32 v1, s12, v4
	v_fmac_f32_e32 v2, s12, v5
	global_store_b96 v[6:7], v[0:2], off
.LBB22_23:
	s_nop 0
	s_sendmsg sendmsg(MSG_DEALLOC_VGPRS)
	s_endpgm
	.section	.rodata,"a",@progbits
	.p2align	6, 0x0
	.amdhsa_kernel _ZN9rocsparseL19gebsrmvn_3xn_kernelILj128ELj6ELj16EfEEvi20rocsparse_direction_NS_24const_host_device_scalarIT2_EEPKiS6_PKS3_S8_S4_PS3_21rocsparse_index_base_b
		.amdhsa_group_segment_fixed_size 0
		.amdhsa_private_segment_fixed_size 0
		.amdhsa_kernarg_size 72
		.amdhsa_user_sgpr_count 15
		.amdhsa_user_sgpr_dispatch_ptr 0
		.amdhsa_user_sgpr_queue_ptr 0
		.amdhsa_user_sgpr_kernarg_segment_ptr 1
		.amdhsa_user_sgpr_dispatch_id 0
		.amdhsa_user_sgpr_private_segment_size 0
		.amdhsa_wavefront_size32 1
		.amdhsa_uses_dynamic_stack 0
		.amdhsa_enable_private_segment 0
		.amdhsa_system_sgpr_workgroup_id_x 1
		.amdhsa_system_sgpr_workgroup_id_y 0
		.amdhsa_system_sgpr_workgroup_id_z 0
		.amdhsa_system_sgpr_workgroup_info 0
		.amdhsa_system_vgpr_workitem_id 0
		.amdhsa_next_free_vgpr 39
		.amdhsa_next_free_sgpr 20
		.amdhsa_reserve_vcc 1
		.amdhsa_float_round_mode_32 0
		.amdhsa_float_round_mode_16_64 0
		.amdhsa_float_denorm_mode_32 3
		.amdhsa_float_denorm_mode_16_64 3
		.amdhsa_dx10_clamp 1
		.amdhsa_ieee_mode 1
		.amdhsa_fp16_overflow 0
		.amdhsa_workgroup_processor_mode 1
		.amdhsa_memory_ordered 1
		.amdhsa_forward_progress 0
		.amdhsa_shared_vgpr_count 0
		.amdhsa_exception_fp_ieee_invalid_op 0
		.amdhsa_exception_fp_denorm_src 0
		.amdhsa_exception_fp_ieee_div_zero 0
		.amdhsa_exception_fp_ieee_overflow 0
		.amdhsa_exception_fp_ieee_underflow 0
		.amdhsa_exception_fp_ieee_inexact 0
		.amdhsa_exception_int_div_zero 0
	.end_amdhsa_kernel
	.section	.text._ZN9rocsparseL19gebsrmvn_3xn_kernelILj128ELj6ELj16EfEEvi20rocsparse_direction_NS_24const_host_device_scalarIT2_EEPKiS6_PKS3_S8_S4_PS3_21rocsparse_index_base_b,"axG",@progbits,_ZN9rocsparseL19gebsrmvn_3xn_kernelILj128ELj6ELj16EfEEvi20rocsparse_direction_NS_24const_host_device_scalarIT2_EEPKiS6_PKS3_S8_S4_PS3_21rocsparse_index_base_b,comdat
.Lfunc_end22:
	.size	_ZN9rocsparseL19gebsrmvn_3xn_kernelILj128ELj6ELj16EfEEvi20rocsparse_direction_NS_24const_host_device_scalarIT2_EEPKiS6_PKS3_S8_S4_PS3_21rocsparse_index_base_b, .Lfunc_end22-_ZN9rocsparseL19gebsrmvn_3xn_kernelILj128ELj6ELj16EfEEvi20rocsparse_direction_NS_24const_host_device_scalarIT2_EEPKiS6_PKS3_S8_S4_PS3_21rocsparse_index_base_b
                                        ; -- End function
	.section	.AMDGPU.csdata,"",@progbits
; Kernel info:
; codeLenInByte = 2688
; NumSgprs: 22
; NumVgprs: 39
; ScratchSize: 0
; MemoryBound: 0
; FloatMode: 240
; IeeeMode: 1
; LDSByteSize: 0 bytes/workgroup (compile time only)
; SGPRBlocks: 2
; VGPRBlocks: 4
; NumSGPRsForWavesPerEU: 22
; NumVGPRsForWavesPerEU: 39
; Occupancy: 16
; WaveLimiterHint : 1
; COMPUTE_PGM_RSRC2:SCRATCH_EN: 0
; COMPUTE_PGM_RSRC2:USER_SGPR: 15
; COMPUTE_PGM_RSRC2:TRAP_HANDLER: 0
; COMPUTE_PGM_RSRC2:TGID_X_EN: 1
; COMPUTE_PGM_RSRC2:TGID_Y_EN: 0
; COMPUTE_PGM_RSRC2:TGID_Z_EN: 0
; COMPUTE_PGM_RSRC2:TIDIG_COMP_CNT: 0
	.section	.text._ZN9rocsparseL19gebsrmvn_3xn_kernelILj128ELj6ELj32EfEEvi20rocsparse_direction_NS_24const_host_device_scalarIT2_EEPKiS6_PKS3_S8_S4_PS3_21rocsparse_index_base_b,"axG",@progbits,_ZN9rocsparseL19gebsrmvn_3xn_kernelILj128ELj6ELj32EfEEvi20rocsparse_direction_NS_24const_host_device_scalarIT2_EEPKiS6_PKS3_S8_S4_PS3_21rocsparse_index_base_b,comdat
	.globl	_ZN9rocsparseL19gebsrmvn_3xn_kernelILj128ELj6ELj32EfEEvi20rocsparse_direction_NS_24const_host_device_scalarIT2_EEPKiS6_PKS3_S8_S4_PS3_21rocsparse_index_base_b ; -- Begin function _ZN9rocsparseL19gebsrmvn_3xn_kernelILj128ELj6ELj32EfEEvi20rocsparse_direction_NS_24const_host_device_scalarIT2_EEPKiS6_PKS3_S8_S4_PS3_21rocsparse_index_base_b
	.p2align	8
	.type	_ZN9rocsparseL19gebsrmvn_3xn_kernelILj128ELj6ELj32EfEEvi20rocsparse_direction_NS_24const_host_device_scalarIT2_EEPKiS6_PKS3_S8_S4_PS3_21rocsparse_index_base_b,@function
_ZN9rocsparseL19gebsrmvn_3xn_kernelILj128ELj6ELj32EfEEvi20rocsparse_direction_NS_24const_host_device_scalarIT2_EEPKiS6_PKS3_S8_S4_PS3_21rocsparse_index_base_b: ; @_ZN9rocsparseL19gebsrmvn_3xn_kernelILj128ELj6ELj32EfEEvi20rocsparse_direction_NS_24const_host_device_scalarIT2_EEPKiS6_PKS3_S8_S4_PS3_21rocsparse_index_base_b
; %bb.0:
	s_clause 0x2
	s_load_b64 s[18:19], s[0:1], 0x40
	s_load_b64 s[16:17], s[0:1], 0x8
	;; [unrolled: 1-line block ×3, first 2 shown]
	s_waitcnt lgkmcnt(0)
	s_bitcmp1_b32 s19, 0
	s_cselect_b32 s2, -1, 0
	s_delay_alu instid0(SALU_CYCLE_1)
	s_and_b32 vcc_lo, exec_lo, s2
	s_xor_b32 s2, s2, -1
	s_cbranch_vccnz .LBB23_2
; %bb.1:
	s_load_b32 s16, s[16:17], 0x0
.LBB23_2:
	s_and_not1_b32 vcc_lo, exec_lo, s2
	s_cbranch_vccnz .LBB23_4
; %bb.3:
	s_load_b32 s12, s[12:13], 0x0
.LBB23_4:
	s_waitcnt lgkmcnt(0)
	v_cmp_eq_f32_e64 s2, s16, 0
	v_cmp_eq_f32_e64 s3, s12, 1.0
	s_delay_alu instid0(VALU_DEP_1) | instskip(NEXT) | instid1(SALU_CYCLE_1)
	s_and_b32 s2, s2, s3
	s_and_b32 vcc_lo, exec_lo, s2
	s_cbranch_vccnz .LBB23_23
; %bb.5:
	s_load_b64 s[2:3], s[0:1], 0x0
	v_lshrrev_b32_e32 v1, 5, v0
	s_delay_alu instid0(VALU_DEP_1) | instskip(SKIP_1) | instid1(VALU_DEP_1)
	v_lshl_or_b32 v1, s15, 2, v1
	s_waitcnt lgkmcnt(0)
	v_cmp_gt_i32_e32 vcc_lo, s2, v1
	s_and_saveexec_b32 s2, vcc_lo
	s_cbranch_execz .LBB23_23
; %bb.6:
	s_load_b256 s[4:11], s[0:1], 0x10
	v_ashrrev_i32_e32 v2, 31, v1
	v_and_b32_e32 v0, 31, v0
	s_cmp_lg_u32 s3, 0
	s_delay_alu instid0(VALU_DEP_2) | instskip(SKIP_1) | instid1(VALU_DEP_1)
	v_lshlrev_b64 v[2:3], 2, v[1:2]
	s_waitcnt lgkmcnt(0)
	v_add_co_u32 v2, vcc_lo, s4, v2
	s_delay_alu instid0(VALU_DEP_2) | instskip(SKIP_4) | instid1(VALU_DEP_2)
	v_add_co_ci_u32_e32 v3, vcc_lo, s5, v3, vcc_lo
	global_load_b64 v[2:3], v[2:3], off
	s_waitcnt vmcnt(0)
	v_subrev_nc_u32_e32 v2, s18, v2
	v_subrev_nc_u32_e32 v12, s18, v3
	v_add_nc_u32_e32 v2, v2, v0
	s_delay_alu instid0(VALU_DEP_1)
	v_cmp_lt_i32_e64 s2, v2, v12
	s_cbranch_scc0 .LBB23_12
; %bb.7:
	v_dual_mov_b32 v9, 0 :: v_dual_mov_b32 v10, 0
	v_mov_b32_e32 v11, 0
	s_mov_b32 s3, 0
	s_and_saveexec_b32 s4, s2
	s_cbranch_execz .LBB23_11
; %bb.8:
	v_mad_u64_u32 v[3:4], null, v2, 18, 17
	v_dual_mov_b32 v6, 0 :: v_dual_mov_b32 v7, v2
	v_dual_mov_b32 v9, 0 :: v_dual_mov_b32 v10, 0
	v_mov_b32_e32 v11, 0
	s_mov_b32 s5, 0
.LBB23_9:                               ; =>This Inner Loop Header: Depth=1
	s_delay_alu instid0(VALU_DEP_3) | instskip(SKIP_1) | instid1(VALU_DEP_2)
	v_ashrrev_i32_e32 v8, 31, v7
	v_mov_b32_e32 v14, v6
	v_lshlrev_b64 v[4:5], 2, v[7:8]
	v_add_nc_u32_e32 v7, 32, v7
	s_delay_alu instid0(VALU_DEP_2) | instskip(NEXT) | instid1(VALU_DEP_3)
	v_add_co_u32 v4, vcc_lo, s6, v4
	v_add_co_ci_u32_e32 v5, vcc_lo, s7, v5, vcc_lo
	global_load_b32 v8, v[4:5], off
	v_subrev_nc_u32_e32 v5, 17, v3
	v_mov_b32_e32 v4, v6
	s_delay_alu instid0(VALU_DEP_2) | instskip(SKIP_1) | instid1(VALU_DEP_1)
	v_lshlrev_b64 v[15:16], 2, v[5:6]
	v_add_nc_u32_e32 v5, -15, v3
	v_lshlrev_b64 v[19:20], 2, v[5:6]
	v_add_nc_u32_e32 v5, -14, v3
	v_lshlrev_b64 v[17:18], 2, v[3:4]
	v_add_co_u32 v15, vcc_lo, s8, v15
	v_add_co_ci_u32_e32 v16, vcc_lo, s9, v16, vcc_lo
	s_delay_alu instid0(VALU_DEP_4) | instskip(NEXT) | instid1(VALU_DEP_4)
	v_lshlrev_b64 v[21:22], 2, v[5:6]
	v_add_co_u32 v17, vcc_lo, s8, v17
	v_add_co_ci_u32_e32 v18, vcc_lo, s9, v18, vcc_lo
	v_add_nc_u32_e32 v5, -13, v3
	v_add_co_u32 v19, vcc_lo, s8, v19
	v_add_co_ci_u32_e32 v20, vcc_lo, s9, v20, vcc_lo
	s_delay_alu instid0(VALU_DEP_3)
	v_lshlrev_b64 v[23:24], 2, v[5:6]
	v_add_nc_u32_e32 v5, -12, v3
	s_clause 0x1
	global_load_b64 v[15:16], v[15:16], off
	global_load_b32 v29, v[19:20], off
	v_add_co_u32 v19, vcc_lo, s8, v21
	v_add_co_ci_u32_e32 v20, vcc_lo, s9, v22, vcc_lo
	v_lshlrev_b64 v[21:22], 2, v[5:6]
	v_add_nc_u32_e32 v5, -11, v3
	v_add_co_u32 v23, vcc_lo, s8, v23
	v_add_co_ci_u32_e32 v24, vcc_lo, s9, v24, vcc_lo
	s_delay_alu instid0(VALU_DEP_3)
	v_lshlrev_b64 v[4:5], 2, v[5:6]
	s_clause 0x1
	global_load_b32 v30, v[19:20], off
	global_load_b32 v31, v[23:24], off
	v_add_co_u32 v19, vcc_lo, s8, v21
	v_add_co_ci_u32_e32 v20, vcc_lo, s9, v22, vcc_lo
	v_add_co_u32 v4, vcc_lo, s8, v4
	v_add_co_ci_u32_e32 v5, vcc_lo, s9, v5, vcc_lo
	s_clause 0x1
	global_load_b32 v32, v[19:20], off
	global_load_b32 v33, v[4:5], off
	s_waitcnt vmcnt(6)
	v_subrev_nc_u32_e32 v4, s18, v8
	s_delay_alu instid0(VALU_DEP_1) | instskip(NEXT) | instid1(VALU_DEP_1)
	v_mul_lo_u32 v13, v4, 6
	v_lshlrev_b64 v[19:20], 2, v[13:14]
	s_delay_alu instid0(VALU_DEP_1) | instskip(NEXT) | instid1(VALU_DEP_2)
	v_add_co_u32 v19, vcc_lo, s10, v19
	v_add_co_ci_u32_e32 v20, vcc_lo, s11, v20, vcc_lo
	global_load_b64 v[19:20], v[19:20], off
	v_add_nc_u32_e32 v5, 2, v13
	s_delay_alu instid0(VALU_DEP_1) | instskip(SKIP_1) | instid1(VALU_DEP_1)
	v_lshlrev_b64 v[21:22], 2, v[5:6]
	v_add_nc_u32_e32 v5, -10, v3
	v_lshlrev_b64 v[23:24], 2, v[5:6]
	v_add_nc_u32_e32 v5, -9, v3
	s_delay_alu instid0(VALU_DEP_4) | instskip(SKIP_1) | instid1(VALU_DEP_3)
	v_add_co_u32 v21, vcc_lo, s10, v21
	v_add_co_ci_u32_e32 v22, vcc_lo, s11, v22, vcc_lo
	v_lshlrev_b64 v[25:26], 2, v[5:6]
	v_add_nc_u32_e32 v5, -8, v3
	v_add_co_u32 v23, vcc_lo, s8, v23
	v_add_co_ci_u32_e32 v24, vcc_lo, s9, v24, vcc_lo
	s_delay_alu instid0(VALU_DEP_3)
	v_lshlrev_b64 v[27:28], 2, v[5:6]
	v_add_nc_u32_e32 v5, -7, v3
	global_load_b64 v[21:22], v[21:22], off
	global_load_b32 v8, v[23:24], off
	v_add_co_u32 v23, vcc_lo, s8, v25
	v_add_co_ci_u32_e32 v24, vcc_lo, s9, v26, vcc_lo
	v_lshlrev_b64 v[25:26], 2, v[5:6]
	v_add_co_u32 v27, vcc_lo, s8, v27
	v_add_co_ci_u32_e32 v28, vcc_lo, s9, v28, vcc_lo
	v_add_nc_u32_e32 v5, -6, v3
	s_delay_alu instid0(VALU_DEP_4)
	v_add_co_u32 v25, vcc_lo, s8, v25
	v_add_co_ci_u32_e32 v26, vcc_lo, s9, v26, vcc_lo
	s_clause 0x2
	global_load_b32 v34, v[23:24], off
	global_load_b32 v35, v[27:28], off
	;; [unrolled: 1-line block ×3, first 2 shown]
	v_lshlrev_b64 v[23:24], 2, v[5:6]
	v_add_nc_u32_e32 v5, -5, v3
	s_delay_alu instid0(VALU_DEP_1) | instskip(SKIP_1) | instid1(VALU_DEP_4)
	v_lshlrev_b64 v[27:28], 2, v[5:6]
	v_add_nc_u32_e32 v5, 4, v13
	v_add_co_u32 v13, vcc_lo, s8, v23
	v_add_co_ci_u32_e32 v14, vcc_lo, s9, v24, vcc_lo
	s_delay_alu instid0(VALU_DEP_3)
	v_lshlrev_b64 v[23:24], 2, v[5:6]
	v_add_nc_u32_e32 v5, -4, v3
	global_load_b32 v37, v[13:14], off
	v_add_co_u32 v13, vcc_lo, s8, v27
	v_add_co_ci_u32_e32 v14, vcc_lo, s9, v28, vcc_lo
	v_lshlrev_b64 v[25:26], 2, v[5:6]
	v_add_nc_u32_e32 v5, -3, v3
	v_add_co_u32 v23, vcc_lo, s10, v23
	global_load_b32 v38, v[13:14], off
	v_add_co_ci_u32_e32 v24, vcc_lo, s11, v24, vcc_lo
	v_lshlrev_b64 v[13:14], 2, v[5:6]
	v_add_nc_u32_e32 v5, -2, v3
	v_add_co_u32 v25, vcc_lo, s8, v25
	v_add_co_ci_u32_e32 v26, vcc_lo, s9, v26, vcc_lo
	s_delay_alu instid0(VALU_DEP_3) | instskip(SKIP_3) | instid1(VALU_DEP_3)
	v_lshlrev_b64 v[27:28], 2, v[5:6]
	v_add_nc_u32_e32 v5, -1, v3
	v_add_co_u32 v13, vcc_lo, s8, v13
	v_add_co_ci_u32_e32 v14, vcc_lo, s9, v14, vcc_lo
	v_lshlrev_b64 v[4:5], 2, v[5:6]
	global_load_b32 v25, v[25:26], off
	global_load_b64 v[23:24], v[23:24], off
	global_load_b32 v26, v[13:14], off
	v_add_co_u32 v13, vcc_lo, s8, v27
	v_add_co_ci_u32_e32 v14, vcc_lo, s9, v28, vcc_lo
	v_add_co_u32 v4, vcc_lo, s8, v4
	v_add_co_ci_u32_e32 v5, vcc_lo, s9, v5, vcc_lo
	s_clause 0x2
	global_load_b32 v13, v[13:14], off
	global_load_b32 v4, v[4:5], off
	;; [unrolled: 1-line block ×3, first 2 shown]
	v_cmp_ge_i32_e32 vcc_lo, v7, v12
	v_add_nc_u32_e32 v3, 0x240, v3
	s_or_b32 s5, vcc_lo, s5
	s_waitcnt vmcnt(13)
	v_fmac_f32_e32 v10, v29, v19
	v_fmac_f32_e32 v11, v16, v19
	s_delay_alu instid0(VALU_DEP_2) | instskip(NEXT) | instid1(VALU_DEP_2)
	v_fmac_f32_e32 v10, v32, v20
	v_fmac_f32_e32 v11, v31, v20
	s_waitcnt vmcnt(11)
	s_delay_alu instid0(VALU_DEP_1) | instskip(SKIP_1) | instid1(VALU_DEP_1)
	v_fmac_f32_e32 v11, v8, v21
	s_waitcnt vmcnt(8)
	v_dual_fmac_f32 v10, v34, v21 :: v_dual_fmac_f32 v11, v36, v22
	s_waitcnt vmcnt(7)
	s_delay_alu instid0(VALU_DEP_1) | instskip(SKIP_1) | instid1(VALU_DEP_2)
	v_fmac_f32_e32 v10, v37, v22
	s_waitcnt vmcnt(4)
	v_fmac_f32_e32 v11, v25, v23
	s_waitcnt vmcnt(3)
	s_delay_alu instid0(VALU_DEP_2)
	v_fmac_f32_e32 v10, v26, v23
	v_fmac_f32_e32 v9, v15, v19
	s_waitcnt vmcnt(1)
	v_fmac_f32_e32 v11, v4, v24
	s_waitcnt vmcnt(0)
	v_fmac_f32_e32 v10, v5, v24
	v_fmac_f32_e32 v9, v30, v20
	s_delay_alu instid0(VALU_DEP_1) | instskip(NEXT) | instid1(VALU_DEP_1)
	v_fmac_f32_e32 v9, v33, v21
	v_fmac_f32_e32 v9, v35, v22
	s_delay_alu instid0(VALU_DEP_1) | instskip(NEXT) | instid1(VALU_DEP_1)
	v_fmac_f32_e32 v9, v38, v23
	v_fmac_f32_e32 v9, v13, v24
	s_and_not1_b32 exec_lo, exec_lo, s5
	s_cbranch_execnz .LBB23_9
; %bb.10:
	s_or_b32 exec_lo, exec_lo, s5
.LBB23_11:
	s_delay_alu instid0(SALU_CYCLE_1) | instskip(NEXT) | instid1(SALU_CYCLE_1)
	s_or_b32 exec_lo, exec_lo, s4
	s_and_not1_b32 vcc_lo, exec_lo, s3
	s_cbranch_vccz .LBB23_13
	s_branch .LBB23_18
.LBB23_12:
                                        ; implicit-def: $vgpr9
                                        ; implicit-def: $vgpr10
                                        ; implicit-def: $vgpr11
.LBB23_13:
	v_dual_mov_b32 v9, 0 :: v_dual_mov_b32 v10, 0
	v_mov_b32_e32 v11, 0
	s_delay_alu instid0(VALU_DEP_3)
	s_and_saveexec_b32 s3, s2
	s_cbranch_execz .LBB23_17
; %bb.14:
	v_mad_u64_u32 v[4:5], null, v2, 18, 17
	v_dual_mov_b32 v7, 0 :: v_dual_mov_b32 v10, 0
	v_mov_b32_e32 v9, 0
	v_mov_b32_e32 v11, 0
	s_mov_b32 s2, 0
.LBB23_15:                              ; =>This Inner Loop Header: Depth=1
	v_ashrrev_i32_e32 v3, 31, v2
	v_dual_mov_b32 v14, v7 :: v_dual_add_nc_u32 v13, -11, v4
	v_dual_mov_b32 v16, v7 :: v_dual_add_nc_u32 v15, -5, v4
	s_delay_alu instid0(VALU_DEP_3) | instskip(SKIP_1) | instid1(VALU_DEP_4)
	v_lshlrev_b64 v[5:6], 2, v[2:3]
	v_mov_b32_e32 v17, v7
	v_lshlrev_b64 v[13:14], 2, v[13:14]
	v_add_nc_u32_e32 v2, 32, v2
	v_lshlrev_b64 v[15:16], 2, v[15:16]
	v_add_co_u32 v5, vcc_lo, s6, v5
	v_add_co_ci_u32_e32 v6, vcc_lo, s7, v6, vcc_lo
	global_load_b32 v3, v[5:6], off
	v_subrev_nc_u32_e32 v6, 17, v4
	v_mov_b32_e32 v5, v7
	s_delay_alu instid0(VALU_DEP_2) | instskip(SKIP_1) | instid1(VALU_DEP_1)
	v_lshlrev_b64 v[18:19], 2, v[6:7]
	v_add_nc_u32_e32 v6, -10, v4
	v_lshlrev_b64 v[22:23], 2, v[6:7]
	v_add_nc_u32_e32 v6, -4, v4
	s_delay_alu instid0(VALU_DEP_4)
	v_add_co_u32 v18, vcc_lo, s8, v18
	v_add_co_ci_u32_e32 v19, vcc_lo, s9, v19, vcc_lo
	v_add_co_u32 v13, vcc_lo, s8, v13
	v_add_co_ci_u32_e32 v14, vcc_lo, s9, v14, vcc_lo
	v_add_co_u32 v15, vcc_lo, s8, v15
	v_lshlrev_b64 v[20:21], 2, v[4:5]
	v_add_co_ci_u32_e32 v16, vcc_lo, s9, v16, vcc_lo
	v_lshlrev_b64 v[24:25], 2, v[6:7]
	s_clause 0x2
	global_load_b64 v[18:19], v[18:19], off
	global_load_b32 v8, v[13:14], off
	global_load_b32 v30, v[15:16], off
	v_add_nc_u32_e32 v6, -15, v4
	v_add_co_u32 v20, vcc_lo, s8, v20
	v_add_co_ci_u32_e32 v21, vcc_lo, s9, v21, vcc_lo
	v_add_co_u32 v22, vcc_lo, s8, v22
	s_delay_alu instid0(VALU_DEP_4) | instskip(SKIP_3) | instid1(VALU_DEP_4)
	v_lshlrev_b64 v[5:6], 2, v[6:7]
	v_add_co_ci_u32_e32 v23, vcc_lo, s9, v23, vcc_lo
	v_add_co_u32 v13, vcc_lo, s8, v24
	v_add_co_ci_u32_e32 v14, vcc_lo, s9, v25, vcc_lo
	v_add_co_u32 v5, vcc_lo, s8, v5
	v_add_co_ci_u32_e32 v6, vcc_lo, s9, v6, vcc_lo
	s_clause 0x2
	global_load_b32 v31, v[22:23], off
	global_load_b32 v32, v[13:14], off
	;; [unrolled: 1-line block ×3, first 2 shown]
	s_waitcnt vmcnt(6)
	v_subrev_nc_u32_e32 v3, s18, v3
	s_delay_alu instid0(VALU_DEP_1) | instskip(NEXT) | instid1(VALU_DEP_1)
	v_mul_lo_u32 v16, v3, 6
	v_lshlrev_b64 v[13:14], 2, v[16:17]
	s_delay_alu instid0(VALU_DEP_1) | instskip(NEXT) | instid1(VALU_DEP_2)
	v_add_co_u32 v13, vcc_lo, s10, v13
	v_add_co_ci_u32_e32 v14, vcc_lo, s11, v14, vcc_lo
	global_load_b64 v[13:14], v[13:14], off
	s_waitcnt vmcnt(0)
	v_dual_fmac_f32 v11, v8, v13 :: v_dual_add_nc_u32 v6, 2, v16
	s_delay_alu instid0(VALU_DEP_1) | instskip(SKIP_1) | instid1(VALU_DEP_3)
	v_lshlrev_b64 v[22:23], 2, v[6:7]
	v_dual_fmac_f32 v9, v18, v13 :: v_dual_add_nc_u32 v6, -9, v4
	v_fmac_f32_e32 v11, v31, v14
	s_delay_alu instid0(VALU_DEP_2) | instskip(NEXT) | instid1(VALU_DEP_3)
	v_fmac_f32_e32 v9, v19, v14
	v_lshlrev_b64 v[24:25], 2, v[6:7]
	v_add_co_u32 v22, vcc_lo, s10, v22
	v_add_co_ci_u32_e32 v23, vcc_lo, s11, v23, vcc_lo
	v_add_nc_u32_e32 v6, -3, v4
	s_delay_alu instid0(VALU_DEP_4)
	v_add_co_u32 v24, vcc_lo, s8, v24
	v_add_co_ci_u32_e32 v25, vcc_lo, s9, v25, vcc_lo
	global_load_b64 v[22:23], v[22:23], off
	v_lshlrev_b64 v[26:27], 2, v[6:7]
	v_add_nc_u32_e32 v6, -14, v4
	global_load_b32 v3, v[24:25], off
	v_add_co_u32 v24, vcc_lo, s8, v26
	v_add_co_ci_u32_e32 v25, vcc_lo, s9, v27, vcc_lo
	global_load_b32 v17, v[24:25], off
	s_waitcnt vmcnt(2)
	v_fmac_f32_e32 v9, v33, v22
	v_lshlrev_b64 v[28:29], 2, v[6:7]
	s_waitcnt vmcnt(1)
	v_dual_fmac_f32 v11, v3, v22 :: v_dual_add_nc_u32 v6, -8, v4
	s_delay_alu instid0(VALU_DEP_1) | instskip(NEXT) | instid1(VALU_DEP_3)
	v_lshlrev_b64 v[26:27], 2, v[6:7]
	v_add_co_u32 v28, vcc_lo, s8, v28
	s_delay_alu instid0(VALU_DEP_4) | instskip(NEXT) | instid1(VALU_DEP_3)
	v_add_co_ci_u32_e32 v29, vcc_lo, s9, v29, vcc_lo
	v_add_co_u32 v26, vcc_lo, s8, v26
	global_load_b32 v34, v[28:29], off
	v_add_co_ci_u32_e32 v27, vcc_lo, s9, v27, vcc_lo
	global_load_b32 v35, v[26:27], off
	s_waitcnt vmcnt(1)
	v_dual_fmac_f32 v9, v34, v23 :: v_dual_add_nc_u32 v6, -2, v4
	s_delay_alu instid0(VALU_DEP_1) | instskip(SKIP_2) | instid1(VALU_DEP_1)
	v_lshlrev_b64 v[24:25], 2, v[6:7]
	s_waitcnt vmcnt(0)
	v_dual_fmac_f32 v11, v35, v23 :: v_dual_add_nc_u32 v6, -13, v4
	v_lshlrev_b64 v[28:29], 2, v[6:7]
	v_add_nc_u32_e32 v6, 4, v16
	s_delay_alu instid0(VALU_DEP_4) | instskip(SKIP_1) | instid1(VALU_DEP_3)
	v_add_co_u32 v15, vcc_lo, s8, v24
	v_add_co_ci_u32_e32 v16, vcc_lo, s9, v25, vcc_lo
	v_lshlrev_b64 v[24:25], 2, v[6:7]
	global_load_b32 v36, v[15:16], off
	v_add_co_u32 v15, vcc_lo, s8, v28
	v_add_co_ci_u32_e32 v16, vcc_lo, s9, v29, vcc_lo
	v_add_co_u32 v24, vcc_lo, s10, v24
	v_add_co_ci_u32_e32 v25, vcc_lo, s11, v25, vcc_lo
	global_load_b32 v37, v[15:16], off
	global_load_b64 v[24:25], v[24:25], off
	v_add_nc_u32_e32 v6, -7, v4
	v_fmac_f32_e32 v10, v30, v13
	s_delay_alu instid0(VALU_DEP_2) | instskip(SKIP_1) | instid1(VALU_DEP_1)
	v_lshlrev_b64 v[26:27], 2, v[6:7]
	v_add_nc_u32_e32 v6, -1, v4
	v_lshlrev_b64 v[15:16], 2, v[6:7]
	v_add_nc_u32_e32 v6, -12, v4
	s_delay_alu instid0(VALU_DEP_4) | instskip(SKIP_1) | instid1(VALU_DEP_3)
	v_add_co_u32 v26, vcc_lo, s8, v26
	v_add_co_ci_u32_e32 v27, vcc_lo, s9, v27, vcc_lo
	v_lshlrev_b64 v[28:29], 2, v[6:7]
	v_add_nc_u32_e32 v6, -6, v4
	v_add_co_u32 v15, vcc_lo, s8, v15
	global_load_b32 v26, v[26:27], off
	v_add_co_ci_u32_e32 v16, vcc_lo, s9, v16, vcc_lo
	v_lshlrev_b64 v[5:6], 2, v[6:7]
	v_add_nc_u32_e32 v4, 0x240, v4
	global_load_b32 v27, v[15:16], off
	v_add_co_u32 v15, vcc_lo, s8, v28
	v_add_co_ci_u32_e32 v16, vcc_lo, s9, v29, vcc_lo
	v_add_co_u32 v5, vcc_lo, s8, v5
	v_add_co_ci_u32_e32 v6, vcc_lo, s9, v6, vcc_lo
	s_clause 0x2
	global_load_b32 v15, v[15:16], off
	global_load_b32 v5, v[5:6], off
	;; [unrolled: 1-line block ×3, first 2 shown]
	v_cmp_ge_i32_e32 vcc_lo, v2, v12
	s_or_b32 s2, vcc_lo, s2
	s_waitcnt vmcnt(5)
	v_dual_fmac_f32 v9, v37, v24 :: v_dual_fmac_f32 v10, v32, v14
	s_waitcnt vmcnt(4)
	s_delay_alu instid0(VALU_DEP_1) | instskip(NEXT) | instid1(VALU_DEP_1)
	v_dual_fmac_f32 v11, v26, v24 :: v_dual_fmac_f32 v10, v17, v22
	v_fmac_f32_e32 v10, v36, v23
	s_waitcnt vmcnt(3)
	s_delay_alu instid0(VALU_DEP_1)
	v_fmac_f32_e32 v10, v27, v24
	s_waitcnt vmcnt(2)
	v_fmac_f32_e32 v9, v15, v25
	s_waitcnt vmcnt(1)
	;; [unrolled: 2-line block ×3, first 2 shown]
	v_fmac_f32_e32 v10, v6, v25
	s_and_not1_b32 exec_lo, exec_lo, s2
	s_cbranch_execnz .LBB23_15
; %bb.16:
	s_or_b32 exec_lo, exec_lo, s2
.LBB23_17:
	s_delay_alu instid0(SALU_CYCLE_1)
	s_or_b32 exec_lo, exec_lo, s3
.LBB23_18:
	v_mbcnt_lo_u32_b32 v2, -1, 0
	s_mov_b32 s2, -1
	s_delay_alu instid0(VALU_DEP_1) | instskip(SKIP_1) | instid1(VALU_DEP_2)
	v_xor_b32_e32 v3, 16, v2
	v_xor_b32_e32 v6, 8, v2
	v_cmp_gt_i32_e32 vcc_lo, 32, v3
	v_cndmask_b32_e32 v3, v2, v3, vcc_lo
	s_delay_alu instid0(VALU_DEP_3) | instskip(SKIP_1) | instid1(VALU_DEP_1)
	v_cmp_gt_i32_e32 vcc_lo, 32, v6
	v_cndmask_b32_e32 v6, v2, v6, vcc_lo
	v_lshlrev_b32_e32 v6, 2, v6
	s_delay_alu instid0(VALU_DEP_4)
	v_lshlrev_b32_e32 v3, 2, v3
	ds_bpermute_b32 v4, v3, v9
	s_waitcnt lgkmcnt(0)
	v_add_f32_e32 v4, v9, v4
	ds_bpermute_b32 v5, v3, v11
	ds_bpermute_b32 v3, v3, v10
	v_xor_b32_e32 v9, 4, v2
	ds_bpermute_b32 v7, v6, v4
	v_cmp_gt_i32_e32 vcc_lo, 32, v9
	v_cndmask_b32_e32 v9, v2, v9, vcc_lo
	s_waitcnt lgkmcnt(0)
	v_dual_add_f32 v5, v11, v5 :: v_dual_add_f32 v4, v4, v7
	v_add_f32_e32 v3, v10, v3
	ds_bpermute_b32 v8, v6, v5
	ds_bpermute_b32 v6, v6, v3
	s_waitcnt lgkmcnt(1)
	v_add_f32_e32 v5, v5, v8
	s_waitcnt lgkmcnt(0)
	v_add_f32_e32 v3, v3, v6
	v_lshlrev_b32_e32 v9, 2, v9
	ds_bpermute_b32 v6, v9, v4
	ds_bpermute_b32 v8, v9, v3
	s_waitcnt lgkmcnt(1)
	v_add_f32_e32 v4, v4, v6
	s_waitcnt lgkmcnt(0)
	v_add_f32_e32 v6, v3, v8
	ds_bpermute_b32 v7, v9, v5
	v_xor_b32_e32 v9, 2, v2
	s_delay_alu instid0(VALU_DEP_1) | instskip(SKIP_1) | instid1(VALU_DEP_1)
	v_cmp_gt_i32_e32 vcc_lo, 32, v9
	v_cndmask_b32_e32 v9, v2, v9, vcc_lo
	v_lshlrev_b32_e32 v9, 2, v9
	s_waitcnt lgkmcnt(0)
	v_add_f32_e32 v5, v5, v7
	ds_bpermute_b32 v3, v9, v4
	ds_bpermute_b32 v8, v9, v6
	;; [unrolled: 1-line block ×3, first 2 shown]
	v_xor_b32_e32 v9, 1, v2
	s_delay_alu instid0(VALU_DEP_1) | instskip(SKIP_3) | instid1(VALU_DEP_2)
	v_cmp_gt_i32_e32 vcc_lo, 32, v9
	v_cndmask_b32_e32 v2, v2, v9, vcc_lo
	v_cmp_eq_u32_e32 vcc_lo, 31, v0
	s_waitcnt lgkmcnt(2)
	v_dual_add_f32 v2, v4, v3 :: v_dual_lshlrev_b32 v9, 2, v2
	s_waitcnt lgkmcnt(0)
	v_dual_add_f32 v4, v6, v8 :: v_dual_add_f32 v3, v5, v7
	ds_bpermute_b32 v5, v9, v2
	ds_bpermute_b32 v7, v9, v4
	ds_bpermute_b32 v6, v9, v3
	s_and_b32 exec_lo, exec_lo, vcc_lo
	s_cbranch_execz .LBB23_23
; %bb.19:
	s_load_b64 s[0:1], s[0:1], 0x38
	s_waitcnt lgkmcnt(0)
	v_add_f32_e32 v0, v2, v5
	v_add_f32_e32 v2, v3, v6
	;; [unrolled: 1-line block ×3, first 2 shown]
	v_lshl_add_u32 v3, v1, 1, v1
	v_cmp_eq_f32_e64 s3, s12, 0
	s_delay_alu instid0(VALU_DEP_4) | instskip(NEXT) | instid1(VALU_DEP_4)
	v_dual_mul_f32 v1, s16, v2 :: v_dual_mul_f32 v0, s16, v0
	v_mul_f32_e32 v2, s16, v4
	s_delay_alu instid0(VALU_DEP_4) | instskip(NEXT) | instid1(VALU_DEP_4)
	v_ashrrev_i32_e32 v4, 31, v3
	s_and_b32 vcc_lo, exec_lo, s3
	s_cbranch_vccz .LBB23_21
; %bb.20:
	s_delay_alu instid0(VALU_DEP_1) | instskip(SKIP_1) | instid1(VALU_DEP_1)
	v_lshlrev_b64 v[5:6], 2, v[3:4]
	s_mov_b32 s2, 0
	v_add_co_u32 v5, vcc_lo, s0, v5
	s_delay_alu instid0(VALU_DEP_2)
	v_add_co_ci_u32_e32 v6, vcc_lo, s1, v6, vcc_lo
	global_store_b96 v[5:6], v[0:2], off
.LBB23_21:
	s_and_not1_b32 vcc_lo, exec_lo, s2
	s_cbranch_vccnz .LBB23_23
; %bb.22:
	v_lshlrev_b64 v[3:4], 2, v[3:4]
	s_delay_alu instid0(VALU_DEP_1) | instskip(NEXT) | instid1(VALU_DEP_2)
	v_add_co_u32 v6, vcc_lo, s0, v3
	v_add_co_ci_u32_e32 v7, vcc_lo, s1, v4, vcc_lo
	global_load_b96 v[3:5], v[6:7], off
	s_waitcnt vmcnt(0)
	v_dual_fmac_f32 v0, s12, v3 :: v_dual_fmac_f32 v1, s12, v4
	v_fmac_f32_e32 v2, s12, v5
	global_store_b96 v[6:7], v[0:2], off
.LBB23_23:
	s_nop 0
	s_sendmsg sendmsg(MSG_DEALLOC_VGPRS)
	s_endpgm
	.section	.rodata,"a",@progbits
	.p2align	6, 0x0
	.amdhsa_kernel _ZN9rocsparseL19gebsrmvn_3xn_kernelILj128ELj6ELj32EfEEvi20rocsparse_direction_NS_24const_host_device_scalarIT2_EEPKiS6_PKS3_S8_S4_PS3_21rocsparse_index_base_b
		.amdhsa_group_segment_fixed_size 0
		.amdhsa_private_segment_fixed_size 0
		.amdhsa_kernarg_size 72
		.amdhsa_user_sgpr_count 15
		.amdhsa_user_sgpr_dispatch_ptr 0
		.amdhsa_user_sgpr_queue_ptr 0
		.amdhsa_user_sgpr_kernarg_segment_ptr 1
		.amdhsa_user_sgpr_dispatch_id 0
		.amdhsa_user_sgpr_private_segment_size 0
		.amdhsa_wavefront_size32 1
		.amdhsa_uses_dynamic_stack 0
		.amdhsa_enable_private_segment 0
		.amdhsa_system_sgpr_workgroup_id_x 1
		.amdhsa_system_sgpr_workgroup_id_y 0
		.amdhsa_system_sgpr_workgroup_id_z 0
		.amdhsa_system_sgpr_workgroup_info 0
		.amdhsa_system_vgpr_workitem_id 0
		.amdhsa_next_free_vgpr 39
		.amdhsa_next_free_sgpr 20
		.amdhsa_reserve_vcc 1
		.amdhsa_float_round_mode_32 0
		.amdhsa_float_round_mode_16_64 0
		.amdhsa_float_denorm_mode_32 3
		.amdhsa_float_denorm_mode_16_64 3
		.amdhsa_dx10_clamp 1
		.amdhsa_ieee_mode 1
		.amdhsa_fp16_overflow 0
		.amdhsa_workgroup_processor_mode 1
		.amdhsa_memory_ordered 1
		.amdhsa_forward_progress 0
		.amdhsa_shared_vgpr_count 0
		.amdhsa_exception_fp_ieee_invalid_op 0
		.amdhsa_exception_fp_denorm_src 0
		.amdhsa_exception_fp_ieee_div_zero 0
		.amdhsa_exception_fp_ieee_overflow 0
		.amdhsa_exception_fp_ieee_underflow 0
		.amdhsa_exception_fp_ieee_inexact 0
		.amdhsa_exception_int_div_zero 0
	.end_amdhsa_kernel
	.section	.text._ZN9rocsparseL19gebsrmvn_3xn_kernelILj128ELj6ELj32EfEEvi20rocsparse_direction_NS_24const_host_device_scalarIT2_EEPKiS6_PKS3_S8_S4_PS3_21rocsparse_index_base_b,"axG",@progbits,_ZN9rocsparseL19gebsrmvn_3xn_kernelILj128ELj6ELj32EfEEvi20rocsparse_direction_NS_24const_host_device_scalarIT2_EEPKiS6_PKS3_S8_S4_PS3_21rocsparse_index_base_b,comdat
.Lfunc_end23:
	.size	_ZN9rocsparseL19gebsrmvn_3xn_kernelILj128ELj6ELj32EfEEvi20rocsparse_direction_NS_24const_host_device_scalarIT2_EEPKiS6_PKS3_S8_S4_PS3_21rocsparse_index_base_b, .Lfunc_end23-_ZN9rocsparseL19gebsrmvn_3xn_kernelILj128ELj6ELj32EfEEvi20rocsparse_direction_NS_24const_host_device_scalarIT2_EEPKiS6_PKS3_S8_S4_PS3_21rocsparse_index_base_b
                                        ; -- End function
	.section	.AMDGPU.csdata,"",@progbits
; Kernel info:
; codeLenInByte = 2752
; NumSgprs: 22
; NumVgprs: 39
; ScratchSize: 0
; MemoryBound: 0
; FloatMode: 240
; IeeeMode: 1
; LDSByteSize: 0 bytes/workgroup (compile time only)
; SGPRBlocks: 2
; VGPRBlocks: 4
; NumSGPRsForWavesPerEU: 22
; NumVGPRsForWavesPerEU: 39
; Occupancy: 16
; WaveLimiterHint : 1
; COMPUTE_PGM_RSRC2:SCRATCH_EN: 0
; COMPUTE_PGM_RSRC2:USER_SGPR: 15
; COMPUTE_PGM_RSRC2:TRAP_HANDLER: 0
; COMPUTE_PGM_RSRC2:TGID_X_EN: 1
; COMPUTE_PGM_RSRC2:TGID_Y_EN: 0
; COMPUTE_PGM_RSRC2:TGID_Z_EN: 0
; COMPUTE_PGM_RSRC2:TIDIG_COMP_CNT: 0
	.section	.text._ZN9rocsparseL19gebsrmvn_3xn_kernelILj128ELj6ELj64EfEEvi20rocsparse_direction_NS_24const_host_device_scalarIT2_EEPKiS6_PKS3_S8_S4_PS3_21rocsparse_index_base_b,"axG",@progbits,_ZN9rocsparseL19gebsrmvn_3xn_kernelILj128ELj6ELj64EfEEvi20rocsparse_direction_NS_24const_host_device_scalarIT2_EEPKiS6_PKS3_S8_S4_PS3_21rocsparse_index_base_b,comdat
	.globl	_ZN9rocsparseL19gebsrmvn_3xn_kernelILj128ELj6ELj64EfEEvi20rocsparse_direction_NS_24const_host_device_scalarIT2_EEPKiS6_PKS3_S8_S4_PS3_21rocsparse_index_base_b ; -- Begin function _ZN9rocsparseL19gebsrmvn_3xn_kernelILj128ELj6ELj64EfEEvi20rocsparse_direction_NS_24const_host_device_scalarIT2_EEPKiS6_PKS3_S8_S4_PS3_21rocsparse_index_base_b
	.p2align	8
	.type	_ZN9rocsparseL19gebsrmvn_3xn_kernelILj128ELj6ELj64EfEEvi20rocsparse_direction_NS_24const_host_device_scalarIT2_EEPKiS6_PKS3_S8_S4_PS3_21rocsparse_index_base_b,@function
_ZN9rocsparseL19gebsrmvn_3xn_kernelILj128ELj6ELj64EfEEvi20rocsparse_direction_NS_24const_host_device_scalarIT2_EEPKiS6_PKS3_S8_S4_PS3_21rocsparse_index_base_b: ; @_ZN9rocsparseL19gebsrmvn_3xn_kernelILj128ELj6ELj64EfEEvi20rocsparse_direction_NS_24const_host_device_scalarIT2_EEPKiS6_PKS3_S8_S4_PS3_21rocsparse_index_base_b
; %bb.0:
	s_clause 0x2
	s_load_b64 s[18:19], s[0:1], 0x40
	s_load_b64 s[16:17], s[0:1], 0x8
	s_load_b64 s[12:13], s[0:1], 0x30
	s_waitcnt lgkmcnt(0)
	s_bitcmp1_b32 s19, 0
	s_cselect_b32 s2, -1, 0
	s_delay_alu instid0(SALU_CYCLE_1)
	s_and_b32 vcc_lo, exec_lo, s2
	s_xor_b32 s2, s2, -1
	s_cbranch_vccnz .LBB24_2
; %bb.1:
	s_load_b32 s16, s[16:17], 0x0
.LBB24_2:
	s_and_not1_b32 vcc_lo, exec_lo, s2
	s_cbranch_vccnz .LBB24_4
; %bb.3:
	s_load_b32 s12, s[12:13], 0x0
.LBB24_4:
	s_waitcnt lgkmcnt(0)
	v_cmp_eq_f32_e64 s2, s16, 0
	v_cmp_eq_f32_e64 s3, s12, 1.0
	s_delay_alu instid0(VALU_DEP_1) | instskip(NEXT) | instid1(SALU_CYCLE_1)
	s_and_b32 s2, s2, s3
	s_and_b32 vcc_lo, exec_lo, s2
	s_cbranch_vccnz .LBB24_23
; %bb.5:
	s_load_b64 s[2:3], s[0:1], 0x0
	v_lshrrev_b32_e32 v1, 6, v0
	s_delay_alu instid0(VALU_DEP_1) | instskip(SKIP_1) | instid1(VALU_DEP_1)
	v_lshl_or_b32 v1, s15, 1, v1
	s_waitcnt lgkmcnt(0)
	v_cmp_gt_i32_e32 vcc_lo, s2, v1
	s_and_saveexec_b32 s2, vcc_lo
	s_cbranch_execz .LBB24_23
; %bb.6:
	s_load_b256 s[4:11], s[0:1], 0x10
	v_ashrrev_i32_e32 v2, 31, v1
	v_and_b32_e32 v0, 63, v0
	s_cmp_lg_u32 s3, 0
	s_delay_alu instid0(VALU_DEP_2) | instskip(SKIP_1) | instid1(VALU_DEP_1)
	v_lshlrev_b64 v[2:3], 2, v[1:2]
	s_waitcnt lgkmcnt(0)
	v_add_co_u32 v2, vcc_lo, s4, v2
	s_delay_alu instid0(VALU_DEP_2) | instskip(SKIP_4) | instid1(VALU_DEP_2)
	v_add_co_ci_u32_e32 v3, vcc_lo, s5, v3, vcc_lo
	global_load_b64 v[2:3], v[2:3], off
	s_waitcnt vmcnt(0)
	v_subrev_nc_u32_e32 v2, s18, v2
	v_subrev_nc_u32_e32 v12, s18, v3
	v_add_nc_u32_e32 v2, v2, v0
	s_delay_alu instid0(VALU_DEP_1)
	v_cmp_lt_i32_e64 s2, v2, v12
	s_cbranch_scc0 .LBB24_12
; %bb.7:
	v_dual_mov_b32 v9, 0 :: v_dual_mov_b32 v10, 0
	v_mov_b32_e32 v11, 0
	s_mov_b32 s3, 0
	s_and_saveexec_b32 s4, s2
	s_cbranch_execz .LBB24_11
; %bb.8:
	v_mad_u64_u32 v[3:4], null, v2, 18, 17
	v_dual_mov_b32 v6, 0 :: v_dual_mov_b32 v7, v2
	v_dual_mov_b32 v9, 0 :: v_dual_mov_b32 v10, 0
	v_mov_b32_e32 v11, 0
	s_mov_b32 s5, 0
.LBB24_9:                               ; =>This Inner Loop Header: Depth=1
	s_delay_alu instid0(VALU_DEP_3) | instskip(SKIP_1) | instid1(VALU_DEP_2)
	v_ashrrev_i32_e32 v8, 31, v7
	v_mov_b32_e32 v14, v6
	v_lshlrev_b64 v[4:5], 2, v[7:8]
	v_add_nc_u32_e32 v7, 64, v7
	s_delay_alu instid0(VALU_DEP_2) | instskip(NEXT) | instid1(VALU_DEP_3)
	v_add_co_u32 v4, vcc_lo, s6, v4
	v_add_co_ci_u32_e32 v5, vcc_lo, s7, v5, vcc_lo
	global_load_b32 v8, v[4:5], off
	v_subrev_nc_u32_e32 v5, 17, v3
	v_mov_b32_e32 v4, v6
	s_delay_alu instid0(VALU_DEP_2) | instskip(SKIP_1) | instid1(VALU_DEP_1)
	v_lshlrev_b64 v[15:16], 2, v[5:6]
	v_add_nc_u32_e32 v5, -15, v3
	v_lshlrev_b64 v[19:20], 2, v[5:6]
	v_add_nc_u32_e32 v5, -14, v3
	v_lshlrev_b64 v[17:18], 2, v[3:4]
	v_add_co_u32 v15, vcc_lo, s8, v15
	v_add_co_ci_u32_e32 v16, vcc_lo, s9, v16, vcc_lo
	s_delay_alu instid0(VALU_DEP_4) | instskip(NEXT) | instid1(VALU_DEP_4)
	v_lshlrev_b64 v[21:22], 2, v[5:6]
	v_add_co_u32 v17, vcc_lo, s8, v17
	v_add_co_ci_u32_e32 v18, vcc_lo, s9, v18, vcc_lo
	v_add_nc_u32_e32 v5, -13, v3
	v_add_co_u32 v19, vcc_lo, s8, v19
	v_add_co_ci_u32_e32 v20, vcc_lo, s9, v20, vcc_lo
	s_delay_alu instid0(VALU_DEP_3)
	v_lshlrev_b64 v[23:24], 2, v[5:6]
	v_add_nc_u32_e32 v5, -12, v3
	s_clause 0x1
	global_load_b64 v[15:16], v[15:16], off
	global_load_b32 v29, v[19:20], off
	v_add_co_u32 v19, vcc_lo, s8, v21
	v_add_co_ci_u32_e32 v20, vcc_lo, s9, v22, vcc_lo
	v_lshlrev_b64 v[21:22], 2, v[5:6]
	v_add_nc_u32_e32 v5, -11, v3
	v_add_co_u32 v23, vcc_lo, s8, v23
	v_add_co_ci_u32_e32 v24, vcc_lo, s9, v24, vcc_lo
	s_delay_alu instid0(VALU_DEP_3)
	v_lshlrev_b64 v[4:5], 2, v[5:6]
	s_clause 0x1
	global_load_b32 v30, v[19:20], off
	global_load_b32 v31, v[23:24], off
	v_add_co_u32 v19, vcc_lo, s8, v21
	v_add_co_ci_u32_e32 v20, vcc_lo, s9, v22, vcc_lo
	v_add_co_u32 v4, vcc_lo, s8, v4
	v_add_co_ci_u32_e32 v5, vcc_lo, s9, v5, vcc_lo
	s_clause 0x1
	global_load_b32 v32, v[19:20], off
	global_load_b32 v33, v[4:5], off
	s_waitcnt vmcnt(6)
	v_subrev_nc_u32_e32 v4, s18, v8
	s_delay_alu instid0(VALU_DEP_1) | instskip(NEXT) | instid1(VALU_DEP_1)
	v_mul_lo_u32 v13, v4, 6
	v_lshlrev_b64 v[19:20], 2, v[13:14]
	s_delay_alu instid0(VALU_DEP_1) | instskip(NEXT) | instid1(VALU_DEP_2)
	v_add_co_u32 v19, vcc_lo, s10, v19
	v_add_co_ci_u32_e32 v20, vcc_lo, s11, v20, vcc_lo
	global_load_b64 v[19:20], v[19:20], off
	v_add_nc_u32_e32 v5, 2, v13
	s_delay_alu instid0(VALU_DEP_1) | instskip(SKIP_1) | instid1(VALU_DEP_1)
	v_lshlrev_b64 v[21:22], 2, v[5:6]
	v_add_nc_u32_e32 v5, -10, v3
	v_lshlrev_b64 v[23:24], 2, v[5:6]
	v_add_nc_u32_e32 v5, -9, v3
	s_delay_alu instid0(VALU_DEP_4) | instskip(SKIP_1) | instid1(VALU_DEP_3)
	v_add_co_u32 v21, vcc_lo, s10, v21
	v_add_co_ci_u32_e32 v22, vcc_lo, s11, v22, vcc_lo
	v_lshlrev_b64 v[25:26], 2, v[5:6]
	v_add_nc_u32_e32 v5, -8, v3
	v_add_co_u32 v23, vcc_lo, s8, v23
	v_add_co_ci_u32_e32 v24, vcc_lo, s9, v24, vcc_lo
	s_delay_alu instid0(VALU_DEP_3)
	v_lshlrev_b64 v[27:28], 2, v[5:6]
	v_add_nc_u32_e32 v5, -7, v3
	global_load_b64 v[21:22], v[21:22], off
	global_load_b32 v8, v[23:24], off
	v_add_co_u32 v23, vcc_lo, s8, v25
	v_add_co_ci_u32_e32 v24, vcc_lo, s9, v26, vcc_lo
	v_lshlrev_b64 v[25:26], 2, v[5:6]
	v_add_co_u32 v27, vcc_lo, s8, v27
	v_add_co_ci_u32_e32 v28, vcc_lo, s9, v28, vcc_lo
	v_add_nc_u32_e32 v5, -6, v3
	s_delay_alu instid0(VALU_DEP_4)
	v_add_co_u32 v25, vcc_lo, s8, v25
	v_add_co_ci_u32_e32 v26, vcc_lo, s9, v26, vcc_lo
	s_clause 0x2
	global_load_b32 v34, v[23:24], off
	global_load_b32 v35, v[27:28], off
	;; [unrolled: 1-line block ×3, first 2 shown]
	v_lshlrev_b64 v[23:24], 2, v[5:6]
	v_add_nc_u32_e32 v5, -5, v3
	s_delay_alu instid0(VALU_DEP_1) | instskip(SKIP_1) | instid1(VALU_DEP_4)
	v_lshlrev_b64 v[27:28], 2, v[5:6]
	v_add_nc_u32_e32 v5, 4, v13
	v_add_co_u32 v13, vcc_lo, s8, v23
	v_add_co_ci_u32_e32 v14, vcc_lo, s9, v24, vcc_lo
	s_delay_alu instid0(VALU_DEP_3)
	v_lshlrev_b64 v[23:24], 2, v[5:6]
	v_add_nc_u32_e32 v5, -4, v3
	global_load_b32 v37, v[13:14], off
	v_add_co_u32 v13, vcc_lo, s8, v27
	v_add_co_ci_u32_e32 v14, vcc_lo, s9, v28, vcc_lo
	v_lshlrev_b64 v[25:26], 2, v[5:6]
	v_add_nc_u32_e32 v5, -3, v3
	v_add_co_u32 v23, vcc_lo, s10, v23
	global_load_b32 v38, v[13:14], off
	v_add_co_ci_u32_e32 v24, vcc_lo, s11, v24, vcc_lo
	v_lshlrev_b64 v[13:14], 2, v[5:6]
	v_add_nc_u32_e32 v5, -2, v3
	v_add_co_u32 v25, vcc_lo, s8, v25
	v_add_co_ci_u32_e32 v26, vcc_lo, s9, v26, vcc_lo
	s_delay_alu instid0(VALU_DEP_3) | instskip(SKIP_3) | instid1(VALU_DEP_3)
	v_lshlrev_b64 v[27:28], 2, v[5:6]
	v_add_nc_u32_e32 v5, -1, v3
	v_add_co_u32 v13, vcc_lo, s8, v13
	v_add_co_ci_u32_e32 v14, vcc_lo, s9, v14, vcc_lo
	v_lshlrev_b64 v[4:5], 2, v[5:6]
	global_load_b32 v25, v[25:26], off
	global_load_b64 v[23:24], v[23:24], off
	global_load_b32 v26, v[13:14], off
	v_add_co_u32 v13, vcc_lo, s8, v27
	v_add_co_ci_u32_e32 v14, vcc_lo, s9, v28, vcc_lo
	v_add_co_u32 v4, vcc_lo, s8, v4
	v_add_co_ci_u32_e32 v5, vcc_lo, s9, v5, vcc_lo
	s_clause 0x2
	global_load_b32 v13, v[13:14], off
	global_load_b32 v4, v[4:5], off
	;; [unrolled: 1-line block ×3, first 2 shown]
	v_cmp_ge_i32_e32 vcc_lo, v7, v12
	v_add_nc_u32_e32 v3, 0x480, v3
	s_or_b32 s5, vcc_lo, s5
	s_waitcnt vmcnt(13)
	v_fmac_f32_e32 v10, v29, v19
	v_fmac_f32_e32 v11, v16, v19
	s_delay_alu instid0(VALU_DEP_2) | instskip(NEXT) | instid1(VALU_DEP_2)
	v_fmac_f32_e32 v10, v32, v20
	v_fmac_f32_e32 v11, v31, v20
	s_waitcnt vmcnt(11)
	s_delay_alu instid0(VALU_DEP_1) | instskip(SKIP_1) | instid1(VALU_DEP_1)
	v_fmac_f32_e32 v11, v8, v21
	s_waitcnt vmcnt(8)
	v_dual_fmac_f32 v10, v34, v21 :: v_dual_fmac_f32 v11, v36, v22
	s_waitcnt vmcnt(7)
	s_delay_alu instid0(VALU_DEP_1) | instskip(SKIP_1) | instid1(VALU_DEP_2)
	v_fmac_f32_e32 v10, v37, v22
	s_waitcnt vmcnt(4)
	v_fmac_f32_e32 v11, v25, v23
	s_waitcnt vmcnt(3)
	s_delay_alu instid0(VALU_DEP_2)
	v_fmac_f32_e32 v10, v26, v23
	v_fmac_f32_e32 v9, v15, v19
	s_waitcnt vmcnt(1)
	v_fmac_f32_e32 v11, v4, v24
	s_waitcnt vmcnt(0)
	v_fmac_f32_e32 v10, v5, v24
	v_fmac_f32_e32 v9, v30, v20
	s_delay_alu instid0(VALU_DEP_1) | instskip(NEXT) | instid1(VALU_DEP_1)
	v_fmac_f32_e32 v9, v33, v21
	v_fmac_f32_e32 v9, v35, v22
	s_delay_alu instid0(VALU_DEP_1) | instskip(NEXT) | instid1(VALU_DEP_1)
	v_fmac_f32_e32 v9, v38, v23
	v_fmac_f32_e32 v9, v13, v24
	s_and_not1_b32 exec_lo, exec_lo, s5
	s_cbranch_execnz .LBB24_9
; %bb.10:
	s_or_b32 exec_lo, exec_lo, s5
.LBB24_11:
	s_delay_alu instid0(SALU_CYCLE_1) | instskip(NEXT) | instid1(SALU_CYCLE_1)
	s_or_b32 exec_lo, exec_lo, s4
	s_and_not1_b32 vcc_lo, exec_lo, s3
	s_cbranch_vccz .LBB24_13
	s_branch .LBB24_18
.LBB24_12:
                                        ; implicit-def: $vgpr9
                                        ; implicit-def: $vgpr10
                                        ; implicit-def: $vgpr11
.LBB24_13:
	v_dual_mov_b32 v9, 0 :: v_dual_mov_b32 v10, 0
	v_mov_b32_e32 v11, 0
	s_delay_alu instid0(VALU_DEP_3)
	s_and_saveexec_b32 s3, s2
	s_cbranch_execz .LBB24_17
; %bb.14:
	v_mad_u64_u32 v[4:5], null, v2, 18, 17
	v_dual_mov_b32 v7, 0 :: v_dual_mov_b32 v10, 0
	v_mov_b32_e32 v9, 0
	v_mov_b32_e32 v11, 0
	s_mov_b32 s2, 0
.LBB24_15:                              ; =>This Inner Loop Header: Depth=1
	v_ashrrev_i32_e32 v3, 31, v2
	v_dual_mov_b32 v14, v7 :: v_dual_add_nc_u32 v13, -11, v4
	v_dual_mov_b32 v16, v7 :: v_dual_add_nc_u32 v15, -5, v4
	s_delay_alu instid0(VALU_DEP_3) | instskip(SKIP_1) | instid1(VALU_DEP_4)
	v_lshlrev_b64 v[5:6], 2, v[2:3]
	v_mov_b32_e32 v17, v7
	v_lshlrev_b64 v[13:14], 2, v[13:14]
	v_add_nc_u32_e32 v2, 64, v2
	v_lshlrev_b64 v[15:16], 2, v[15:16]
	v_add_co_u32 v5, vcc_lo, s6, v5
	v_add_co_ci_u32_e32 v6, vcc_lo, s7, v6, vcc_lo
	global_load_b32 v3, v[5:6], off
	v_subrev_nc_u32_e32 v6, 17, v4
	v_mov_b32_e32 v5, v7
	s_delay_alu instid0(VALU_DEP_2) | instskip(SKIP_1) | instid1(VALU_DEP_1)
	v_lshlrev_b64 v[18:19], 2, v[6:7]
	v_add_nc_u32_e32 v6, -10, v4
	v_lshlrev_b64 v[22:23], 2, v[6:7]
	v_add_nc_u32_e32 v6, -4, v4
	s_delay_alu instid0(VALU_DEP_4)
	v_add_co_u32 v18, vcc_lo, s8, v18
	v_add_co_ci_u32_e32 v19, vcc_lo, s9, v19, vcc_lo
	v_add_co_u32 v13, vcc_lo, s8, v13
	v_add_co_ci_u32_e32 v14, vcc_lo, s9, v14, vcc_lo
	v_add_co_u32 v15, vcc_lo, s8, v15
	v_lshlrev_b64 v[20:21], 2, v[4:5]
	v_add_co_ci_u32_e32 v16, vcc_lo, s9, v16, vcc_lo
	v_lshlrev_b64 v[24:25], 2, v[6:7]
	s_clause 0x2
	global_load_b64 v[18:19], v[18:19], off
	global_load_b32 v8, v[13:14], off
	global_load_b32 v30, v[15:16], off
	v_add_nc_u32_e32 v6, -15, v4
	v_add_co_u32 v20, vcc_lo, s8, v20
	v_add_co_ci_u32_e32 v21, vcc_lo, s9, v21, vcc_lo
	v_add_co_u32 v22, vcc_lo, s8, v22
	s_delay_alu instid0(VALU_DEP_4) | instskip(SKIP_3) | instid1(VALU_DEP_4)
	v_lshlrev_b64 v[5:6], 2, v[6:7]
	v_add_co_ci_u32_e32 v23, vcc_lo, s9, v23, vcc_lo
	v_add_co_u32 v13, vcc_lo, s8, v24
	v_add_co_ci_u32_e32 v14, vcc_lo, s9, v25, vcc_lo
	v_add_co_u32 v5, vcc_lo, s8, v5
	v_add_co_ci_u32_e32 v6, vcc_lo, s9, v6, vcc_lo
	s_clause 0x2
	global_load_b32 v31, v[22:23], off
	global_load_b32 v32, v[13:14], off
	;; [unrolled: 1-line block ×3, first 2 shown]
	s_waitcnt vmcnt(6)
	v_subrev_nc_u32_e32 v3, s18, v3
	s_delay_alu instid0(VALU_DEP_1) | instskip(NEXT) | instid1(VALU_DEP_1)
	v_mul_lo_u32 v16, v3, 6
	v_lshlrev_b64 v[13:14], 2, v[16:17]
	s_delay_alu instid0(VALU_DEP_1) | instskip(NEXT) | instid1(VALU_DEP_2)
	v_add_co_u32 v13, vcc_lo, s10, v13
	v_add_co_ci_u32_e32 v14, vcc_lo, s11, v14, vcc_lo
	global_load_b64 v[13:14], v[13:14], off
	s_waitcnt vmcnt(0)
	v_dual_fmac_f32 v11, v8, v13 :: v_dual_add_nc_u32 v6, 2, v16
	s_delay_alu instid0(VALU_DEP_1) | instskip(SKIP_1) | instid1(VALU_DEP_3)
	v_lshlrev_b64 v[22:23], 2, v[6:7]
	v_dual_fmac_f32 v9, v18, v13 :: v_dual_add_nc_u32 v6, -9, v4
	v_fmac_f32_e32 v11, v31, v14
	s_delay_alu instid0(VALU_DEP_2) | instskip(NEXT) | instid1(VALU_DEP_3)
	v_fmac_f32_e32 v9, v19, v14
	v_lshlrev_b64 v[24:25], 2, v[6:7]
	v_add_co_u32 v22, vcc_lo, s10, v22
	v_add_co_ci_u32_e32 v23, vcc_lo, s11, v23, vcc_lo
	v_add_nc_u32_e32 v6, -3, v4
	s_delay_alu instid0(VALU_DEP_4)
	v_add_co_u32 v24, vcc_lo, s8, v24
	v_add_co_ci_u32_e32 v25, vcc_lo, s9, v25, vcc_lo
	global_load_b64 v[22:23], v[22:23], off
	v_lshlrev_b64 v[26:27], 2, v[6:7]
	v_add_nc_u32_e32 v6, -14, v4
	global_load_b32 v3, v[24:25], off
	v_add_co_u32 v24, vcc_lo, s8, v26
	v_add_co_ci_u32_e32 v25, vcc_lo, s9, v27, vcc_lo
	global_load_b32 v17, v[24:25], off
	s_waitcnt vmcnt(2)
	v_fmac_f32_e32 v9, v33, v22
	v_lshlrev_b64 v[28:29], 2, v[6:7]
	s_waitcnt vmcnt(1)
	v_dual_fmac_f32 v11, v3, v22 :: v_dual_add_nc_u32 v6, -8, v4
	s_delay_alu instid0(VALU_DEP_1) | instskip(NEXT) | instid1(VALU_DEP_3)
	v_lshlrev_b64 v[26:27], 2, v[6:7]
	v_add_co_u32 v28, vcc_lo, s8, v28
	s_delay_alu instid0(VALU_DEP_4) | instskip(NEXT) | instid1(VALU_DEP_3)
	v_add_co_ci_u32_e32 v29, vcc_lo, s9, v29, vcc_lo
	v_add_co_u32 v26, vcc_lo, s8, v26
	global_load_b32 v34, v[28:29], off
	v_add_co_ci_u32_e32 v27, vcc_lo, s9, v27, vcc_lo
	global_load_b32 v35, v[26:27], off
	s_waitcnt vmcnt(1)
	v_dual_fmac_f32 v9, v34, v23 :: v_dual_add_nc_u32 v6, -2, v4
	s_delay_alu instid0(VALU_DEP_1) | instskip(SKIP_2) | instid1(VALU_DEP_1)
	v_lshlrev_b64 v[24:25], 2, v[6:7]
	s_waitcnt vmcnt(0)
	v_dual_fmac_f32 v11, v35, v23 :: v_dual_add_nc_u32 v6, -13, v4
	v_lshlrev_b64 v[28:29], 2, v[6:7]
	v_add_nc_u32_e32 v6, 4, v16
	s_delay_alu instid0(VALU_DEP_4) | instskip(SKIP_1) | instid1(VALU_DEP_3)
	v_add_co_u32 v15, vcc_lo, s8, v24
	v_add_co_ci_u32_e32 v16, vcc_lo, s9, v25, vcc_lo
	v_lshlrev_b64 v[24:25], 2, v[6:7]
	global_load_b32 v36, v[15:16], off
	v_add_co_u32 v15, vcc_lo, s8, v28
	v_add_co_ci_u32_e32 v16, vcc_lo, s9, v29, vcc_lo
	v_add_co_u32 v24, vcc_lo, s10, v24
	v_add_co_ci_u32_e32 v25, vcc_lo, s11, v25, vcc_lo
	global_load_b32 v37, v[15:16], off
	global_load_b64 v[24:25], v[24:25], off
	v_add_nc_u32_e32 v6, -7, v4
	v_fmac_f32_e32 v10, v30, v13
	s_delay_alu instid0(VALU_DEP_2) | instskip(SKIP_1) | instid1(VALU_DEP_1)
	v_lshlrev_b64 v[26:27], 2, v[6:7]
	v_add_nc_u32_e32 v6, -1, v4
	v_lshlrev_b64 v[15:16], 2, v[6:7]
	v_add_nc_u32_e32 v6, -12, v4
	s_delay_alu instid0(VALU_DEP_4) | instskip(SKIP_1) | instid1(VALU_DEP_3)
	v_add_co_u32 v26, vcc_lo, s8, v26
	v_add_co_ci_u32_e32 v27, vcc_lo, s9, v27, vcc_lo
	v_lshlrev_b64 v[28:29], 2, v[6:7]
	v_add_nc_u32_e32 v6, -6, v4
	v_add_co_u32 v15, vcc_lo, s8, v15
	global_load_b32 v26, v[26:27], off
	v_add_co_ci_u32_e32 v16, vcc_lo, s9, v16, vcc_lo
	v_lshlrev_b64 v[5:6], 2, v[6:7]
	v_add_nc_u32_e32 v4, 0x480, v4
	global_load_b32 v27, v[15:16], off
	v_add_co_u32 v15, vcc_lo, s8, v28
	v_add_co_ci_u32_e32 v16, vcc_lo, s9, v29, vcc_lo
	v_add_co_u32 v5, vcc_lo, s8, v5
	v_add_co_ci_u32_e32 v6, vcc_lo, s9, v6, vcc_lo
	s_clause 0x2
	global_load_b32 v15, v[15:16], off
	global_load_b32 v5, v[5:6], off
	;; [unrolled: 1-line block ×3, first 2 shown]
	v_cmp_ge_i32_e32 vcc_lo, v2, v12
	s_or_b32 s2, vcc_lo, s2
	s_waitcnt vmcnt(5)
	v_dual_fmac_f32 v9, v37, v24 :: v_dual_fmac_f32 v10, v32, v14
	s_waitcnt vmcnt(4)
	s_delay_alu instid0(VALU_DEP_1) | instskip(NEXT) | instid1(VALU_DEP_1)
	v_dual_fmac_f32 v11, v26, v24 :: v_dual_fmac_f32 v10, v17, v22
	v_fmac_f32_e32 v10, v36, v23
	s_waitcnt vmcnt(3)
	s_delay_alu instid0(VALU_DEP_1)
	v_fmac_f32_e32 v10, v27, v24
	s_waitcnt vmcnt(2)
	v_fmac_f32_e32 v9, v15, v25
	s_waitcnt vmcnt(1)
	;; [unrolled: 2-line block ×3, first 2 shown]
	v_fmac_f32_e32 v10, v6, v25
	s_and_not1_b32 exec_lo, exec_lo, s2
	s_cbranch_execnz .LBB24_15
; %bb.16:
	s_or_b32 exec_lo, exec_lo, s2
.LBB24_17:
	s_delay_alu instid0(SALU_CYCLE_1)
	s_or_b32 exec_lo, exec_lo, s3
.LBB24_18:
	v_mbcnt_lo_u32_b32 v2, -1, 0
	s_mov_b32 s2, -1
	s_delay_alu instid0(VALU_DEP_1) | instskip(SKIP_1) | instid1(VALU_DEP_2)
	v_or_b32_e32 v3, 32, v2
	v_xor_b32_e32 v6, 16, v2
	v_cmp_gt_i32_e32 vcc_lo, 32, v3
	v_cndmask_b32_e32 v3, v2, v3, vcc_lo
	s_delay_alu instid0(VALU_DEP_3) | instskip(SKIP_1) | instid1(VALU_DEP_1)
	v_cmp_gt_i32_e32 vcc_lo, 32, v6
	v_cndmask_b32_e32 v6, v2, v6, vcc_lo
	v_lshlrev_b32_e32 v6, 2, v6
	s_delay_alu instid0(VALU_DEP_4)
	v_lshlrev_b32_e32 v3, 2, v3
	ds_bpermute_b32 v4, v3, v9
	s_waitcnt lgkmcnt(0)
	v_add_f32_e32 v4, v9, v4
	ds_bpermute_b32 v5, v3, v11
	ds_bpermute_b32 v3, v3, v10
	v_xor_b32_e32 v9, 8, v2
	ds_bpermute_b32 v7, v6, v4
	v_cmp_gt_i32_e32 vcc_lo, 32, v9
	v_cndmask_b32_e32 v9, v2, v9, vcc_lo
	s_waitcnt lgkmcnt(0)
	v_dual_add_f32 v5, v11, v5 :: v_dual_add_f32 v4, v4, v7
	v_add_f32_e32 v3, v10, v3
	ds_bpermute_b32 v8, v6, v5
	v_lshlrev_b32_e32 v9, 2, v9
	ds_bpermute_b32 v6, v6, v3
	s_waitcnt lgkmcnt(1)
	v_add_f32_e32 v5, v5, v8
	s_waitcnt lgkmcnt(0)
	v_add_f32_e32 v3, v3, v6
	ds_bpermute_b32 v6, v9, v4
	ds_bpermute_b32 v7, v9, v5
	;; [unrolled: 1-line block ×3, first 2 shown]
	v_xor_b32_e32 v9, 4, v2
	s_delay_alu instid0(VALU_DEP_1)
	v_cmp_gt_i32_e32 vcc_lo, 32, v9
	s_waitcnt lgkmcnt(1)
	v_dual_add_f32 v4, v4, v6 :: v_dual_add_f32 v5, v5, v7
	s_waitcnt lgkmcnt(0)
	v_add_f32_e32 v3, v3, v8
	v_cndmask_b32_e32 v9, v2, v9, vcc_lo
	s_delay_alu instid0(VALU_DEP_1) | instskip(SKIP_4) | instid1(VALU_DEP_1)
	v_lshlrev_b32_e32 v9, 2, v9
	ds_bpermute_b32 v6, v9, v4
	ds_bpermute_b32 v7, v9, v5
	;; [unrolled: 1-line block ×3, first 2 shown]
	v_xor_b32_e32 v9, 2, v2
	v_cmp_gt_i32_e32 vcc_lo, 32, v9
	v_cndmask_b32_e32 v9, v2, v9, vcc_lo
	s_waitcnt lgkmcnt(2)
	s_delay_alu instid0(VALU_DEP_1)
	v_dual_add_f32 v4, v4, v6 :: v_dual_lshlrev_b32 v9, 2, v9
	s_waitcnt lgkmcnt(0)
	v_dual_add_f32 v5, v5, v7 :: v_dual_add_f32 v6, v3, v8
	ds_bpermute_b32 v3, v9, v4
	ds_bpermute_b32 v7, v9, v5
	;; [unrolled: 1-line block ×3, first 2 shown]
	v_xor_b32_e32 v9, 1, v2
	s_delay_alu instid0(VALU_DEP_1) | instskip(SKIP_3) | instid1(VALU_DEP_2)
	v_cmp_gt_i32_e32 vcc_lo, 32, v9
	v_cndmask_b32_e32 v2, v2, v9, vcc_lo
	v_cmp_eq_u32_e32 vcc_lo, 63, v0
	s_waitcnt lgkmcnt(2)
	v_dual_add_f32 v2, v4, v3 :: v_dual_lshlrev_b32 v9, 2, v2
	s_waitcnt lgkmcnt(0)
	v_dual_add_f32 v3, v5, v7 :: v_dual_add_f32 v4, v6, v8
	ds_bpermute_b32 v5, v9, v2
	ds_bpermute_b32 v6, v9, v3
	;; [unrolled: 1-line block ×3, first 2 shown]
	s_and_b32 exec_lo, exec_lo, vcc_lo
	s_cbranch_execz .LBB24_23
; %bb.19:
	s_load_b64 s[0:1], s[0:1], 0x38
	s_waitcnt lgkmcnt(0)
	v_add_f32_e32 v0, v2, v5
	v_add_f32_e32 v2, v3, v6
	;; [unrolled: 1-line block ×3, first 2 shown]
	v_lshl_add_u32 v3, v1, 1, v1
	v_cmp_eq_f32_e64 s3, s12, 0
	s_delay_alu instid0(VALU_DEP_4) | instskip(NEXT) | instid1(VALU_DEP_4)
	v_dual_mul_f32 v1, s16, v2 :: v_dual_mul_f32 v0, s16, v0
	v_mul_f32_e32 v2, s16, v4
	s_delay_alu instid0(VALU_DEP_4) | instskip(NEXT) | instid1(VALU_DEP_4)
	v_ashrrev_i32_e32 v4, 31, v3
	s_and_b32 vcc_lo, exec_lo, s3
	s_cbranch_vccz .LBB24_21
; %bb.20:
	s_delay_alu instid0(VALU_DEP_1) | instskip(SKIP_1) | instid1(VALU_DEP_1)
	v_lshlrev_b64 v[5:6], 2, v[3:4]
	s_mov_b32 s2, 0
	v_add_co_u32 v5, vcc_lo, s0, v5
	s_delay_alu instid0(VALU_DEP_2)
	v_add_co_ci_u32_e32 v6, vcc_lo, s1, v6, vcc_lo
	global_store_b96 v[5:6], v[0:2], off
.LBB24_21:
	s_and_not1_b32 vcc_lo, exec_lo, s2
	s_cbranch_vccnz .LBB24_23
; %bb.22:
	v_lshlrev_b64 v[3:4], 2, v[3:4]
	s_delay_alu instid0(VALU_DEP_1) | instskip(NEXT) | instid1(VALU_DEP_2)
	v_add_co_u32 v6, vcc_lo, s0, v3
	v_add_co_ci_u32_e32 v7, vcc_lo, s1, v4, vcc_lo
	global_load_b96 v[3:5], v[6:7], off
	s_waitcnt vmcnt(0)
	v_dual_fmac_f32 v0, s12, v3 :: v_dual_fmac_f32 v1, s12, v4
	v_fmac_f32_e32 v2, s12, v5
	global_store_b96 v[6:7], v[0:2], off
.LBB24_23:
	s_nop 0
	s_sendmsg sendmsg(MSG_DEALLOC_VGPRS)
	s_endpgm
	.section	.rodata,"a",@progbits
	.p2align	6, 0x0
	.amdhsa_kernel _ZN9rocsparseL19gebsrmvn_3xn_kernelILj128ELj6ELj64EfEEvi20rocsparse_direction_NS_24const_host_device_scalarIT2_EEPKiS6_PKS3_S8_S4_PS3_21rocsparse_index_base_b
		.amdhsa_group_segment_fixed_size 0
		.amdhsa_private_segment_fixed_size 0
		.amdhsa_kernarg_size 72
		.amdhsa_user_sgpr_count 15
		.amdhsa_user_sgpr_dispatch_ptr 0
		.amdhsa_user_sgpr_queue_ptr 0
		.amdhsa_user_sgpr_kernarg_segment_ptr 1
		.amdhsa_user_sgpr_dispatch_id 0
		.amdhsa_user_sgpr_private_segment_size 0
		.amdhsa_wavefront_size32 1
		.amdhsa_uses_dynamic_stack 0
		.amdhsa_enable_private_segment 0
		.amdhsa_system_sgpr_workgroup_id_x 1
		.amdhsa_system_sgpr_workgroup_id_y 0
		.amdhsa_system_sgpr_workgroup_id_z 0
		.amdhsa_system_sgpr_workgroup_info 0
		.amdhsa_system_vgpr_workitem_id 0
		.amdhsa_next_free_vgpr 39
		.amdhsa_next_free_sgpr 20
		.amdhsa_reserve_vcc 1
		.amdhsa_float_round_mode_32 0
		.amdhsa_float_round_mode_16_64 0
		.amdhsa_float_denorm_mode_32 3
		.amdhsa_float_denorm_mode_16_64 3
		.amdhsa_dx10_clamp 1
		.amdhsa_ieee_mode 1
		.amdhsa_fp16_overflow 0
		.amdhsa_workgroup_processor_mode 1
		.amdhsa_memory_ordered 1
		.amdhsa_forward_progress 0
		.amdhsa_shared_vgpr_count 0
		.amdhsa_exception_fp_ieee_invalid_op 0
		.amdhsa_exception_fp_denorm_src 0
		.amdhsa_exception_fp_ieee_div_zero 0
		.amdhsa_exception_fp_ieee_overflow 0
		.amdhsa_exception_fp_ieee_underflow 0
		.amdhsa_exception_fp_ieee_inexact 0
		.amdhsa_exception_int_div_zero 0
	.end_amdhsa_kernel
	.section	.text._ZN9rocsparseL19gebsrmvn_3xn_kernelILj128ELj6ELj64EfEEvi20rocsparse_direction_NS_24const_host_device_scalarIT2_EEPKiS6_PKS3_S8_S4_PS3_21rocsparse_index_base_b,"axG",@progbits,_ZN9rocsparseL19gebsrmvn_3xn_kernelILj128ELj6ELj64EfEEvi20rocsparse_direction_NS_24const_host_device_scalarIT2_EEPKiS6_PKS3_S8_S4_PS3_21rocsparse_index_base_b,comdat
.Lfunc_end24:
	.size	_ZN9rocsparseL19gebsrmvn_3xn_kernelILj128ELj6ELj64EfEEvi20rocsparse_direction_NS_24const_host_device_scalarIT2_EEPKiS6_PKS3_S8_S4_PS3_21rocsparse_index_base_b, .Lfunc_end24-_ZN9rocsparseL19gebsrmvn_3xn_kernelILj128ELj6ELj64EfEEvi20rocsparse_direction_NS_24const_host_device_scalarIT2_EEPKiS6_PKS3_S8_S4_PS3_21rocsparse_index_base_b
                                        ; -- End function
	.section	.AMDGPU.csdata,"",@progbits
; Kernel info:
; codeLenInByte = 2816
; NumSgprs: 22
; NumVgprs: 39
; ScratchSize: 0
; MemoryBound: 0
; FloatMode: 240
; IeeeMode: 1
; LDSByteSize: 0 bytes/workgroup (compile time only)
; SGPRBlocks: 2
; VGPRBlocks: 4
; NumSGPRsForWavesPerEU: 22
; NumVGPRsForWavesPerEU: 39
; Occupancy: 16
; WaveLimiterHint : 1
; COMPUTE_PGM_RSRC2:SCRATCH_EN: 0
; COMPUTE_PGM_RSRC2:USER_SGPR: 15
; COMPUTE_PGM_RSRC2:TRAP_HANDLER: 0
; COMPUTE_PGM_RSRC2:TGID_X_EN: 1
; COMPUTE_PGM_RSRC2:TGID_Y_EN: 0
; COMPUTE_PGM_RSRC2:TGID_Z_EN: 0
; COMPUTE_PGM_RSRC2:TIDIG_COMP_CNT: 0
	.section	.text._ZN9rocsparseL19gebsrmvn_3xn_kernelILj128ELj7ELj4EfEEvi20rocsparse_direction_NS_24const_host_device_scalarIT2_EEPKiS6_PKS3_S8_S4_PS3_21rocsparse_index_base_b,"axG",@progbits,_ZN9rocsparseL19gebsrmvn_3xn_kernelILj128ELj7ELj4EfEEvi20rocsparse_direction_NS_24const_host_device_scalarIT2_EEPKiS6_PKS3_S8_S4_PS3_21rocsparse_index_base_b,comdat
	.globl	_ZN9rocsparseL19gebsrmvn_3xn_kernelILj128ELj7ELj4EfEEvi20rocsparse_direction_NS_24const_host_device_scalarIT2_EEPKiS6_PKS3_S8_S4_PS3_21rocsparse_index_base_b ; -- Begin function _ZN9rocsparseL19gebsrmvn_3xn_kernelILj128ELj7ELj4EfEEvi20rocsparse_direction_NS_24const_host_device_scalarIT2_EEPKiS6_PKS3_S8_S4_PS3_21rocsparse_index_base_b
	.p2align	8
	.type	_ZN9rocsparseL19gebsrmvn_3xn_kernelILj128ELj7ELj4EfEEvi20rocsparse_direction_NS_24const_host_device_scalarIT2_EEPKiS6_PKS3_S8_S4_PS3_21rocsparse_index_base_b,@function
_ZN9rocsparseL19gebsrmvn_3xn_kernelILj128ELj7ELj4EfEEvi20rocsparse_direction_NS_24const_host_device_scalarIT2_EEPKiS6_PKS3_S8_S4_PS3_21rocsparse_index_base_b: ; @_ZN9rocsparseL19gebsrmvn_3xn_kernelILj128ELj7ELj4EfEEvi20rocsparse_direction_NS_24const_host_device_scalarIT2_EEPKiS6_PKS3_S8_S4_PS3_21rocsparse_index_base_b
; %bb.0:
	s_clause 0x2
	s_load_b64 s[18:19], s[0:1], 0x40
	s_load_b64 s[16:17], s[0:1], 0x8
	;; [unrolled: 1-line block ×3, first 2 shown]
	s_waitcnt lgkmcnt(0)
	s_bitcmp1_b32 s19, 0
	s_cselect_b32 s2, -1, 0
	s_delay_alu instid0(SALU_CYCLE_1)
	s_and_b32 vcc_lo, exec_lo, s2
	s_xor_b32 s2, s2, -1
	s_cbranch_vccnz .LBB25_2
; %bb.1:
	s_load_b32 s16, s[16:17], 0x0
.LBB25_2:
	s_and_not1_b32 vcc_lo, exec_lo, s2
	s_cbranch_vccnz .LBB25_4
; %bb.3:
	s_load_b32 s12, s[12:13], 0x0
.LBB25_4:
	s_waitcnt lgkmcnt(0)
	v_cmp_eq_f32_e64 s2, s16, 0
	v_cmp_eq_f32_e64 s3, s12, 1.0
	s_delay_alu instid0(VALU_DEP_1) | instskip(NEXT) | instid1(SALU_CYCLE_1)
	s_and_b32 s2, s2, s3
	s_and_b32 vcc_lo, exec_lo, s2
	s_cbranch_vccnz .LBB25_23
; %bb.5:
	s_load_b64 s[2:3], s[0:1], 0x0
	v_lshrrev_b32_e32 v1, 2, v0
	s_delay_alu instid0(VALU_DEP_1) | instskip(SKIP_1) | instid1(VALU_DEP_1)
	v_lshl_or_b32 v1, s15, 5, v1
	s_waitcnt lgkmcnt(0)
	v_cmp_gt_i32_e32 vcc_lo, s2, v1
	s_and_saveexec_b32 s2, vcc_lo
	s_cbranch_execz .LBB25_23
; %bb.6:
	s_load_b256 s[4:11], s[0:1], 0x10
	v_ashrrev_i32_e32 v2, 31, v1
	v_and_b32_e32 v0, 3, v0
	s_cmp_lg_u32 s3, 0
	s_delay_alu instid0(VALU_DEP_2) | instskip(SKIP_1) | instid1(VALU_DEP_1)
	v_lshlrev_b64 v[2:3], 2, v[1:2]
	s_waitcnt lgkmcnt(0)
	v_add_co_u32 v2, vcc_lo, s4, v2
	s_delay_alu instid0(VALU_DEP_2) | instskip(SKIP_4) | instid1(VALU_DEP_2)
	v_add_co_ci_u32_e32 v3, vcc_lo, s5, v3, vcc_lo
	global_load_b64 v[2:3], v[2:3], off
	s_waitcnt vmcnt(0)
	v_subrev_nc_u32_e32 v2, s18, v2
	v_subrev_nc_u32_e32 v12, s18, v3
	v_add_nc_u32_e32 v2, v2, v0
	s_delay_alu instid0(VALU_DEP_1)
	v_cmp_lt_i32_e64 s2, v2, v12
	s_cbranch_scc0 .LBB25_12
; %bb.7:
	v_dual_mov_b32 v9, 0 :: v_dual_mov_b32 v10, 0
	v_mov_b32_e32 v11, 0
	s_mov_b32 s3, 0
	s_and_saveexec_b32 s4, s2
	s_cbranch_execz .LBB25_11
; %bb.8:
	v_mad_u64_u32 v[3:4], null, v2, 21, 20
	v_dual_mov_b32 v6, 0 :: v_dual_mov_b32 v7, v2
	v_dual_mov_b32 v9, 0 :: v_dual_mov_b32 v10, 0
	v_mov_b32_e32 v11, 0
	s_mov_b32 s5, 0
.LBB25_9:                               ; =>This Inner Loop Header: Depth=1
	s_delay_alu instid0(VALU_DEP_3) | instskip(NEXT) | instid1(VALU_DEP_1)
	v_ashrrev_i32_e32 v8, 31, v7
	v_lshlrev_b64 v[4:5], 2, v[7:8]
	v_add_nc_u32_e32 v7, 4, v7
	s_delay_alu instid0(VALU_DEP_2) | instskip(NEXT) | instid1(VALU_DEP_3)
	v_add_co_u32 v4, vcc_lo, s6, v4
	v_add_co_ci_u32_e32 v5, vcc_lo, s7, v5, vcc_lo
	global_load_b32 v8, v[4:5], off
	v_subrev_nc_u32_e32 v5, 20, v3
	v_mov_b32_e32 v4, v6
	s_delay_alu instid0(VALU_DEP_2) | instskip(SKIP_1) | instid1(VALU_DEP_3)
	v_lshlrev_b64 v[15:16], 2, v[5:6]
	v_subrev_nc_u32_e32 v5, 19, v3
	v_lshlrev_b64 v[17:18], 2, v[3:4]
	s_delay_alu instid0(VALU_DEP_2)
	v_lshlrev_b64 v[19:20], 2, v[5:6]
	v_subrev_nc_u32_e32 v5, 18, v3
	v_add_co_u32 v15, vcc_lo, s8, v15
	v_add_co_ci_u32_e32 v16, vcc_lo, s9, v16, vcc_lo
	v_add_co_u32 v17, vcc_lo, s8, v17
	v_add_co_ci_u32_e32 v18, vcc_lo, s9, v18, vcc_lo
	v_lshlrev_b64 v[21:22], 2, v[5:6]
	v_subrev_nc_u32_e32 v5, 17, v3
	v_add_co_u32 v19, vcc_lo, s8, v19
	v_add_co_ci_u32_e32 v20, vcc_lo, s9, v20, vcc_lo
	s_delay_alu instid0(VALU_DEP_3)
	v_lshlrev_b64 v[4:5], 2, v[5:6]
	s_clause 0x1
	global_load_b32 v23, v[15:16], off
	global_load_b32 v24, v[19:20], off
	v_add_co_u32 v15, vcc_lo, s8, v21
	v_add_co_ci_u32_e32 v16, vcc_lo, s9, v22, vcc_lo
	v_add_co_u32 v4, vcc_lo, s8, v4
	v_add_co_ci_u32_e32 v5, vcc_lo, s9, v5, vcc_lo
	s_clause 0x1
	global_load_b32 v25, v[15:16], off
	global_load_b32 v26, v[4:5], off
	s_waitcnt vmcnt(4)
	v_subrev_nc_u32_e32 v4, s18, v8
	s_delay_alu instid0(VALU_DEP_1) | instskip(NEXT) | instid1(VALU_DEP_1)
	v_mul_lo_u32 v13, v4, 7
	v_dual_mov_b32 v14, v6 :: v_dual_add_nc_u32 v5, 1, v13
	s_delay_alu instid0(VALU_DEP_1) | instskip(NEXT) | instid1(VALU_DEP_2)
	v_lshlrev_b64 v[14:15], 2, v[13:14]
	v_lshlrev_b64 v[19:20], 2, v[5:6]
	v_add_nc_u32_e32 v5, -16, v3
	s_delay_alu instid0(VALU_DEP_3) | instskip(NEXT) | instid1(VALU_DEP_4)
	v_add_co_u32 v14, vcc_lo, s10, v14
	v_add_co_ci_u32_e32 v15, vcc_lo, s11, v15, vcc_lo
	s_delay_alu instid0(VALU_DEP_4)
	v_add_co_u32 v19, vcc_lo, s10, v19
	v_add_co_ci_u32_e32 v20, vcc_lo, s11, v20, vcc_lo
	global_load_b32 v8, v[14:15], off
	v_lshlrev_b64 v[21:22], 2, v[5:6]
	global_load_b32 v27, v[19:20], off
	v_add_nc_u32_e32 v5, -15, v3
	v_add_co_u32 v19, vcc_lo, s8, v21
	v_add_co_ci_u32_e32 v20, vcc_lo, s9, v22, vcc_lo
	global_load_b32 v28, v[19:20], off
	s_waitcnt vmcnt(2)
	v_fmac_f32_e32 v10, v25, v8
	v_lshlrev_b64 v[14:15], 2, v[5:6]
	v_add_nc_u32_e32 v5, -14, v3
	v_fmac_f32_e32 v11, v24, v8
	s_delay_alu instid0(VALU_DEP_3) | instskip(NEXT) | instid1(VALU_DEP_4)
	v_add_co_u32 v14, vcc_lo, s8, v14
	v_add_co_ci_u32_e32 v15, vcc_lo, s9, v15, vcc_lo
	s_delay_alu instid0(VALU_DEP_4)
	v_lshlrev_b64 v[21:22], 2, v[5:6]
	global_load_b32 v29, v[14:15], off
	v_add_nc_u32_e32 v5, 2, v13
	s_waitcnt vmcnt(1)
	v_fmac_f32_e32 v11, v28, v27
	v_add_co_u32 v14, vcc_lo, s8, v21
	v_add_co_ci_u32_e32 v15, vcc_lo, s9, v22, vcc_lo
	global_load_b32 v30, v[14:15], off
	s_waitcnt vmcnt(1)
	v_fmac_f32_e32 v10, v29, v27
	v_lshlrev_b64 v[19:20], 2, v[5:6]
	v_add_nc_u32_e32 v5, -13, v3
	s_delay_alu instid0(VALU_DEP_1) | instskip(SKIP_1) | instid1(VALU_DEP_4)
	v_lshlrev_b64 v[21:22], 2, v[5:6]
	v_add_nc_u32_e32 v5, -12, v3
	v_add_co_u32 v19, vcc_lo, s10, v19
	v_add_co_ci_u32_e32 v20, vcc_lo, s11, v20, vcc_lo
	s_delay_alu instid0(VALU_DEP_3)
	v_lshlrev_b64 v[14:15], 2, v[5:6]
	v_add_nc_u32_e32 v5, -11, v3
	global_load_b32 v31, v[19:20], off
	v_add_co_u32 v19, vcc_lo, s8, v21
	v_add_co_ci_u32_e32 v20, vcc_lo, s9, v22, vcc_lo
	v_add_co_u32 v14, vcc_lo, s8, v14
	v_add_co_ci_u32_e32 v15, vcc_lo, s9, v15, vcc_lo
	global_load_b32 v32, v[19:20], off
	v_lshlrev_b64 v[21:22], 2, v[5:6]
	global_load_b32 v33, v[14:15], off
	v_add_nc_u32_e32 v5, 3, v13
	v_add_co_u32 v14, vcc_lo, s8, v21
	v_add_co_ci_u32_e32 v15, vcc_lo, s9, v22, vcc_lo
	global_load_b32 v34, v[14:15], off
	s_waitcnt vmcnt(2)
	v_fmac_f32_e32 v11, v32, v31
	s_waitcnt vmcnt(1)
	v_fmac_f32_e32 v10, v33, v31
	v_lshlrev_b64 v[19:20], 2, v[5:6]
	v_add_nc_u32_e32 v5, -10, v3
	s_delay_alu instid0(VALU_DEP_1) | instskip(SKIP_1) | instid1(VALU_DEP_4)
	v_lshlrev_b64 v[21:22], 2, v[5:6]
	v_add_nc_u32_e32 v5, -9, v3
	v_add_co_u32 v19, vcc_lo, s10, v19
	v_add_co_ci_u32_e32 v20, vcc_lo, s11, v20, vcc_lo
	s_delay_alu instid0(VALU_DEP_3)
	v_lshlrev_b64 v[14:15], 2, v[5:6]
	v_add_nc_u32_e32 v5, -8, v3
	global_load_b32 v35, v[19:20], off
	v_add_co_u32 v19, vcc_lo, s8, v21
	v_add_co_ci_u32_e32 v20, vcc_lo, s9, v22, vcc_lo
	v_add_co_u32 v14, vcc_lo, s8, v14
	v_add_co_ci_u32_e32 v15, vcc_lo, s9, v15, vcc_lo
	global_load_b32 v36, v[19:20], off
	v_lshlrev_b64 v[21:22], 2, v[5:6]
	global_load_b32 v37, v[14:15], off
	v_add_nc_u32_e32 v5, 4, v13
	v_add_co_u32 v14, vcc_lo, s8, v21
	v_add_co_ci_u32_e32 v15, vcc_lo, s9, v22, vcc_lo
	global_load_b32 v38, v[14:15], off
	s_waitcnt vmcnt(2)
	v_fmac_f32_e32 v11, v36, v35
	;; [unrolled: 26-line block ×3, first 2 shown]
	s_waitcnt vmcnt(1)
	v_fmac_f32_e32 v10, v41, v39
	v_lshlrev_b64 v[19:20], 2, v[5:6]
	v_add_nc_u32_e32 v5, -4, v3
	s_delay_alu instid0(VALU_DEP_1) | instskip(SKIP_1) | instid1(VALU_DEP_4)
	v_lshlrev_b64 v[21:22], 2, v[5:6]
	v_add_nc_u32_e32 v5, -3, v3
	v_add_co_u32 v19, vcc_lo, s10, v19
	v_add_co_ci_u32_e32 v20, vcc_lo, s11, v20, vcc_lo
	s_delay_alu instid0(VALU_DEP_3)
	v_lshlrev_b64 v[14:15], 2, v[5:6]
	v_add_nc_u32_e32 v5, -2, v3
	global_load_b32 v43, v[19:20], off
	v_add_co_u32 v19, vcc_lo, s8, v21
	v_add_co_ci_u32_e32 v20, vcc_lo, s9, v22, vcc_lo
	v_lshlrev_b64 v[21:22], 2, v[5:6]
	v_add_nc_u32_e32 v5, 6, v13
	v_add_co_u32 v13, vcc_lo, s8, v14
	v_add_co_ci_u32_e32 v14, vcc_lo, s9, v15, vcc_lo
	s_clause 0x1
	global_load_b32 v19, v[19:20], off
	global_load_b32 v20, v[13:14], off
	v_add_co_u32 v13, vcc_lo, s8, v21
	v_add_co_ci_u32_e32 v14, vcc_lo, s9, v22, vcc_lo
	s_waitcnt vmcnt(1)
	v_fmac_f32_e32 v11, v19, v43
	s_waitcnt vmcnt(0)
	v_fmac_f32_e32 v10, v20, v43
	v_lshlrev_b64 v[15:16], 2, v[5:6]
	v_add_nc_u32_e32 v5, -1, v3
	v_add_nc_u32_e32 v3, 0x54, v3
	s_delay_alu instid0(VALU_DEP_2) | instskip(NEXT) | instid1(VALU_DEP_4)
	v_lshlrev_b64 v[4:5], 2, v[5:6]
	v_add_co_u32 v15, vcc_lo, s10, v15
	v_add_co_ci_u32_e32 v16, vcc_lo, s11, v16, vcc_lo
	s_delay_alu instid0(VALU_DEP_3) | instskip(NEXT) | instid1(VALU_DEP_4)
	v_add_co_u32 v4, vcc_lo, s8, v4
	v_add_co_ci_u32_e32 v5, vcc_lo, s9, v5, vcc_lo
	global_load_b32 v13, v[13:14], off
	global_load_b32 v14, v[15:16], off
	s_clause 0x1
	global_load_b32 v4, v[4:5], off
	global_load_b32 v5, v[17:18], off
	v_fmac_f32_e32 v9, v23, v8
	v_cmp_ge_i32_e32 vcc_lo, v7, v12
	s_or_b32 s5, vcc_lo, s5
	s_waitcnt vmcnt(1)
	v_fmac_f32_e32 v11, v4, v14
	s_waitcnt vmcnt(0)
	v_dual_fmac_f32 v10, v5, v14 :: v_dual_fmac_f32 v9, v26, v27
	s_delay_alu instid0(VALU_DEP_1) | instskip(NEXT) | instid1(VALU_DEP_1)
	v_fmac_f32_e32 v9, v30, v31
	v_fmac_f32_e32 v9, v34, v35
	s_delay_alu instid0(VALU_DEP_1) | instskip(NEXT) | instid1(VALU_DEP_1)
	v_fmac_f32_e32 v9, v38, v39
	v_fmac_f32_e32 v9, v42, v43
	s_delay_alu instid0(VALU_DEP_1)
	v_fmac_f32_e32 v9, v13, v14
	s_and_not1_b32 exec_lo, exec_lo, s5
	s_cbranch_execnz .LBB25_9
; %bb.10:
	s_or_b32 exec_lo, exec_lo, s5
.LBB25_11:
	s_delay_alu instid0(SALU_CYCLE_1) | instskip(NEXT) | instid1(SALU_CYCLE_1)
	s_or_b32 exec_lo, exec_lo, s4
	s_and_not1_b32 vcc_lo, exec_lo, s3
	s_cbranch_vccz .LBB25_13
	s_branch .LBB25_18
.LBB25_12:
                                        ; implicit-def: $vgpr9
                                        ; implicit-def: $vgpr10
                                        ; implicit-def: $vgpr11
.LBB25_13:
	v_dual_mov_b32 v9, 0 :: v_dual_mov_b32 v10, 0
	v_mov_b32_e32 v11, 0
	s_delay_alu instid0(VALU_DEP_3)
	s_and_saveexec_b32 s3, s2
	s_cbranch_execz .LBB25_17
; %bb.14:
	v_mad_u64_u32 v[4:5], null, v2, 21, 20
	v_dual_mov_b32 v7, 0 :: v_dual_mov_b32 v10, 0
	v_mov_b32_e32 v9, 0
	v_mov_b32_e32 v11, 0
	s_mov_b32 s2, 0
.LBB25_15:                              ; =>This Inner Loop Header: Depth=1
	v_ashrrev_i32_e32 v3, 31, v2
	v_dual_mov_b32 v14, v7 :: v_dual_add_nc_u32 v13, -13, v4
	v_dual_mov_b32 v16, v7 :: v_dual_add_nc_u32 v15, -6, v4
	s_delay_alu instid0(VALU_DEP_3) | instskip(SKIP_1) | instid1(VALU_DEP_4)
	v_lshlrev_b64 v[5:6], 2, v[2:3]
	v_add_nc_u32_e32 v2, 4, v2
	v_lshlrev_b64 v[13:14], 2, v[13:14]
	s_delay_alu instid0(VALU_DEP_4) | instskip(NEXT) | instid1(VALU_DEP_4)
	v_lshlrev_b64 v[15:16], 2, v[15:16]
	v_add_co_u32 v5, vcc_lo, s6, v5
	v_add_co_ci_u32_e32 v6, vcc_lo, s7, v6, vcc_lo
	global_load_b32 v3, v[5:6], off
	v_subrev_nc_u32_e32 v6, 20, v4
	v_mov_b32_e32 v5, v7
	s_delay_alu instid0(VALU_DEP_2) | instskip(SKIP_1) | instid1(VALU_DEP_3)
	v_lshlrev_b64 v[18:19], 2, v[6:7]
	v_subrev_nc_u32_e32 v6, 19, v4
	v_lshlrev_b64 v[20:21], 2, v[4:5]
	s_delay_alu instid0(VALU_DEP_2) | instskip(NEXT) | instid1(VALU_DEP_4)
	v_lshlrev_b64 v[5:6], 2, v[6:7]
	v_add_co_u32 v18, vcc_lo, s8, v18
	v_add_co_ci_u32_e32 v19, vcc_lo, s9, v19, vcc_lo
	v_add_co_u32 v13, vcc_lo, s8, v13
	v_add_co_ci_u32_e32 v14, vcc_lo, s9, v14, vcc_lo
	;; [unrolled: 2-line block ×5, first 2 shown]
	s_clause 0x3
	global_load_b32 v8, v[18:19], off
	global_load_b32 v19, v[13:14], off
	;; [unrolled: 1-line block ×4, first 2 shown]
	s_waitcnt vmcnt(4)
	v_subrev_nc_u32_e32 v3, s18, v3
	s_delay_alu instid0(VALU_DEP_1) | instskip(NEXT) | instid1(VALU_DEP_1)
	v_mul_lo_u32 v16, v3, 7
	v_dual_mov_b32 v17, v7 :: v_dual_add_nc_u32 v6, 1, v16
	s_delay_alu instid0(VALU_DEP_1) | instskip(NEXT) | instid1(VALU_DEP_2)
	v_lshlrev_b64 v[13:14], 2, v[16:17]
	v_lshlrev_b64 v[17:18], 2, v[6:7]
	v_add_nc_u32_e32 v6, -12, v4
	s_delay_alu instid0(VALU_DEP_3) | instskip(NEXT) | instid1(VALU_DEP_4)
	v_add_co_u32 v13, vcc_lo, s10, v13
	v_add_co_ci_u32_e32 v14, vcc_lo, s11, v14, vcc_lo
	s_delay_alu instid0(VALU_DEP_4)
	v_add_co_u32 v17, vcc_lo, s10, v17
	v_add_co_ci_u32_e32 v18, vcc_lo, s11, v18, vcc_lo
	global_load_b32 v3, v[13:14], off
	v_lshlrev_b64 v[22:23], 2, v[6:7]
	global_load_b32 v26, v[17:18], off
	v_add_nc_u32_e32 v6, -5, v4
	v_add_co_u32 v17, vcc_lo, s8, v22
	v_add_co_ci_u32_e32 v18, vcc_lo, s9, v23, vcc_lo
	global_load_b32 v27, v[17:18], off
	s_waitcnt vmcnt(2)
	v_fmac_f32_e32 v9, v8, v3
	v_lshlrev_b64 v[13:14], 2, v[6:7]
	v_subrev_nc_u32_e32 v6, 18, v4
	v_fmac_f32_e32 v11, v19, v3
	s_waitcnt vmcnt(1)
	v_dual_fmac_f32 v10, v24, v3 :: v_dual_fmac_f32 v9, v25, v26
	s_delay_alu instid0(VALU_DEP_4)
	v_add_co_u32 v13, vcc_lo, s8, v13
	v_lshlrev_b64 v[22:23], 2, v[6:7]
	v_add_nc_u32_e32 v6, 2, v16
	v_add_co_ci_u32_e32 v14, vcc_lo, s9, v14, vcc_lo
	global_load_b32 v28, v[13:14], off
	v_lshlrev_b64 v[17:18], 2, v[6:7]
	v_add_co_u32 v13, vcc_lo, s8, v22
	v_add_co_ci_u32_e32 v14, vcc_lo, s9, v23, vcc_lo
	v_add_nc_u32_e32 v6, -11, v4
	s_delay_alu instid0(VALU_DEP_4)
	v_add_co_u32 v17, vcc_lo, s10, v17
	v_add_co_ci_u32_e32 v18, vcc_lo, s11, v18, vcc_lo
	global_load_b32 v29, v[13:14], off
	v_lshlrev_b64 v[22:23], 2, v[6:7]
	s_waitcnt vmcnt(2)
	v_dual_fmac_f32 v11, v27, v26 :: v_dual_add_nc_u32 v6, -4, v4
	global_load_b32 v30, v[17:18], off
	v_add_co_u32 v17, vcc_lo, s8, v22
	v_add_co_ci_u32_e32 v18, vcc_lo, s9, v23, vcc_lo
	v_lshlrev_b64 v[13:14], 2, v[6:7]
	v_subrev_nc_u32_e32 v6, 17, v4
	global_load_b32 v31, v[17:18], off
	v_add_co_u32 v13, vcc_lo, s8, v13
	v_lshlrev_b64 v[22:23], 2, v[6:7]
	v_add_nc_u32_e32 v6, 3, v16
	v_add_co_ci_u32_e32 v14, vcc_lo, s9, v14, vcc_lo
	global_load_b32 v32, v[13:14], off
	v_add_co_u32 v13, vcc_lo, s8, v22
	v_add_co_ci_u32_e32 v14, vcc_lo, s9, v23, vcc_lo
	global_load_b32 v33, v[13:14], off
	s_waitcnt vmcnt(5)
	v_fmac_f32_e32 v10, v28, v26
	s_waitcnt vmcnt(3)
	v_fmac_f32_e32 v9, v29, v30
	v_lshlrev_b64 v[17:18], 2, v[6:7]
	v_add_nc_u32_e32 v6, -10, v4
	s_delay_alu instid0(VALU_DEP_2) | instskip(NEXT) | instid1(VALU_DEP_3)
	v_add_co_u32 v17, vcc_lo, s10, v17
	v_add_co_ci_u32_e32 v18, vcc_lo, s11, v18, vcc_lo
	s_waitcnt vmcnt(2)
	v_fmac_f32_e32 v11, v31, v30
	v_lshlrev_b64 v[22:23], 2, v[6:7]
	global_load_b32 v34, v[17:18], off
	v_add_nc_u32_e32 v6, -3, v4
	v_add_co_u32 v17, vcc_lo, s8, v22
	v_add_co_ci_u32_e32 v18, vcc_lo, s9, v23, vcc_lo
	s_waitcnt vmcnt(2)
	v_fmac_f32_e32 v10, v32, v30
	global_load_b32 v35, v[17:18], off
	s_waitcnt vmcnt(1)
	v_fmac_f32_e32 v9, v33, v34
	v_lshlrev_b64 v[13:14], 2, v[6:7]
	s_delay_alu instid0(VALU_DEP_1) | instskip(NEXT) | instid1(VALU_DEP_2)
	v_add_co_u32 v13, vcc_lo, s8, v13
	v_add_co_ci_u32_e32 v14, vcc_lo, s9, v14, vcc_lo
	global_load_b32 v36, v[13:14], off
	s_waitcnt vmcnt(1)
	v_dual_fmac_f32 v11, v35, v34 :: v_dual_add_nc_u32 v6, -16, v4
	s_delay_alu instid0(VALU_DEP_1) | instskip(NEXT) | instid1(VALU_DEP_1)
	v_lshlrev_b64 v[22:23], 2, v[6:7]
	v_add_co_u32 v13, vcc_lo, s8, v22
	s_delay_alu instid0(VALU_DEP_2) | instskip(SKIP_2) | instid1(VALU_DEP_1)
	v_add_co_ci_u32_e32 v14, vcc_lo, s9, v23, vcc_lo
	global_load_b32 v37, v[13:14], off
	v_add_nc_u32_e32 v6, 4, v16
	v_lshlrev_b64 v[17:18], 2, v[6:7]
	s_delay_alu instid0(VALU_DEP_1) | instskip(NEXT) | instid1(VALU_DEP_2)
	v_add_co_u32 v17, vcc_lo, s10, v17
	v_add_co_ci_u32_e32 v18, vcc_lo, s11, v18, vcc_lo
	global_load_b32 v38, v[17:18], off
	v_add_nc_u32_e32 v6, -9, v4
	s_delay_alu instid0(VALU_DEP_1) | instskip(NEXT) | instid1(VALU_DEP_1)
	v_lshlrev_b64 v[22:23], 2, v[6:7]
	v_add_co_u32 v17, vcc_lo, s8, v22
	s_delay_alu instid0(VALU_DEP_2)
	v_add_co_ci_u32_e32 v18, vcc_lo, s9, v23, vcc_lo
	global_load_b32 v39, v[17:18], off
	s_waitcnt vmcnt(3)
	v_fmac_f32_e32 v10, v36, v34
	s_waitcnt vmcnt(1)
	v_dual_fmac_f32 v9, v37, v38 :: v_dual_add_nc_u32 v6, -2, v4
	s_delay_alu instid0(VALU_DEP_1) | instskip(NEXT) | instid1(VALU_DEP_1)
	v_lshlrev_b64 v[13:14], 2, v[6:7]
	v_add_co_u32 v13, vcc_lo, s8, v13
	s_delay_alu instid0(VALU_DEP_2) | instskip(SKIP_3) | instid1(VALU_DEP_1)
	v_add_co_ci_u32_e32 v14, vcc_lo, s9, v14, vcc_lo
	global_load_b32 v40, v[13:14], off
	s_waitcnt vmcnt(1)
	v_dual_fmac_f32 v11, v39, v38 :: v_dual_add_nc_u32 v6, -15, v4
	v_lshlrev_b64 v[22:23], 2, v[6:7]
	v_add_nc_u32_e32 v6, 5, v16
	s_delay_alu instid0(VALU_DEP_1) | instskip(SKIP_1) | instid1(VALU_DEP_4)
	v_lshlrev_b64 v[17:18], 2, v[6:7]
	v_add_nc_u32_e32 v6, -8, v4
	v_add_co_u32 v13, vcc_lo, s8, v22
	v_add_co_ci_u32_e32 v14, vcc_lo, s9, v23, vcc_lo
	s_delay_alu instid0(VALU_DEP_3)
	v_lshlrev_b64 v[22:23], 2, v[6:7]
	v_add_nc_u32_e32 v6, -1, v4
	v_add_co_u32 v17, vcc_lo, s10, v17
	v_add_co_ci_u32_e32 v18, vcc_lo, s11, v18, vcc_lo
	global_load_b32 v41, v[13:14], off
	v_lshlrev_b64 v[13:14], 2, v[6:7]
	v_add_nc_u32_e32 v6, -14, v4
	global_load_b32 v42, v[17:18], off
	v_add_co_u32 v17, vcc_lo, s8, v22
	v_add_co_ci_u32_e32 v18, vcc_lo, s9, v23, vcc_lo
	v_lshlrev_b64 v[22:23], 2, v[6:7]
	v_add_nc_u32_e32 v6, 6, v16
	v_add_co_u32 v13, vcc_lo, s8, v13
	v_add_co_ci_u32_e32 v14, vcc_lo, s9, v14, vcc_lo
	s_delay_alu instid0(VALU_DEP_3)
	v_lshlrev_b64 v[15:16], 2, v[6:7]
	v_add_nc_u32_e32 v6, -7, v4
	s_clause 0x1
	global_load_b32 v17, v[17:18], off
	global_load_b32 v18, v[13:14], off
	v_add_co_u32 v13, vcc_lo, s8, v22
	v_lshlrev_b64 v[5:6], 2, v[6:7]
	v_add_co_ci_u32_e32 v14, vcc_lo, s9, v23, vcc_lo
	v_add_co_u32 v15, vcc_lo, s10, v15
	v_add_co_ci_u32_e32 v16, vcc_lo, s11, v16, vcc_lo
	s_delay_alu instid0(VALU_DEP_4)
	v_add_co_u32 v5, vcc_lo, s8, v5
	v_add_co_ci_u32_e32 v6, vcc_lo, s9, v6, vcc_lo
	global_load_b32 v13, v[13:14], off
	global_load_b32 v14, v[15:16], off
	s_clause 0x1
	global_load_b32 v5, v[5:6], off
	global_load_b32 v6, v[20:21], off
	v_cmp_ge_i32_e32 vcc_lo, v2, v12
	v_add_nc_u32_e32 v4, 0x54, v4
	s_or_b32 s2, vcc_lo, s2
	s_waitcnt vmcnt(8)
	v_fmac_f32_e32 v10, v40, v38
	s_waitcnt vmcnt(6)
	v_fmac_f32_e32 v9, v41, v42
	;; [unrolled: 2-line block ×7, first 2 shown]
	s_and_not1_b32 exec_lo, exec_lo, s2
	s_cbranch_execnz .LBB25_15
; %bb.16:
	s_or_b32 exec_lo, exec_lo, s2
.LBB25_17:
	s_delay_alu instid0(SALU_CYCLE_1)
	s_or_b32 exec_lo, exec_lo, s3
.LBB25_18:
	v_mbcnt_lo_u32_b32 v2, -1, 0
	s_mov_b32 s2, -1
	s_delay_alu instid0(VALU_DEP_1) | instskip(NEXT) | instid1(VALU_DEP_1)
	v_xor_b32_e32 v3, 2, v2
	v_cmp_gt_i32_e32 vcc_lo, 32, v3
	v_cndmask_b32_e32 v3, v2, v3, vcc_lo
	s_delay_alu instid0(VALU_DEP_1) | instskip(SKIP_4) | instid1(VALU_DEP_1)
	v_lshlrev_b32_e32 v3, 2, v3
	ds_bpermute_b32 v4, v3, v9
	ds_bpermute_b32 v5, v3, v11
	;; [unrolled: 1-line block ×3, first 2 shown]
	v_xor_b32_e32 v3, 1, v2
	v_cmp_gt_i32_e32 vcc_lo, 32, v3
	v_cndmask_b32_e32 v2, v2, v3, vcc_lo
	v_cmp_eq_u32_e32 vcc_lo, 3, v0
	s_waitcnt lgkmcnt(1)
	v_add_f32_e32 v3, v11, v5
	s_delay_alu instid0(VALU_DEP_3)
	v_dual_add_f32 v2, v9, v4 :: v_dual_lshlrev_b32 v7, 2, v2
	s_waitcnt lgkmcnt(0)
	v_add_f32_e32 v4, v10, v6
	ds_bpermute_b32 v6, v7, v3
	ds_bpermute_b32 v5, v7, v2
	;; [unrolled: 1-line block ×3, first 2 shown]
	s_and_b32 exec_lo, exec_lo, vcc_lo
	s_cbranch_execz .LBB25_23
; %bb.19:
	s_load_b64 s[0:1], s[0:1], 0x38
	s_waitcnt lgkmcnt(0)
	v_add_f32_e32 v0, v2, v5
	v_add_f32_e32 v2, v3, v6
	;; [unrolled: 1-line block ×3, first 2 shown]
	v_lshl_add_u32 v3, v1, 1, v1
	v_cmp_eq_f32_e64 s3, s12, 0
	s_delay_alu instid0(VALU_DEP_4) | instskip(NEXT) | instid1(VALU_DEP_4)
	v_dual_mul_f32 v1, s16, v2 :: v_dual_mul_f32 v0, s16, v0
	v_mul_f32_e32 v2, s16, v4
	s_delay_alu instid0(VALU_DEP_4) | instskip(NEXT) | instid1(VALU_DEP_4)
	v_ashrrev_i32_e32 v4, 31, v3
	s_and_b32 vcc_lo, exec_lo, s3
	s_cbranch_vccz .LBB25_21
; %bb.20:
	s_delay_alu instid0(VALU_DEP_1) | instskip(SKIP_1) | instid1(VALU_DEP_1)
	v_lshlrev_b64 v[5:6], 2, v[3:4]
	s_mov_b32 s2, 0
	v_add_co_u32 v5, vcc_lo, s0, v5
	s_delay_alu instid0(VALU_DEP_2)
	v_add_co_ci_u32_e32 v6, vcc_lo, s1, v6, vcc_lo
	global_store_b96 v[5:6], v[0:2], off
.LBB25_21:
	s_and_not1_b32 vcc_lo, exec_lo, s2
	s_cbranch_vccnz .LBB25_23
; %bb.22:
	v_lshlrev_b64 v[3:4], 2, v[3:4]
	s_delay_alu instid0(VALU_DEP_1) | instskip(NEXT) | instid1(VALU_DEP_2)
	v_add_co_u32 v6, vcc_lo, s0, v3
	v_add_co_ci_u32_e32 v7, vcc_lo, s1, v4, vcc_lo
	global_load_b96 v[3:5], v[6:7], off
	s_waitcnt vmcnt(0)
	v_dual_fmac_f32 v0, s12, v3 :: v_dual_fmac_f32 v1, s12, v4
	v_fmac_f32_e32 v2, s12, v5
	global_store_b96 v[6:7], v[0:2], off
.LBB25_23:
	s_nop 0
	s_sendmsg sendmsg(MSG_DEALLOC_VGPRS)
	s_endpgm
	.section	.rodata,"a",@progbits
	.p2align	6, 0x0
	.amdhsa_kernel _ZN9rocsparseL19gebsrmvn_3xn_kernelILj128ELj7ELj4EfEEvi20rocsparse_direction_NS_24const_host_device_scalarIT2_EEPKiS6_PKS3_S8_S4_PS3_21rocsparse_index_base_b
		.amdhsa_group_segment_fixed_size 0
		.amdhsa_private_segment_fixed_size 0
		.amdhsa_kernarg_size 72
		.amdhsa_user_sgpr_count 15
		.amdhsa_user_sgpr_dispatch_ptr 0
		.amdhsa_user_sgpr_queue_ptr 0
		.amdhsa_user_sgpr_kernarg_segment_ptr 1
		.amdhsa_user_sgpr_dispatch_id 0
		.amdhsa_user_sgpr_private_segment_size 0
		.amdhsa_wavefront_size32 1
		.amdhsa_uses_dynamic_stack 0
		.amdhsa_enable_private_segment 0
		.amdhsa_system_sgpr_workgroup_id_x 1
		.amdhsa_system_sgpr_workgroup_id_y 0
		.amdhsa_system_sgpr_workgroup_id_z 0
		.amdhsa_system_sgpr_workgroup_info 0
		.amdhsa_system_vgpr_workitem_id 0
		.amdhsa_next_free_vgpr 44
		.amdhsa_next_free_sgpr 20
		.amdhsa_reserve_vcc 1
		.amdhsa_float_round_mode_32 0
		.amdhsa_float_round_mode_16_64 0
		.amdhsa_float_denorm_mode_32 3
		.amdhsa_float_denorm_mode_16_64 3
		.amdhsa_dx10_clamp 1
		.amdhsa_ieee_mode 1
		.amdhsa_fp16_overflow 0
		.amdhsa_workgroup_processor_mode 1
		.amdhsa_memory_ordered 1
		.amdhsa_forward_progress 0
		.amdhsa_shared_vgpr_count 0
		.amdhsa_exception_fp_ieee_invalid_op 0
		.amdhsa_exception_fp_denorm_src 0
		.amdhsa_exception_fp_ieee_div_zero 0
		.amdhsa_exception_fp_ieee_overflow 0
		.amdhsa_exception_fp_ieee_underflow 0
		.amdhsa_exception_fp_ieee_inexact 0
		.amdhsa_exception_int_div_zero 0
	.end_amdhsa_kernel
	.section	.text._ZN9rocsparseL19gebsrmvn_3xn_kernelILj128ELj7ELj4EfEEvi20rocsparse_direction_NS_24const_host_device_scalarIT2_EEPKiS6_PKS3_S8_S4_PS3_21rocsparse_index_base_b,"axG",@progbits,_ZN9rocsparseL19gebsrmvn_3xn_kernelILj128ELj7ELj4EfEEvi20rocsparse_direction_NS_24const_host_device_scalarIT2_EEPKiS6_PKS3_S8_S4_PS3_21rocsparse_index_base_b,comdat
.Lfunc_end25:
	.size	_ZN9rocsparseL19gebsrmvn_3xn_kernelILj128ELj7ELj4EfEEvi20rocsparse_direction_NS_24const_host_device_scalarIT2_EEPKiS6_PKS3_S8_S4_PS3_21rocsparse_index_base_b, .Lfunc_end25-_ZN9rocsparseL19gebsrmvn_3xn_kernelILj128ELj7ELj4EfEEvi20rocsparse_direction_NS_24const_host_device_scalarIT2_EEPKiS6_PKS3_S8_S4_PS3_21rocsparse_index_base_b
                                        ; -- End function
	.section	.AMDGPU.csdata,"",@progbits
; Kernel info:
; codeLenInByte = 3180
; NumSgprs: 22
; NumVgprs: 44
; ScratchSize: 0
; MemoryBound: 0
; FloatMode: 240
; IeeeMode: 1
; LDSByteSize: 0 bytes/workgroup (compile time only)
; SGPRBlocks: 2
; VGPRBlocks: 5
; NumSGPRsForWavesPerEU: 22
; NumVGPRsForWavesPerEU: 44
; Occupancy: 16
; WaveLimiterHint : 1
; COMPUTE_PGM_RSRC2:SCRATCH_EN: 0
; COMPUTE_PGM_RSRC2:USER_SGPR: 15
; COMPUTE_PGM_RSRC2:TRAP_HANDLER: 0
; COMPUTE_PGM_RSRC2:TGID_X_EN: 1
; COMPUTE_PGM_RSRC2:TGID_Y_EN: 0
; COMPUTE_PGM_RSRC2:TGID_Z_EN: 0
; COMPUTE_PGM_RSRC2:TIDIG_COMP_CNT: 0
	.section	.text._ZN9rocsparseL19gebsrmvn_3xn_kernelILj128ELj7ELj8EfEEvi20rocsparse_direction_NS_24const_host_device_scalarIT2_EEPKiS6_PKS3_S8_S4_PS3_21rocsparse_index_base_b,"axG",@progbits,_ZN9rocsparseL19gebsrmvn_3xn_kernelILj128ELj7ELj8EfEEvi20rocsparse_direction_NS_24const_host_device_scalarIT2_EEPKiS6_PKS3_S8_S4_PS3_21rocsparse_index_base_b,comdat
	.globl	_ZN9rocsparseL19gebsrmvn_3xn_kernelILj128ELj7ELj8EfEEvi20rocsparse_direction_NS_24const_host_device_scalarIT2_EEPKiS6_PKS3_S8_S4_PS3_21rocsparse_index_base_b ; -- Begin function _ZN9rocsparseL19gebsrmvn_3xn_kernelILj128ELj7ELj8EfEEvi20rocsparse_direction_NS_24const_host_device_scalarIT2_EEPKiS6_PKS3_S8_S4_PS3_21rocsparse_index_base_b
	.p2align	8
	.type	_ZN9rocsparseL19gebsrmvn_3xn_kernelILj128ELj7ELj8EfEEvi20rocsparse_direction_NS_24const_host_device_scalarIT2_EEPKiS6_PKS3_S8_S4_PS3_21rocsparse_index_base_b,@function
_ZN9rocsparseL19gebsrmvn_3xn_kernelILj128ELj7ELj8EfEEvi20rocsparse_direction_NS_24const_host_device_scalarIT2_EEPKiS6_PKS3_S8_S4_PS3_21rocsparse_index_base_b: ; @_ZN9rocsparseL19gebsrmvn_3xn_kernelILj128ELj7ELj8EfEEvi20rocsparse_direction_NS_24const_host_device_scalarIT2_EEPKiS6_PKS3_S8_S4_PS3_21rocsparse_index_base_b
; %bb.0:
	s_clause 0x2
	s_load_b64 s[18:19], s[0:1], 0x40
	s_load_b64 s[16:17], s[0:1], 0x8
	;; [unrolled: 1-line block ×3, first 2 shown]
	s_waitcnt lgkmcnt(0)
	s_bitcmp1_b32 s19, 0
	s_cselect_b32 s2, -1, 0
	s_delay_alu instid0(SALU_CYCLE_1)
	s_and_b32 vcc_lo, exec_lo, s2
	s_xor_b32 s2, s2, -1
	s_cbranch_vccnz .LBB26_2
; %bb.1:
	s_load_b32 s16, s[16:17], 0x0
.LBB26_2:
	s_and_not1_b32 vcc_lo, exec_lo, s2
	s_cbranch_vccnz .LBB26_4
; %bb.3:
	s_load_b32 s12, s[12:13], 0x0
.LBB26_4:
	s_waitcnt lgkmcnt(0)
	v_cmp_eq_f32_e64 s2, s16, 0
	v_cmp_eq_f32_e64 s3, s12, 1.0
	s_delay_alu instid0(VALU_DEP_1) | instskip(NEXT) | instid1(SALU_CYCLE_1)
	s_and_b32 s2, s2, s3
	s_and_b32 vcc_lo, exec_lo, s2
	s_cbranch_vccnz .LBB26_23
; %bb.5:
	s_load_b64 s[2:3], s[0:1], 0x0
	v_lshrrev_b32_e32 v1, 3, v0
	s_delay_alu instid0(VALU_DEP_1) | instskip(SKIP_1) | instid1(VALU_DEP_1)
	v_lshl_or_b32 v1, s15, 4, v1
	s_waitcnt lgkmcnt(0)
	v_cmp_gt_i32_e32 vcc_lo, s2, v1
	s_and_saveexec_b32 s2, vcc_lo
	s_cbranch_execz .LBB26_23
; %bb.6:
	s_load_b256 s[4:11], s[0:1], 0x10
	v_ashrrev_i32_e32 v2, 31, v1
	v_and_b32_e32 v0, 7, v0
	s_cmp_lg_u32 s3, 0
	s_delay_alu instid0(VALU_DEP_2) | instskip(SKIP_1) | instid1(VALU_DEP_1)
	v_lshlrev_b64 v[2:3], 2, v[1:2]
	s_waitcnt lgkmcnt(0)
	v_add_co_u32 v2, vcc_lo, s4, v2
	s_delay_alu instid0(VALU_DEP_2) | instskip(SKIP_4) | instid1(VALU_DEP_2)
	v_add_co_ci_u32_e32 v3, vcc_lo, s5, v3, vcc_lo
	global_load_b64 v[2:3], v[2:3], off
	s_waitcnt vmcnt(0)
	v_subrev_nc_u32_e32 v2, s18, v2
	v_subrev_nc_u32_e32 v12, s18, v3
	v_add_nc_u32_e32 v2, v2, v0
	s_delay_alu instid0(VALU_DEP_1)
	v_cmp_lt_i32_e64 s2, v2, v12
	s_cbranch_scc0 .LBB26_12
; %bb.7:
	v_dual_mov_b32 v9, 0 :: v_dual_mov_b32 v10, 0
	v_mov_b32_e32 v11, 0
	s_mov_b32 s3, 0
	s_and_saveexec_b32 s4, s2
	s_cbranch_execz .LBB26_11
; %bb.8:
	v_mad_u64_u32 v[3:4], null, v2, 21, 20
	v_dual_mov_b32 v6, 0 :: v_dual_mov_b32 v7, v2
	v_dual_mov_b32 v9, 0 :: v_dual_mov_b32 v10, 0
	v_mov_b32_e32 v11, 0
	s_mov_b32 s5, 0
.LBB26_9:                               ; =>This Inner Loop Header: Depth=1
	s_delay_alu instid0(VALU_DEP_3) | instskip(NEXT) | instid1(VALU_DEP_1)
	v_ashrrev_i32_e32 v8, 31, v7
	v_lshlrev_b64 v[4:5], 2, v[7:8]
	v_add_nc_u32_e32 v7, 8, v7
	s_delay_alu instid0(VALU_DEP_2) | instskip(NEXT) | instid1(VALU_DEP_3)
	v_add_co_u32 v4, vcc_lo, s6, v4
	v_add_co_ci_u32_e32 v5, vcc_lo, s7, v5, vcc_lo
	global_load_b32 v8, v[4:5], off
	v_subrev_nc_u32_e32 v5, 20, v3
	v_mov_b32_e32 v4, v6
	s_delay_alu instid0(VALU_DEP_2) | instskip(SKIP_1) | instid1(VALU_DEP_3)
	v_lshlrev_b64 v[15:16], 2, v[5:6]
	v_subrev_nc_u32_e32 v5, 19, v3
	v_lshlrev_b64 v[17:18], 2, v[3:4]
	s_delay_alu instid0(VALU_DEP_2)
	v_lshlrev_b64 v[19:20], 2, v[5:6]
	v_subrev_nc_u32_e32 v5, 18, v3
	v_add_co_u32 v15, vcc_lo, s8, v15
	v_add_co_ci_u32_e32 v16, vcc_lo, s9, v16, vcc_lo
	v_add_co_u32 v17, vcc_lo, s8, v17
	v_add_co_ci_u32_e32 v18, vcc_lo, s9, v18, vcc_lo
	v_lshlrev_b64 v[21:22], 2, v[5:6]
	v_subrev_nc_u32_e32 v5, 17, v3
	v_add_co_u32 v19, vcc_lo, s8, v19
	v_add_co_ci_u32_e32 v20, vcc_lo, s9, v20, vcc_lo
	s_delay_alu instid0(VALU_DEP_3)
	v_lshlrev_b64 v[4:5], 2, v[5:6]
	s_clause 0x1
	global_load_b32 v23, v[15:16], off
	global_load_b32 v24, v[19:20], off
	v_add_co_u32 v15, vcc_lo, s8, v21
	v_add_co_ci_u32_e32 v16, vcc_lo, s9, v22, vcc_lo
	v_add_co_u32 v4, vcc_lo, s8, v4
	v_add_co_ci_u32_e32 v5, vcc_lo, s9, v5, vcc_lo
	s_clause 0x1
	global_load_b32 v25, v[15:16], off
	global_load_b32 v26, v[4:5], off
	s_waitcnt vmcnt(4)
	v_subrev_nc_u32_e32 v4, s18, v8
	s_delay_alu instid0(VALU_DEP_1) | instskip(NEXT) | instid1(VALU_DEP_1)
	v_mul_lo_u32 v13, v4, 7
	v_dual_mov_b32 v14, v6 :: v_dual_add_nc_u32 v5, 1, v13
	s_delay_alu instid0(VALU_DEP_1) | instskip(NEXT) | instid1(VALU_DEP_2)
	v_lshlrev_b64 v[14:15], 2, v[13:14]
	v_lshlrev_b64 v[19:20], 2, v[5:6]
	v_add_nc_u32_e32 v5, -16, v3
	s_delay_alu instid0(VALU_DEP_3) | instskip(NEXT) | instid1(VALU_DEP_4)
	v_add_co_u32 v14, vcc_lo, s10, v14
	v_add_co_ci_u32_e32 v15, vcc_lo, s11, v15, vcc_lo
	s_delay_alu instid0(VALU_DEP_4)
	v_add_co_u32 v19, vcc_lo, s10, v19
	v_add_co_ci_u32_e32 v20, vcc_lo, s11, v20, vcc_lo
	global_load_b32 v8, v[14:15], off
	v_lshlrev_b64 v[21:22], 2, v[5:6]
	global_load_b32 v27, v[19:20], off
	v_add_nc_u32_e32 v5, -15, v3
	v_add_co_u32 v19, vcc_lo, s8, v21
	v_add_co_ci_u32_e32 v20, vcc_lo, s9, v22, vcc_lo
	global_load_b32 v28, v[19:20], off
	s_waitcnt vmcnt(2)
	v_fmac_f32_e32 v10, v25, v8
	v_lshlrev_b64 v[14:15], 2, v[5:6]
	v_add_nc_u32_e32 v5, -14, v3
	v_fmac_f32_e32 v11, v24, v8
	s_delay_alu instid0(VALU_DEP_3) | instskip(NEXT) | instid1(VALU_DEP_4)
	v_add_co_u32 v14, vcc_lo, s8, v14
	v_add_co_ci_u32_e32 v15, vcc_lo, s9, v15, vcc_lo
	s_delay_alu instid0(VALU_DEP_4)
	v_lshlrev_b64 v[21:22], 2, v[5:6]
	global_load_b32 v29, v[14:15], off
	v_add_nc_u32_e32 v5, 2, v13
	s_waitcnt vmcnt(1)
	v_fmac_f32_e32 v11, v28, v27
	v_add_co_u32 v14, vcc_lo, s8, v21
	v_add_co_ci_u32_e32 v15, vcc_lo, s9, v22, vcc_lo
	global_load_b32 v30, v[14:15], off
	s_waitcnt vmcnt(1)
	v_fmac_f32_e32 v10, v29, v27
	v_lshlrev_b64 v[19:20], 2, v[5:6]
	v_add_nc_u32_e32 v5, -13, v3
	s_delay_alu instid0(VALU_DEP_1) | instskip(SKIP_1) | instid1(VALU_DEP_4)
	v_lshlrev_b64 v[21:22], 2, v[5:6]
	v_add_nc_u32_e32 v5, -12, v3
	v_add_co_u32 v19, vcc_lo, s10, v19
	v_add_co_ci_u32_e32 v20, vcc_lo, s11, v20, vcc_lo
	s_delay_alu instid0(VALU_DEP_3)
	v_lshlrev_b64 v[14:15], 2, v[5:6]
	v_add_nc_u32_e32 v5, -11, v3
	global_load_b32 v31, v[19:20], off
	v_add_co_u32 v19, vcc_lo, s8, v21
	v_add_co_ci_u32_e32 v20, vcc_lo, s9, v22, vcc_lo
	v_add_co_u32 v14, vcc_lo, s8, v14
	v_add_co_ci_u32_e32 v15, vcc_lo, s9, v15, vcc_lo
	global_load_b32 v32, v[19:20], off
	v_lshlrev_b64 v[21:22], 2, v[5:6]
	global_load_b32 v33, v[14:15], off
	v_add_nc_u32_e32 v5, 3, v13
	v_add_co_u32 v14, vcc_lo, s8, v21
	v_add_co_ci_u32_e32 v15, vcc_lo, s9, v22, vcc_lo
	global_load_b32 v34, v[14:15], off
	s_waitcnt vmcnt(2)
	v_fmac_f32_e32 v11, v32, v31
	s_waitcnt vmcnt(1)
	v_fmac_f32_e32 v10, v33, v31
	v_lshlrev_b64 v[19:20], 2, v[5:6]
	v_add_nc_u32_e32 v5, -10, v3
	s_delay_alu instid0(VALU_DEP_1) | instskip(SKIP_1) | instid1(VALU_DEP_4)
	v_lshlrev_b64 v[21:22], 2, v[5:6]
	v_add_nc_u32_e32 v5, -9, v3
	v_add_co_u32 v19, vcc_lo, s10, v19
	v_add_co_ci_u32_e32 v20, vcc_lo, s11, v20, vcc_lo
	s_delay_alu instid0(VALU_DEP_3)
	v_lshlrev_b64 v[14:15], 2, v[5:6]
	v_add_nc_u32_e32 v5, -8, v3
	global_load_b32 v35, v[19:20], off
	v_add_co_u32 v19, vcc_lo, s8, v21
	v_add_co_ci_u32_e32 v20, vcc_lo, s9, v22, vcc_lo
	v_add_co_u32 v14, vcc_lo, s8, v14
	v_add_co_ci_u32_e32 v15, vcc_lo, s9, v15, vcc_lo
	global_load_b32 v36, v[19:20], off
	v_lshlrev_b64 v[21:22], 2, v[5:6]
	global_load_b32 v37, v[14:15], off
	v_add_nc_u32_e32 v5, 4, v13
	v_add_co_u32 v14, vcc_lo, s8, v21
	v_add_co_ci_u32_e32 v15, vcc_lo, s9, v22, vcc_lo
	global_load_b32 v38, v[14:15], off
	s_waitcnt vmcnt(2)
	v_fmac_f32_e32 v11, v36, v35
	;; [unrolled: 26-line block ×3, first 2 shown]
	s_waitcnt vmcnt(1)
	v_fmac_f32_e32 v10, v41, v39
	v_lshlrev_b64 v[19:20], 2, v[5:6]
	v_add_nc_u32_e32 v5, -4, v3
	s_delay_alu instid0(VALU_DEP_1) | instskip(SKIP_1) | instid1(VALU_DEP_4)
	v_lshlrev_b64 v[21:22], 2, v[5:6]
	v_add_nc_u32_e32 v5, -3, v3
	v_add_co_u32 v19, vcc_lo, s10, v19
	v_add_co_ci_u32_e32 v20, vcc_lo, s11, v20, vcc_lo
	s_delay_alu instid0(VALU_DEP_3)
	v_lshlrev_b64 v[14:15], 2, v[5:6]
	v_add_nc_u32_e32 v5, -2, v3
	global_load_b32 v43, v[19:20], off
	v_add_co_u32 v19, vcc_lo, s8, v21
	v_add_co_ci_u32_e32 v20, vcc_lo, s9, v22, vcc_lo
	v_lshlrev_b64 v[21:22], 2, v[5:6]
	v_add_nc_u32_e32 v5, 6, v13
	v_add_co_u32 v13, vcc_lo, s8, v14
	v_add_co_ci_u32_e32 v14, vcc_lo, s9, v15, vcc_lo
	s_clause 0x1
	global_load_b32 v19, v[19:20], off
	global_load_b32 v20, v[13:14], off
	v_add_co_u32 v13, vcc_lo, s8, v21
	v_add_co_ci_u32_e32 v14, vcc_lo, s9, v22, vcc_lo
	s_waitcnt vmcnt(1)
	v_fmac_f32_e32 v11, v19, v43
	s_waitcnt vmcnt(0)
	v_fmac_f32_e32 v10, v20, v43
	v_lshlrev_b64 v[15:16], 2, v[5:6]
	v_add_nc_u32_e32 v5, -1, v3
	v_add_nc_u32_e32 v3, 0xa8, v3
	s_delay_alu instid0(VALU_DEP_2) | instskip(NEXT) | instid1(VALU_DEP_4)
	v_lshlrev_b64 v[4:5], 2, v[5:6]
	v_add_co_u32 v15, vcc_lo, s10, v15
	v_add_co_ci_u32_e32 v16, vcc_lo, s11, v16, vcc_lo
	s_delay_alu instid0(VALU_DEP_3) | instskip(NEXT) | instid1(VALU_DEP_4)
	v_add_co_u32 v4, vcc_lo, s8, v4
	v_add_co_ci_u32_e32 v5, vcc_lo, s9, v5, vcc_lo
	global_load_b32 v13, v[13:14], off
	global_load_b32 v14, v[15:16], off
	s_clause 0x1
	global_load_b32 v4, v[4:5], off
	global_load_b32 v5, v[17:18], off
	v_fmac_f32_e32 v9, v23, v8
	v_cmp_ge_i32_e32 vcc_lo, v7, v12
	s_or_b32 s5, vcc_lo, s5
	s_waitcnt vmcnt(1)
	v_fmac_f32_e32 v11, v4, v14
	s_waitcnt vmcnt(0)
	v_dual_fmac_f32 v10, v5, v14 :: v_dual_fmac_f32 v9, v26, v27
	s_delay_alu instid0(VALU_DEP_1) | instskip(NEXT) | instid1(VALU_DEP_1)
	v_fmac_f32_e32 v9, v30, v31
	v_fmac_f32_e32 v9, v34, v35
	s_delay_alu instid0(VALU_DEP_1) | instskip(NEXT) | instid1(VALU_DEP_1)
	v_fmac_f32_e32 v9, v38, v39
	v_fmac_f32_e32 v9, v42, v43
	s_delay_alu instid0(VALU_DEP_1)
	v_fmac_f32_e32 v9, v13, v14
	s_and_not1_b32 exec_lo, exec_lo, s5
	s_cbranch_execnz .LBB26_9
; %bb.10:
	s_or_b32 exec_lo, exec_lo, s5
.LBB26_11:
	s_delay_alu instid0(SALU_CYCLE_1) | instskip(NEXT) | instid1(SALU_CYCLE_1)
	s_or_b32 exec_lo, exec_lo, s4
	s_and_not1_b32 vcc_lo, exec_lo, s3
	s_cbranch_vccz .LBB26_13
	s_branch .LBB26_18
.LBB26_12:
                                        ; implicit-def: $vgpr9
                                        ; implicit-def: $vgpr10
                                        ; implicit-def: $vgpr11
.LBB26_13:
	v_dual_mov_b32 v9, 0 :: v_dual_mov_b32 v10, 0
	v_mov_b32_e32 v11, 0
	s_delay_alu instid0(VALU_DEP_3)
	s_and_saveexec_b32 s3, s2
	s_cbranch_execz .LBB26_17
; %bb.14:
	v_mad_u64_u32 v[4:5], null, v2, 21, 20
	v_dual_mov_b32 v7, 0 :: v_dual_mov_b32 v10, 0
	v_mov_b32_e32 v9, 0
	v_mov_b32_e32 v11, 0
	s_mov_b32 s2, 0
.LBB26_15:                              ; =>This Inner Loop Header: Depth=1
	v_ashrrev_i32_e32 v3, 31, v2
	v_dual_mov_b32 v14, v7 :: v_dual_add_nc_u32 v13, -13, v4
	v_dual_mov_b32 v16, v7 :: v_dual_add_nc_u32 v15, -6, v4
	s_delay_alu instid0(VALU_DEP_3) | instskip(SKIP_1) | instid1(VALU_DEP_4)
	v_lshlrev_b64 v[5:6], 2, v[2:3]
	v_add_nc_u32_e32 v2, 8, v2
	v_lshlrev_b64 v[13:14], 2, v[13:14]
	s_delay_alu instid0(VALU_DEP_4) | instskip(NEXT) | instid1(VALU_DEP_4)
	v_lshlrev_b64 v[15:16], 2, v[15:16]
	v_add_co_u32 v5, vcc_lo, s6, v5
	v_add_co_ci_u32_e32 v6, vcc_lo, s7, v6, vcc_lo
	global_load_b32 v3, v[5:6], off
	v_subrev_nc_u32_e32 v6, 20, v4
	v_mov_b32_e32 v5, v7
	s_delay_alu instid0(VALU_DEP_2) | instskip(SKIP_1) | instid1(VALU_DEP_3)
	v_lshlrev_b64 v[18:19], 2, v[6:7]
	v_subrev_nc_u32_e32 v6, 19, v4
	v_lshlrev_b64 v[20:21], 2, v[4:5]
	s_delay_alu instid0(VALU_DEP_2) | instskip(NEXT) | instid1(VALU_DEP_4)
	v_lshlrev_b64 v[5:6], 2, v[6:7]
	v_add_co_u32 v18, vcc_lo, s8, v18
	v_add_co_ci_u32_e32 v19, vcc_lo, s9, v19, vcc_lo
	v_add_co_u32 v13, vcc_lo, s8, v13
	v_add_co_ci_u32_e32 v14, vcc_lo, s9, v14, vcc_lo
	;; [unrolled: 2-line block ×5, first 2 shown]
	s_clause 0x3
	global_load_b32 v8, v[18:19], off
	global_load_b32 v19, v[13:14], off
	;; [unrolled: 1-line block ×4, first 2 shown]
	s_waitcnt vmcnt(4)
	v_subrev_nc_u32_e32 v3, s18, v3
	s_delay_alu instid0(VALU_DEP_1) | instskip(NEXT) | instid1(VALU_DEP_1)
	v_mul_lo_u32 v16, v3, 7
	v_dual_mov_b32 v17, v7 :: v_dual_add_nc_u32 v6, 1, v16
	s_delay_alu instid0(VALU_DEP_1) | instskip(NEXT) | instid1(VALU_DEP_2)
	v_lshlrev_b64 v[13:14], 2, v[16:17]
	v_lshlrev_b64 v[17:18], 2, v[6:7]
	v_add_nc_u32_e32 v6, -12, v4
	s_delay_alu instid0(VALU_DEP_3) | instskip(NEXT) | instid1(VALU_DEP_4)
	v_add_co_u32 v13, vcc_lo, s10, v13
	v_add_co_ci_u32_e32 v14, vcc_lo, s11, v14, vcc_lo
	s_delay_alu instid0(VALU_DEP_4)
	v_add_co_u32 v17, vcc_lo, s10, v17
	v_add_co_ci_u32_e32 v18, vcc_lo, s11, v18, vcc_lo
	global_load_b32 v3, v[13:14], off
	v_lshlrev_b64 v[22:23], 2, v[6:7]
	global_load_b32 v26, v[17:18], off
	v_add_nc_u32_e32 v6, -5, v4
	v_add_co_u32 v17, vcc_lo, s8, v22
	v_add_co_ci_u32_e32 v18, vcc_lo, s9, v23, vcc_lo
	global_load_b32 v27, v[17:18], off
	s_waitcnt vmcnt(2)
	v_fmac_f32_e32 v9, v8, v3
	v_lshlrev_b64 v[13:14], 2, v[6:7]
	v_subrev_nc_u32_e32 v6, 18, v4
	v_fmac_f32_e32 v11, v19, v3
	s_waitcnt vmcnt(1)
	v_dual_fmac_f32 v10, v24, v3 :: v_dual_fmac_f32 v9, v25, v26
	s_delay_alu instid0(VALU_DEP_4)
	v_add_co_u32 v13, vcc_lo, s8, v13
	v_lshlrev_b64 v[22:23], 2, v[6:7]
	v_add_nc_u32_e32 v6, 2, v16
	v_add_co_ci_u32_e32 v14, vcc_lo, s9, v14, vcc_lo
	global_load_b32 v28, v[13:14], off
	v_lshlrev_b64 v[17:18], 2, v[6:7]
	v_add_co_u32 v13, vcc_lo, s8, v22
	v_add_co_ci_u32_e32 v14, vcc_lo, s9, v23, vcc_lo
	v_add_nc_u32_e32 v6, -11, v4
	s_delay_alu instid0(VALU_DEP_4)
	v_add_co_u32 v17, vcc_lo, s10, v17
	v_add_co_ci_u32_e32 v18, vcc_lo, s11, v18, vcc_lo
	global_load_b32 v29, v[13:14], off
	v_lshlrev_b64 v[22:23], 2, v[6:7]
	s_waitcnt vmcnt(2)
	v_dual_fmac_f32 v11, v27, v26 :: v_dual_add_nc_u32 v6, -4, v4
	global_load_b32 v30, v[17:18], off
	v_add_co_u32 v17, vcc_lo, s8, v22
	v_add_co_ci_u32_e32 v18, vcc_lo, s9, v23, vcc_lo
	v_lshlrev_b64 v[13:14], 2, v[6:7]
	v_subrev_nc_u32_e32 v6, 17, v4
	global_load_b32 v31, v[17:18], off
	v_add_co_u32 v13, vcc_lo, s8, v13
	v_lshlrev_b64 v[22:23], 2, v[6:7]
	v_add_nc_u32_e32 v6, 3, v16
	v_add_co_ci_u32_e32 v14, vcc_lo, s9, v14, vcc_lo
	global_load_b32 v32, v[13:14], off
	v_add_co_u32 v13, vcc_lo, s8, v22
	v_add_co_ci_u32_e32 v14, vcc_lo, s9, v23, vcc_lo
	global_load_b32 v33, v[13:14], off
	s_waitcnt vmcnt(5)
	v_fmac_f32_e32 v10, v28, v26
	s_waitcnt vmcnt(3)
	v_fmac_f32_e32 v9, v29, v30
	v_lshlrev_b64 v[17:18], 2, v[6:7]
	v_add_nc_u32_e32 v6, -10, v4
	s_delay_alu instid0(VALU_DEP_2) | instskip(NEXT) | instid1(VALU_DEP_3)
	v_add_co_u32 v17, vcc_lo, s10, v17
	v_add_co_ci_u32_e32 v18, vcc_lo, s11, v18, vcc_lo
	s_waitcnt vmcnt(2)
	v_fmac_f32_e32 v11, v31, v30
	v_lshlrev_b64 v[22:23], 2, v[6:7]
	global_load_b32 v34, v[17:18], off
	v_add_nc_u32_e32 v6, -3, v4
	v_add_co_u32 v17, vcc_lo, s8, v22
	v_add_co_ci_u32_e32 v18, vcc_lo, s9, v23, vcc_lo
	s_waitcnt vmcnt(2)
	v_fmac_f32_e32 v10, v32, v30
	global_load_b32 v35, v[17:18], off
	s_waitcnt vmcnt(1)
	v_fmac_f32_e32 v9, v33, v34
	v_lshlrev_b64 v[13:14], 2, v[6:7]
	s_delay_alu instid0(VALU_DEP_1) | instskip(NEXT) | instid1(VALU_DEP_2)
	v_add_co_u32 v13, vcc_lo, s8, v13
	v_add_co_ci_u32_e32 v14, vcc_lo, s9, v14, vcc_lo
	global_load_b32 v36, v[13:14], off
	s_waitcnt vmcnt(1)
	v_dual_fmac_f32 v11, v35, v34 :: v_dual_add_nc_u32 v6, -16, v4
	s_delay_alu instid0(VALU_DEP_1) | instskip(NEXT) | instid1(VALU_DEP_1)
	v_lshlrev_b64 v[22:23], 2, v[6:7]
	v_add_co_u32 v13, vcc_lo, s8, v22
	s_delay_alu instid0(VALU_DEP_2) | instskip(SKIP_2) | instid1(VALU_DEP_1)
	v_add_co_ci_u32_e32 v14, vcc_lo, s9, v23, vcc_lo
	global_load_b32 v37, v[13:14], off
	v_add_nc_u32_e32 v6, 4, v16
	v_lshlrev_b64 v[17:18], 2, v[6:7]
	s_delay_alu instid0(VALU_DEP_1) | instskip(NEXT) | instid1(VALU_DEP_2)
	v_add_co_u32 v17, vcc_lo, s10, v17
	v_add_co_ci_u32_e32 v18, vcc_lo, s11, v18, vcc_lo
	global_load_b32 v38, v[17:18], off
	v_add_nc_u32_e32 v6, -9, v4
	s_delay_alu instid0(VALU_DEP_1) | instskip(NEXT) | instid1(VALU_DEP_1)
	v_lshlrev_b64 v[22:23], 2, v[6:7]
	v_add_co_u32 v17, vcc_lo, s8, v22
	s_delay_alu instid0(VALU_DEP_2)
	v_add_co_ci_u32_e32 v18, vcc_lo, s9, v23, vcc_lo
	global_load_b32 v39, v[17:18], off
	s_waitcnt vmcnt(3)
	v_fmac_f32_e32 v10, v36, v34
	s_waitcnt vmcnt(1)
	v_dual_fmac_f32 v9, v37, v38 :: v_dual_add_nc_u32 v6, -2, v4
	s_delay_alu instid0(VALU_DEP_1) | instskip(NEXT) | instid1(VALU_DEP_1)
	v_lshlrev_b64 v[13:14], 2, v[6:7]
	v_add_co_u32 v13, vcc_lo, s8, v13
	s_delay_alu instid0(VALU_DEP_2) | instskip(SKIP_3) | instid1(VALU_DEP_1)
	v_add_co_ci_u32_e32 v14, vcc_lo, s9, v14, vcc_lo
	global_load_b32 v40, v[13:14], off
	s_waitcnt vmcnt(1)
	v_dual_fmac_f32 v11, v39, v38 :: v_dual_add_nc_u32 v6, -15, v4
	v_lshlrev_b64 v[22:23], 2, v[6:7]
	v_add_nc_u32_e32 v6, 5, v16
	s_delay_alu instid0(VALU_DEP_1) | instskip(SKIP_1) | instid1(VALU_DEP_4)
	v_lshlrev_b64 v[17:18], 2, v[6:7]
	v_add_nc_u32_e32 v6, -8, v4
	v_add_co_u32 v13, vcc_lo, s8, v22
	v_add_co_ci_u32_e32 v14, vcc_lo, s9, v23, vcc_lo
	s_delay_alu instid0(VALU_DEP_3)
	v_lshlrev_b64 v[22:23], 2, v[6:7]
	v_add_nc_u32_e32 v6, -1, v4
	v_add_co_u32 v17, vcc_lo, s10, v17
	v_add_co_ci_u32_e32 v18, vcc_lo, s11, v18, vcc_lo
	global_load_b32 v41, v[13:14], off
	v_lshlrev_b64 v[13:14], 2, v[6:7]
	v_add_nc_u32_e32 v6, -14, v4
	global_load_b32 v42, v[17:18], off
	v_add_co_u32 v17, vcc_lo, s8, v22
	v_add_co_ci_u32_e32 v18, vcc_lo, s9, v23, vcc_lo
	v_lshlrev_b64 v[22:23], 2, v[6:7]
	v_add_nc_u32_e32 v6, 6, v16
	v_add_co_u32 v13, vcc_lo, s8, v13
	v_add_co_ci_u32_e32 v14, vcc_lo, s9, v14, vcc_lo
	s_delay_alu instid0(VALU_DEP_3)
	v_lshlrev_b64 v[15:16], 2, v[6:7]
	v_add_nc_u32_e32 v6, -7, v4
	s_clause 0x1
	global_load_b32 v17, v[17:18], off
	global_load_b32 v18, v[13:14], off
	v_add_co_u32 v13, vcc_lo, s8, v22
	v_lshlrev_b64 v[5:6], 2, v[6:7]
	v_add_co_ci_u32_e32 v14, vcc_lo, s9, v23, vcc_lo
	v_add_co_u32 v15, vcc_lo, s10, v15
	v_add_co_ci_u32_e32 v16, vcc_lo, s11, v16, vcc_lo
	s_delay_alu instid0(VALU_DEP_4)
	v_add_co_u32 v5, vcc_lo, s8, v5
	v_add_co_ci_u32_e32 v6, vcc_lo, s9, v6, vcc_lo
	global_load_b32 v13, v[13:14], off
	global_load_b32 v14, v[15:16], off
	s_clause 0x1
	global_load_b32 v5, v[5:6], off
	global_load_b32 v6, v[20:21], off
	v_cmp_ge_i32_e32 vcc_lo, v2, v12
	v_add_nc_u32_e32 v4, 0xa8, v4
	s_or_b32 s2, vcc_lo, s2
	s_waitcnt vmcnt(8)
	v_fmac_f32_e32 v10, v40, v38
	s_waitcnt vmcnt(6)
	v_fmac_f32_e32 v9, v41, v42
	;; [unrolled: 2-line block ×7, first 2 shown]
	s_and_not1_b32 exec_lo, exec_lo, s2
	s_cbranch_execnz .LBB26_15
; %bb.16:
	s_or_b32 exec_lo, exec_lo, s2
.LBB26_17:
	s_delay_alu instid0(SALU_CYCLE_1)
	s_or_b32 exec_lo, exec_lo, s3
.LBB26_18:
	v_mbcnt_lo_u32_b32 v2, -1, 0
	s_mov_b32 s2, -1
	s_delay_alu instid0(VALU_DEP_1) | instskip(SKIP_1) | instid1(VALU_DEP_2)
	v_xor_b32_e32 v3, 4, v2
	v_xor_b32_e32 v6, 2, v2
	v_cmp_gt_i32_e32 vcc_lo, 32, v3
	v_cndmask_b32_e32 v3, v2, v3, vcc_lo
	s_delay_alu instid0(VALU_DEP_3) | instskip(SKIP_1) | instid1(VALU_DEP_1)
	v_cmp_gt_i32_e32 vcc_lo, 32, v6
	v_cndmask_b32_e32 v6, v2, v6, vcc_lo
	v_lshlrev_b32_e32 v6, 2, v6
	s_delay_alu instid0(VALU_DEP_4)
	v_lshlrev_b32_e32 v3, 2, v3
	ds_bpermute_b32 v4, v3, v9
	s_waitcnt lgkmcnt(0)
	v_add_f32_e32 v4, v9, v4
	ds_bpermute_b32 v5, v3, v11
	ds_bpermute_b32 v3, v3, v10
	v_xor_b32_e32 v9, 1, v2
	s_delay_alu instid0(VALU_DEP_1)
	v_cmp_gt_i32_e32 vcc_lo, 32, v9
	s_waitcnt lgkmcnt(1)
	v_add_f32_e32 v5, v11, v5
	s_waitcnt lgkmcnt(0)
	v_add_f32_e32 v7, v10, v3
	ds_bpermute_b32 v3, v6, v4
	ds_bpermute_b32 v8, v6, v5
	;; [unrolled: 1-line block ×3, first 2 shown]
	v_cndmask_b32_e32 v2, v2, v9, vcc_lo
	v_cmp_eq_u32_e32 vcc_lo, 7, v0
	s_waitcnt lgkmcnt(2)
	s_delay_alu instid0(VALU_DEP_2)
	v_dual_add_f32 v2, v4, v3 :: v_dual_lshlrev_b32 v9, 2, v2
	s_waitcnt lgkmcnt(0)
	v_dual_add_f32 v3, v5, v8 :: v_dual_add_f32 v4, v7, v6
	ds_bpermute_b32 v5, v9, v2
	ds_bpermute_b32 v6, v9, v3
	;; [unrolled: 1-line block ×3, first 2 shown]
	s_and_b32 exec_lo, exec_lo, vcc_lo
	s_cbranch_execz .LBB26_23
; %bb.19:
	s_load_b64 s[0:1], s[0:1], 0x38
	s_waitcnt lgkmcnt(0)
	v_add_f32_e32 v0, v2, v5
	v_add_f32_e32 v2, v3, v6
	;; [unrolled: 1-line block ×3, first 2 shown]
	v_lshl_add_u32 v3, v1, 1, v1
	v_cmp_eq_f32_e64 s3, s12, 0
	s_delay_alu instid0(VALU_DEP_4) | instskip(NEXT) | instid1(VALU_DEP_4)
	v_dual_mul_f32 v1, s16, v2 :: v_dual_mul_f32 v0, s16, v0
	v_mul_f32_e32 v2, s16, v4
	s_delay_alu instid0(VALU_DEP_4) | instskip(NEXT) | instid1(VALU_DEP_4)
	v_ashrrev_i32_e32 v4, 31, v3
	s_and_b32 vcc_lo, exec_lo, s3
	s_cbranch_vccz .LBB26_21
; %bb.20:
	s_delay_alu instid0(VALU_DEP_1) | instskip(SKIP_1) | instid1(VALU_DEP_1)
	v_lshlrev_b64 v[5:6], 2, v[3:4]
	s_mov_b32 s2, 0
	v_add_co_u32 v5, vcc_lo, s0, v5
	s_delay_alu instid0(VALU_DEP_2)
	v_add_co_ci_u32_e32 v6, vcc_lo, s1, v6, vcc_lo
	global_store_b96 v[5:6], v[0:2], off
.LBB26_21:
	s_and_not1_b32 vcc_lo, exec_lo, s2
	s_cbranch_vccnz .LBB26_23
; %bb.22:
	v_lshlrev_b64 v[3:4], 2, v[3:4]
	s_delay_alu instid0(VALU_DEP_1) | instskip(NEXT) | instid1(VALU_DEP_2)
	v_add_co_u32 v6, vcc_lo, s0, v3
	v_add_co_ci_u32_e32 v7, vcc_lo, s1, v4, vcc_lo
	global_load_b96 v[3:5], v[6:7], off
	s_waitcnt vmcnt(0)
	v_dual_fmac_f32 v0, s12, v3 :: v_dual_fmac_f32 v1, s12, v4
	v_fmac_f32_e32 v2, s12, v5
	global_store_b96 v[6:7], v[0:2], off
.LBB26_23:
	s_nop 0
	s_sendmsg sendmsg(MSG_DEALLOC_VGPRS)
	s_endpgm
	.section	.rodata,"a",@progbits
	.p2align	6, 0x0
	.amdhsa_kernel _ZN9rocsparseL19gebsrmvn_3xn_kernelILj128ELj7ELj8EfEEvi20rocsparse_direction_NS_24const_host_device_scalarIT2_EEPKiS6_PKS3_S8_S4_PS3_21rocsparse_index_base_b
		.amdhsa_group_segment_fixed_size 0
		.amdhsa_private_segment_fixed_size 0
		.amdhsa_kernarg_size 72
		.amdhsa_user_sgpr_count 15
		.amdhsa_user_sgpr_dispatch_ptr 0
		.amdhsa_user_sgpr_queue_ptr 0
		.amdhsa_user_sgpr_kernarg_segment_ptr 1
		.amdhsa_user_sgpr_dispatch_id 0
		.amdhsa_user_sgpr_private_segment_size 0
		.amdhsa_wavefront_size32 1
		.amdhsa_uses_dynamic_stack 0
		.amdhsa_enable_private_segment 0
		.amdhsa_system_sgpr_workgroup_id_x 1
		.amdhsa_system_sgpr_workgroup_id_y 0
		.amdhsa_system_sgpr_workgroup_id_z 0
		.amdhsa_system_sgpr_workgroup_info 0
		.amdhsa_system_vgpr_workitem_id 0
		.amdhsa_next_free_vgpr 44
		.amdhsa_next_free_sgpr 20
		.amdhsa_reserve_vcc 1
		.amdhsa_float_round_mode_32 0
		.amdhsa_float_round_mode_16_64 0
		.amdhsa_float_denorm_mode_32 3
		.amdhsa_float_denorm_mode_16_64 3
		.amdhsa_dx10_clamp 1
		.amdhsa_ieee_mode 1
		.amdhsa_fp16_overflow 0
		.amdhsa_workgroup_processor_mode 1
		.amdhsa_memory_ordered 1
		.amdhsa_forward_progress 0
		.amdhsa_shared_vgpr_count 0
		.amdhsa_exception_fp_ieee_invalid_op 0
		.amdhsa_exception_fp_denorm_src 0
		.amdhsa_exception_fp_ieee_div_zero 0
		.amdhsa_exception_fp_ieee_overflow 0
		.amdhsa_exception_fp_ieee_underflow 0
		.amdhsa_exception_fp_ieee_inexact 0
		.amdhsa_exception_int_div_zero 0
	.end_amdhsa_kernel
	.section	.text._ZN9rocsparseL19gebsrmvn_3xn_kernelILj128ELj7ELj8EfEEvi20rocsparse_direction_NS_24const_host_device_scalarIT2_EEPKiS6_PKS3_S8_S4_PS3_21rocsparse_index_base_b,"axG",@progbits,_ZN9rocsparseL19gebsrmvn_3xn_kernelILj128ELj7ELj8EfEEvi20rocsparse_direction_NS_24const_host_device_scalarIT2_EEPKiS6_PKS3_S8_S4_PS3_21rocsparse_index_base_b,comdat
.Lfunc_end26:
	.size	_ZN9rocsparseL19gebsrmvn_3xn_kernelILj128ELj7ELj8EfEEvi20rocsparse_direction_NS_24const_host_device_scalarIT2_EEPKiS6_PKS3_S8_S4_PS3_21rocsparse_index_base_b, .Lfunc_end26-_ZN9rocsparseL19gebsrmvn_3xn_kernelILj128ELj7ELj8EfEEvi20rocsparse_direction_NS_24const_host_device_scalarIT2_EEPKiS6_PKS3_S8_S4_PS3_21rocsparse_index_base_b
                                        ; -- End function
	.section	.AMDGPU.csdata,"",@progbits
; Kernel info:
; codeLenInByte = 3252
; NumSgprs: 22
; NumVgprs: 44
; ScratchSize: 0
; MemoryBound: 0
; FloatMode: 240
; IeeeMode: 1
; LDSByteSize: 0 bytes/workgroup (compile time only)
; SGPRBlocks: 2
; VGPRBlocks: 5
; NumSGPRsForWavesPerEU: 22
; NumVGPRsForWavesPerEU: 44
; Occupancy: 16
; WaveLimiterHint : 1
; COMPUTE_PGM_RSRC2:SCRATCH_EN: 0
; COMPUTE_PGM_RSRC2:USER_SGPR: 15
; COMPUTE_PGM_RSRC2:TRAP_HANDLER: 0
; COMPUTE_PGM_RSRC2:TGID_X_EN: 1
; COMPUTE_PGM_RSRC2:TGID_Y_EN: 0
; COMPUTE_PGM_RSRC2:TGID_Z_EN: 0
; COMPUTE_PGM_RSRC2:TIDIG_COMP_CNT: 0
	.section	.text._ZN9rocsparseL19gebsrmvn_3xn_kernelILj128ELj7ELj16EfEEvi20rocsparse_direction_NS_24const_host_device_scalarIT2_EEPKiS6_PKS3_S8_S4_PS3_21rocsparse_index_base_b,"axG",@progbits,_ZN9rocsparseL19gebsrmvn_3xn_kernelILj128ELj7ELj16EfEEvi20rocsparse_direction_NS_24const_host_device_scalarIT2_EEPKiS6_PKS3_S8_S4_PS3_21rocsparse_index_base_b,comdat
	.globl	_ZN9rocsparseL19gebsrmvn_3xn_kernelILj128ELj7ELj16EfEEvi20rocsparse_direction_NS_24const_host_device_scalarIT2_EEPKiS6_PKS3_S8_S4_PS3_21rocsparse_index_base_b ; -- Begin function _ZN9rocsparseL19gebsrmvn_3xn_kernelILj128ELj7ELj16EfEEvi20rocsparse_direction_NS_24const_host_device_scalarIT2_EEPKiS6_PKS3_S8_S4_PS3_21rocsparse_index_base_b
	.p2align	8
	.type	_ZN9rocsparseL19gebsrmvn_3xn_kernelILj128ELj7ELj16EfEEvi20rocsparse_direction_NS_24const_host_device_scalarIT2_EEPKiS6_PKS3_S8_S4_PS3_21rocsparse_index_base_b,@function
_ZN9rocsparseL19gebsrmvn_3xn_kernelILj128ELj7ELj16EfEEvi20rocsparse_direction_NS_24const_host_device_scalarIT2_EEPKiS6_PKS3_S8_S4_PS3_21rocsparse_index_base_b: ; @_ZN9rocsparseL19gebsrmvn_3xn_kernelILj128ELj7ELj16EfEEvi20rocsparse_direction_NS_24const_host_device_scalarIT2_EEPKiS6_PKS3_S8_S4_PS3_21rocsparse_index_base_b
; %bb.0:
	s_clause 0x2
	s_load_b64 s[18:19], s[0:1], 0x40
	s_load_b64 s[16:17], s[0:1], 0x8
	s_load_b64 s[12:13], s[0:1], 0x30
	s_waitcnt lgkmcnt(0)
	s_bitcmp1_b32 s19, 0
	s_cselect_b32 s2, -1, 0
	s_delay_alu instid0(SALU_CYCLE_1)
	s_and_b32 vcc_lo, exec_lo, s2
	s_xor_b32 s2, s2, -1
	s_cbranch_vccnz .LBB27_2
; %bb.1:
	s_load_b32 s16, s[16:17], 0x0
.LBB27_2:
	s_and_not1_b32 vcc_lo, exec_lo, s2
	s_cbranch_vccnz .LBB27_4
; %bb.3:
	s_load_b32 s12, s[12:13], 0x0
.LBB27_4:
	s_waitcnt lgkmcnt(0)
	v_cmp_eq_f32_e64 s2, s16, 0
	v_cmp_eq_f32_e64 s3, s12, 1.0
	s_delay_alu instid0(VALU_DEP_1) | instskip(NEXT) | instid1(SALU_CYCLE_1)
	s_and_b32 s2, s2, s3
	s_and_b32 vcc_lo, exec_lo, s2
	s_cbranch_vccnz .LBB27_23
; %bb.5:
	s_load_b64 s[2:3], s[0:1], 0x0
	v_lshrrev_b32_e32 v1, 4, v0
	s_delay_alu instid0(VALU_DEP_1) | instskip(SKIP_1) | instid1(VALU_DEP_1)
	v_lshl_or_b32 v1, s15, 3, v1
	s_waitcnt lgkmcnt(0)
	v_cmp_gt_i32_e32 vcc_lo, s2, v1
	s_and_saveexec_b32 s2, vcc_lo
	s_cbranch_execz .LBB27_23
; %bb.6:
	s_load_b256 s[4:11], s[0:1], 0x10
	v_ashrrev_i32_e32 v2, 31, v1
	v_and_b32_e32 v0, 15, v0
	s_cmp_lg_u32 s3, 0
	s_delay_alu instid0(VALU_DEP_2) | instskip(SKIP_1) | instid1(VALU_DEP_1)
	v_lshlrev_b64 v[2:3], 2, v[1:2]
	s_waitcnt lgkmcnt(0)
	v_add_co_u32 v2, vcc_lo, s4, v2
	s_delay_alu instid0(VALU_DEP_2) | instskip(SKIP_4) | instid1(VALU_DEP_2)
	v_add_co_ci_u32_e32 v3, vcc_lo, s5, v3, vcc_lo
	global_load_b64 v[2:3], v[2:3], off
	s_waitcnt vmcnt(0)
	v_subrev_nc_u32_e32 v2, s18, v2
	v_subrev_nc_u32_e32 v12, s18, v3
	v_add_nc_u32_e32 v2, v2, v0
	s_delay_alu instid0(VALU_DEP_1)
	v_cmp_lt_i32_e64 s2, v2, v12
	s_cbranch_scc0 .LBB27_12
; %bb.7:
	v_dual_mov_b32 v9, 0 :: v_dual_mov_b32 v10, 0
	v_mov_b32_e32 v11, 0
	s_mov_b32 s3, 0
	s_and_saveexec_b32 s4, s2
	s_cbranch_execz .LBB27_11
; %bb.8:
	v_mad_u64_u32 v[3:4], null, v2, 21, 20
	v_dual_mov_b32 v6, 0 :: v_dual_mov_b32 v7, v2
	v_dual_mov_b32 v9, 0 :: v_dual_mov_b32 v10, 0
	v_mov_b32_e32 v11, 0
	s_mov_b32 s5, 0
.LBB27_9:                               ; =>This Inner Loop Header: Depth=1
	s_delay_alu instid0(VALU_DEP_3) | instskip(NEXT) | instid1(VALU_DEP_1)
	v_ashrrev_i32_e32 v8, 31, v7
	v_lshlrev_b64 v[4:5], 2, v[7:8]
	v_add_nc_u32_e32 v7, 16, v7
	s_delay_alu instid0(VALU_DEP_2) | instskip(NEXT) | instid1(VALU_DEP_3)
	v_add_co_u32 v4, vcc_lo, s6, v4
	v_add_co_ci_u32_e32 v5, vcc_lo, s7, v5, vcc_lo
	global_load_b32 v8, v[4:5], off
	v_subrev_nc_u32_e32 v5, 20, v3
	v_mov_b32_e32 v4, v6
	s_delay_alu instid0(VALU_DEP_2) | instskip(SKIP_1) | instid1(VALU_DEP_3)
	v_lshlrev_b64 v[15:16], 2, v[5:6]
	v_subrev_nc_u32_e32 v5, 19, v3
	v_lshlrev_b64 v[17:18], 2, v[3:4]
	s_delay_alu instid0(VALU_DEP_2)
	v_lshlrev_b64 v[19:20], 2, v[5:6]
	v_subrev_nc_u32_e32 v5, 18, v3
	v_add_co_u32 v15, vcc_lo, s8, v15
	v_add_co_ci_u32_e32 v16, vcc_lo, s9, v16, vcc_lo
	v_add_co_u32 v17, vcc_lo, s8, v17
	v_add_co_ci_u32_e32 v18, vcc_lo, s9, v18, vcc_lo
	v_lshlrev_b64 v[21:22], 2, v[5:6]
	v_subrev_nc_u32_e32 v5, 17, v3
	v_add_co_u32 v19, vcc_lo, s8, v19
	v_add_co_ci_u32_e32 v20, vcc_lo, s9, v20, vcc_lo
	s_delay_alu instid0(VALU_DEP_3)
	v_lshlrev_b64 v[4:5], 2, v[5:6]
	s_clause 0x1
	global_load_b32 v23, v[15:16], off
	global_load_b32 v24, v[19:20], off
	v_add_co_u32 v15, vcc_lo, s8, v21
	v_add_co_ci_u32_e32 v16, vcc_lo, s9, v22, vcc_lo
	v_add_co_u32 v4, vcc_lo, s8, v4
	v_add_co_ci_u32_e32 v5, vcc_lo, s9, v5, vcc_lo
	s_clause 0x1
	global_load_b32 v25, v[15:16], off
	global_load_b32 v26, v[4:5], off
	s_waitcnt vmcnt(4)
	v_subrev_nc_u32_e32 v4, s18, v8
	s_delay_alu instid0(VALU_DEP_1) | instskip(NEXT) | instid1(VALU_DEP_1)
	v_mul_lo_u32 v13, v4, 7
	v_dual_mov_b32 v14, v6 :: v_dual_add_nc_u32 v5, 1, v13
	s_delay_alu instid0(VALU_DEP_1) | instskip(NEXT) | instid1(VALU_DEP_2)
	v_lshlrev_b64 v[14:15], 2, v[13:14]
	v_lshlrev_b64 v[19:20], 2, v[5:6]
	v_add_nc_u32_e32 v5, -16, v3
	s_delay_alu instid0(VALU_DEP_3) | instskip(NEXT) | instid1(VALU_DEP_4)
	v_add_co_u32 v14, vcc_lo, s10, v14
	v_add_co_ci_u32_e32 v15, vcc_lo, s11, v15, vcc_lo
	s_delay_alu instid0(VALU_DEP_4)
	v_add_co_u32 v19, vcc_lo, s10, v19
	v_add_co_ci_u32_e32 v20, vcc_lo, s11, v20, vcc_lo
	global_load_b32 v8, v[14:15], off
	v_lshlrev_b64 v[21:22], 2, v[5:6]
	global_load_b32 v27, v[19:20], off
	v_add_nc_u32_e32 v5, -15, v3
	v_add_co_u32 v19, vcc_lo, s8, v21
	v_add_co_ci_u32_e32 v20, vcc_lo, s9, v22, vcc_lo
	global_load_b32 v28, v[19:20], off
	s_waitcnt vmcnt(2)
	v_fmac_f32_e32 v10, v25, v8
	v_lshlrev_b64 v[14:15], 2, v[5:6]
	v_add_nc_u32_e32 v5, -14, v3
	v_fmac_f32_e32 v11, v24, v8
	s_delay_alu instid0(VALU_DEP_3) | instskip(NEXT) | instid1(VALU_DEP_4)
	v_add_co_u32 v14, vcc_lo, s8, v14
	v_add_co_ci_u32_e32 v15, vcc_lo, s9, v15, vcc_lo
	s_delay_alu instid0(VALU_DEP_4)
	v_lshlrev_b64 v[21:22], 2, v[5:6]
	global_load_b32 v29, v[14:15], off
	v_add_nc_u32_e32 v5, 2, v13
	s_waitcnt vmcnt(1)
	v_fmac_f32_e32 v11, v28, v27
	v_add_co_u32 v14, vcc_lo, s8, v21
	v_add_co_ci_u32_e32 v15, vcc_lo, s9, v22, vcc_lo
	global_load_b32 v30, v[14:15], off
	s_waitcnt vmcnt(1)
	v_fmac_f32_e32 v10, v29, v27
	v_lshlrev_b64 v[19:20], 2, v[5:6]
	v_add_nc_u32_e32 v5, -13, v3
	s_delay_alu instid0(VALU_DEP_1) | instskip(SKIP_1) | instid1(VALU_DEP_4)
	v_lshlrev_b64 v[21:22], 2, v[5:6]
	v_add_nc_u32_e32 v5, -12, v3
	v_add_co_u32 v19, vcc_lo, s10, v19
	v_add_co_ci_u32_e32 v20, vcc_lo, s11, v20, vcc_lo
	s_delay_alu instid0(VALU_DEP_3)
	v_lshlrev_b64 v[14:15], 2, v[5:6]
	v_add_nc_u32_e32 v5, -11, v3
	global_load_b32 v31, v[19:20], off
	v_add_co_u32 v19, vcc_lo, s8, v21
	v_add_co_ci_u32_e32 v20, vcc_lo, s9, v22, vcc_lo
	v_add_co_u32 v14, vcc_lo, s8, v14
	v_add_co_ci_u32_e32 v15, vcc_lo, s9, v15, vcc_lo
	global_load_b32 v32, v[19:20], off
	v_lshlrev_b64 v[21:22], 2, v[5:6]
	global_load_b32 v33, v[14:15], off
	v_add_nc_u32_e32 v5, 3, v13
	v_add_co_u32 v14, vcc_lo, s8, v21
	v_add_co_ci_u32_e32 v15, vcc_lo, s9, v22, vcc_lo
	global_load_b32 v34, v[14:15], off
	s_waitcnt vmcnt(2)
	v_fmac_f32_e32 v11, v32, v31
	s_waitcnt vmcnt(1)
	v_fmac_f32_e32 v10, v33, v31
	v_lshlrev_b64 v[19:20], 2, v[5:6]
	v_add_nc_u32_e32 v5, -10, v3
	s_delay_alu instid0(VALU_DEP_1) | instskip(SKIP_1) | instid1(VALU_DEP_4)
	v_lshlrev_b64 v[21:22], 2, v[5:6]
	v_add_nc_u32_e32 v5, -9, v3
	v_add_co_u32 v19, vcc_lo, s10, v19
	v_add_co_ci_u32_e32 v20, vcc_lo, s11, v20, vcc_lo
	s_delay_alu instid0(VALU_DEP_3)
	v_lshlrev_b64 v[14:15], 2, v[5:6]
	v_add_nc_u32_e32 v5, -8, v3
	global_load_b32 v35, v[19:20], off
	v_add_co_u32 v19, vcc_lo, s8, v21
	v_add_co_ci_u32_e32 v20, vcc_lo, s9, v22, vcc_lo
	v_add_co_u32 v14, vcc_lo, s8, v14
	v_add_co_ci_u32_e32 v15, vcc_lo, s9, v15, vcc_lo
	global_load_b32 v36, v[19:20], off
	v_lshlrev_b64 v[21:22], 2, v[5:6]
	global_load_b32 v37, v[14:15], off
	v_add_nc_u32_e32 v5, 4, v13
	v_add_co_u32 v14, vcc_lo, s8, v21
	v_add_co_ci_u32_e32 v15, vcc_lo, s9, v22, vcc_lo
	global_load_b32 v38, v[14:15], off
	s_waitcnt vmcnt(2)
	v_fmac_f32_e32 v11, v36, v35
	;; [unrolled: 26-line block ×3, first 2 shown]
	s_waitcnt vmcnt(1)
	v_fmac_f32_e32 v10, v41, v39
	v_lshlrev_b64 v[19:20], 2, v[5:6]
	v_add_nc_u32_e32 v5, -4, v3
	s_delay_alu instid0(VALU_DEP_1) | instskip(SKIP_1) | instid1(VALU_DEP_4)
	v_lshlrev_b64 v[21:22], 2, v[5:6]
	v_add_nc_u32_e32 v5, -3, v3
	v_add_co_u32 v19, vcc_lo, s10, v19
	v_add_co_ci_u32_e32 v20, vcc_lo, s11, v20, vcc_lo
	s_delay_alu instid0(VALU_DEP_3)
	v_lshlrev_b64 v[14:15], 2, v[5:6]
	v_add_nc_u32_e32 v5, -2, v3
	global_load_b32 v43, v[19:20], off
	v_add_co_u32 v19, vcc_lo, s8, v21
	v_add_co_ci_u32_e32 v20, vcc_lo, s9, v22, vcc_lo
	v_lshlrev_b64 v[21:22], 2, v[5:6]
	v_add_nc_u32_e32 v5, 6, v13
	v_add_co_u32 v13, vcc_lo, s8, v14
	v_add_co_ci_u32_e32 v14, vcc_lo, s9, v15, vcc_lo
	s_clause 0x1
	global_load_b32 v19, v[19:20], off
	global_load_b32 v20, v[13:14], off
	v_add_co_u32 v13, vcc_lo, s8, v21
	v_add_co_ci_u32_e32 v14, vcc_lo, s9, v22, vcc_lo
	s_waitcnt vmcnt(1)
	v_fmac_f32_e32 v11, v19, v43
	s_waitcnt vmcnt(0)
	v_fmac_f32_e32 v10, v20, v43
	v_lshlrev_b64 v[15:16], 2, v[5:6]
	v_add_nc_u32_e32 v5, -1, v3
	v_add_nc_u32_e32 v3, 0x150, v3
	s_delay_alu instid0(VALU_DEP_2) | instskip(NEXT) | instid1(VALU_DEP_4)
	v_lshlrev_b64 v[4:5], 2, v[5:6]
	v_add_co_u32 v15, vcc_lo, s10, v15
	v_add_co_ci_u32_e32 v16, vcc_lo, s11, v16, vcc_lo
	s_delay_alu instid0(VALU_DEP_3) | instskip(NEXT) | instid1(VALU_DEP_4)
	v_add_co_u32 v4, vcc_lo, s8, v4
	v_add_co_ci_u32_e32 v5, vcc_lo, s9, v5, vcc_lo
	global_load_b32 v13, v[13:14], off
	global_load_b32 v14, v[15:16], off
	s_clause 0x1
	global_load_b32 v4, v[4:5], off
	global_load_b32 v5, v[17:18], off
	v_fmac_f32_e32 v9, v23, v8
	v_cmp_ge_i32_e32 vcc_lo, v7, v12
	s_or_b32 s5, vcc_lo, s5
	s_waitcnt vmcnt(1)
	v_fmac_f32_e32 v11, v4, v14
	s_waitcnt vmcnt(0)
	v_dual_fmac_f32 v10, v5, v14 :: v_dual_fmac_f32 v9, v26, v27
	s_delay_alu instid0(VALU_DEP_1) | instskip(NEXT) | instid1(VALU_DEP_1)
	v_fmac_f32_e32 v9, v30, v31
	v_fmac_f32_e32 v9, v34, v35
	s_delay_alu instid0(VALU_DEP_1) | instskip(NEXT) | instid1(VALU_DEP_1)
	v_fmac_f32_e32 v9, v38, v39
	v_fmac_f32_e32 v9, v42, v43
	s_delay_alu instid0(VALU_DEP_1)
	v_fmac_f32_e32 v9, v13, v14
	s_and_not1_b32 exec_lo, exec_lo, s5
	s_cbranch_execnz .LBB27_9
; %bb.10:
	s_or_b32 exec_lo, exec_lo, s5
.LBB27_11:
	s_delay_alu instid0(SALU_CYCLE_1) | instskip(NEXT) | instid1(SALU_CYCLE_1)
	s_or_b32 exec_lo, exec_lo, s4
	s_and_not1_b32 vcc_lo, exec_lo, s3
	s_cbranch_vccz .LBB27_13
	s_branch .LBB27_18
.LBB27_12:
                                        ; implicit-def: $vgpr9
                                        ; implicit-def: $vgpr10
                                        ; implicit-def: $vgpr11
.LBB27_13:
	v_dual_mov_b32 v9, 0 :: v_dual_mov_b32 v10, 0
	v_mov_b32_e32 v11, 0
	s_delay_alu instid0(VALU_DEP_3)
	s_and_saveexec_b32 s3, s2
	s_cbranch_execz .LBB27_17
; %bb.14:
	v_mad_u64_u32 v[4:5], null, v2, 21, 20
	v_dual_mov_b32 v7, 0 :: v_dual_mov_b32 v10, 0
	v_mov_b32_e32 v9, 0
	v_mov_b32_e32 v11, 0
	s_mov_b32 s2, 0
.LBB27_15:                              ; =>This Inner Loop Header: Depth=1
	v_ashrrev_i32_e32 v3, 31, v2
	v_dual_mov_b32 v14, v7 :: v_dual_add_nc_u32 v13, -13, v4
	v_dual_mov_b32 v16, v7 :: v_dual_add_nc_u32 v15, -6, v4
	s_delay_alu instid0(VALU_DEP_3) | instskip(SKIP_1) | instid1(VALU_DEP_4)
	v_lshlrev_b64 v[5:6], 2, v[2:3]
	v_add_nc_u32_e32 v2, 16, v2
	v_lshlrev_b64 v[13:14], 2, v[13:14]
	s_delay_alu instid0(VALU_DEP_4) | instskip(NEXT) | instid1(VALU_DEP_4)
	v_lshlrev_b64 v[15:16], 2, v[15:16]
	v_add_co_u32 v5, vcc_lo, s6, v5
	v_add_co_ci_u32_e32 v6, vcc_lo, s7, v6, vcc_lo
	global_load_b32 v3, v[5:6], off
	v_subrev_nc_u32_e32 v6, 20, v4
	v_mov_b32_e32 v5, v7
	s_delay_alu instid0(VALU_DEP_2) | instskip(SKIP_1) | instid1(VALU_DEP_3)
	v_lshlrev_b64 v[18:19], 2, v[6:7]
	v_subrev_nc_u32_e32 v6, 19, v4
	v_lshlrev_b64 v[20:21], 2, v[4:5]
	s_delay_alu instid0(VALU_DEP_2) | instskip(NEXT) | instid1(VALU_DEP_4)
	v_lshlrev_b64 v[5:6], 2, v[6:7]
	v_add_co_u32 v18, vcc_lo, s8, v18
	v_add_co_ci_u32_e32 v19, vcc_lo, s9, v19, vcc_lo
	v_add_co_u32 v13, vcc_lo, s8, v13
	v_add_co_ci_u32_e32 v14, vcc_lo, s9, v14, vcc_lo
	;; [unrolled: 2-line block ×5, first 2 shown]
	s_clause 0x3
	global_load_b32 v8, v[18:19], off
	global_load_b32 v19, v[13:14], off
	;; [unrolled: 1-line block ×4, first 2 shown]
	s_waitcnt vmcnt(4)
	v_subrev_nc_u32_e32 v3, s18, v3
	s_delay_alu instid0(VALU_DEP_1) | instskip(NEXT) | instid1(VALU_DEP_1)
	v_mul_lo_u32 v16, v3, 7
	v_dual_mov_b32 v17, v7 :: v_dual_add_nc_u32 v6, 1, v16
	s_delay_alu instid0(VALU_DEP_1) | instskip(NEXT) | instid1(VALU_DEP_2)
	v_lshlrev_b64 v[13:14], 2, v[16:17]
	v_lshlrev_b64 v[17:18], 2, v[6:7]
	v_add_nc_u32_e32 v6, -12, v4
	s_delay_alu instid0(VALU_DEP_3) | instskip(NEXT) | instid1(VALU_DEP_4)
	v_add_co_u32 v13, vcc_lo, s10, v13
	v_add_co_ci_u32_e32 v14, vcc_lo, s11, v14, vcc_lo
	s_delay_alu instid0(VALU_DEP_4)
	v_add_co_u32 v17, vcc_lo, s10, v17
	v_add_co_ci_u32_e32 v18, vcc_lo, s11, v18, vcc_lo
	global_load_b32 v3, v[13:14], off
	v_lshlrev_b64 v[22:23], 2, v[6:7]
	global_load_b32 v26, v[17:18], off
	v_add_nc_u32_e32 v6, -5, v4
	v_add_co_u32 v17, vcc_lo, s8, v22
	v_add_co_ci_u32_e32 v18, vcc_lo, s9, v23, vcc_lo
	global_load_b32 v27, v[17:18], off
	s_waitcnt vmcnt(2)
	v_fmac_f32_e32 v9, v8, v3
	v_lshlrev_b64 v[13:14], 2, v[6:7]
	v_subrev_nc_u32_e32 v6, 18, v4
	v_fmac_f32_e32 v11, v19, v3
	s_waitcnt vmcnt(1)
	v_dual_fmac_f32 v10, v24, v3 :: v_dual_fmac_f32 v9, v25, v26
	s_delay_alu instid0(VALU_DEP_4)
	v_add_co_u32 v13, vcc_lo, s8, v13
	v_lshlrev_b64 v[22:23], 2, v[6:7]
	v_add_nc_u32_e32 v6, 2, v16
	v_add_co_ci_u32_e32 v14, vcc_lo, s9, v14, vcc_lo
	global_load_b32 v28, v[13:14], off
	v_lshlrev_b64 v[17:18], 2, v[6:7]
	v_add_co_u32 v13, vcc_lo, s8, v22
	v_add_co_ci_u32_e32 v14, vcc_lo, s9, v23, vcc_lo
	v_add_nc_u32_e32 v6, -11, v4
	s_delay_alu instid0(VALU_DEP_4)
	v_add_co_u32 v17, vcc_lo, s10, v17
	v_add_co_ci_u32_e32 v18, vcc_lo, s11, v18, vcc_lo
	global_load_b32 v29, v[13:14], off
	v_lshlrev_b64 v[22:23], 2, v[6:7]
	s_waitcnt vmcnt(2)
	v_dual_fmac_f32 v11, v27, v26 :: v_dual_add_nc_u32 v6, -4, v4
	global_load_b32 v30, v[17:18], off
	v_add_co_u32 v17, vcc_lo, s8, v22
	v_add_co_ci_u32_e32 v18, vcc_lo, s9, v23, vcc_lo
	v_lshlrev_b64 v[13:14], 2, v[6:7]
	v_subrev_nc_u32_e32 v6, 17, v4
	global_load_b32 v31, v[17:18], off
	v_add_co_u32 v13, vcc_lo, s8, v13
	v_lshlrev_b64 v[22:23], 2, v[6:7]
	v_add_nc_u32_e32 v6, 3, v16
	v_add_co_ci_u32_e32 v14, vcc_lo, s9, v14, vcc_lo
	global_load_b32 v32, v[13:14], off
	v_add_co_u32 v13, vcc_lo, s8, v22
	v_add_co_ci_u32_e32 v14, vcc_lo, s9, v23, vcc_lo
	global_load_b32 v33, v[13:14], off
	s_waitcnt vmcnt(5)
	v_fmac_f32_e32 v10, v28, v26
	s_waitcnt vmcnt(3)
	v_fmac_f32_e32 v9, v29, v30
	v_lshlrev_b64 v[17:18], 2, v[6:7]
	v_add_nc_u32_e32 v6, -10, v4
	s_delay_alu instid0(VALU_DEP_2) | instskip(NEXT) | instid1(VALU_DEP_3)
	v_add_co_u32 v17, vcc_lo, s10, v17
	v_add_co_ci_u32_e32 v18, vcc_lo, s11, v18, vcc_lo
	s_waitcnt vmcnt(2)
	v_fmac_f32_e32 v11, v31, v30
	v_lshlrev_b64 v[22:23], 2, v[6:7]
	global_load_b32 v34, v[17:18], off
	v_add_nc_u32_e32 v6, -3, v4
	v_add_co_u32 v17, vcc_lo, s8, v22
	v_add_co_ci_u32_e32 v18, vcc_lo, s9, v23, vcc_lo
	s_waitcnt vmcnt(2)
	v_fmac_f32_e32 v10, v32, v30
	global_load_b32 v35, v[17:18], off
	s_waitcnt vmcnt(1)
	v_fmac_f32_e32 v9, v33, v34
	v_lshlrev_b64 v[13:14], 2, v[6:7]
	s_delay_alu instid0(VALU_DEP_1) | instskip(NEXT) | instid1(VALU_DEP_2)
	v_add_co_u32 v13, vcc_lo, s8, v13
	v_add_co_ci_u32_e32 v14, vcc_lo, s9, v14, vcc_lo
	global_load_b32 v36, v[13:14], off
	s_waitcnt vmcnt(1)
	v_dual_fmac_f32 v11, v35, v34 :: v_dual_add_nc_u32 v6, -16, v4
	s_delay_alu instid0(VALU_DEP_1) | instskip(NEXT) | instid1(VALU_DEP_1)
	v_lshlrev_b64 v[22:23], 2, v[6:7]
	v_add_co_u32 v13, vcc_lo, s8, v22
	s_delay_alu instid0(VALU_DEP_2) | instskip(SKIP_2) | instid1(VALU_DEP_1)
	v_add_co_ci_u32_e32 v14, vcc_lo, s9, v23, vcc_lo
	global_load_b32 v37, v[13:14], off
	v_add_nc_u32_e32 v6, 4, v16
	v_lshlrev_b64 v[17:18], 2, v[6:7]
	s_delay_alu instid0(VALU_DEP_1) | instskip(NEXT) | instid1(VALU_DEP_2)
	v_add_co_u32 v17, vcc_lo, s10, v17
	v_add_co_ci_u32_e32 v18, vcc_lo, s11, v18, vcc_lo
	global_load_b32 v38, v[17:18], off
	v_add_nc_u32_e32 v6, -9, v4
	s_delay_alu instid0(VALU_DEP_1) | instskip(NEXT) | instid1(VALU_DEP_1)
	v_lshlrev_b64 v[22:23], 2, v[6:7]
	v_add_co_u32 v17, vcc_lo, s8, v22
	s_delay_alu instid0(VALU_DEP_2)
	v_add_co_ci_u32_e32 v18, vcc_lo, s9, v23, vcc_lo
	global_load_b32 v39, v[17:18], off
	s_waitcnt vmcnt(3)
	v_fmac_f32_e32 v10, v36, v34
	s_waitcnt vmcnt(1)
	v_dual_fmac_f32 v9, v37, v38 :: v_dual_add_nc_u32 v6, -2, v4
	s_delay_alu instid0(VALU_DEP_1) | instskip(NEXT) | instid1(VALU_DEP_1)
	v_lshlrev_b64 v[13:14], 2, v[6:7]
	v_add_co_u32 v13, vcc_lo, s8, v13
	s_delay_alu instid0(VALU_DEP_2) | instskip(SKIP_3) | instid1(VALU_DEP_1)
	v_add_co_ci_u32_e32 v14, vcc_lo, s9, v14, vcc_lo
	global_load_b32 v40, v[13:14], off
	s_waitcnt vmcnt(1)
	v_dual_fmac_f32 v11, v39, v38 :: v_dual_add_nc_u32 v6, -15, v4
	v_lshlrev_b64 v[22:23], 2, v[6:7]
	v_add_nc_u32_e32 v6, 5, v16
	s_delay_alu instid0(VALU_DEP_1) | instskip(SKIP_1) | instid1(VALU_DEP_4)
	v_lshlrev_b64 v[17:18], 2, v[6:7]
	v_add_nc_u32_e32 v6, -8, v4
	v_add_co_u32 v13, vcc_lo, s8, v22
	v_add_co_ci_u32_e32 v14, vcc_lo, s9, v23, vcc_lo
	s_delay_alu instid0(VALU_DEP_3)
	v_lshlrev_b64 v[22:23], 2, v[6:7]
	v_add_nc_u32_e32 v6, -1, v4
	v_add_co_u32 v17, vcc_lo, s10, v17
	v_add_co_ci_u32_e32 v18, vcc_lo, s11, v18, vcc_lo
	global_load_b32 v41, v[13:14], off
	v_lshlrev_b64 v[13:14], 2, v[6:7]
	v_add_nc_u32_e32 v6, -14, v4
	global_load_b32 v42, v[17:18], off
	v_add_co_u32 v17, vcc_lo, s8, v22
	v_add_co_ci_u32_e32 v18, vcc_lo, s9, v23, vcc_lo
	v_lshlrev_b64 v[22:23], 2, v[6:7]
	v_add_nc_u32_e32 v6, 6, v16
	v_add_co_u32 v13, vcc_lo, s8, v13
	v_add_co_ci_u32_e32 v14, vcc_lo, s9, v14, vcc_lo
	s_delay_alu instid0(VALU_DEP_3)
	v_lshlrev_b64 v[15:16], 2, v[6:7]
	v_add_nc_u32_e32 v6, -7, v4
	s_clause 0x1
	global_load_b32 v17, v[17:18], off
	global_load_b32 v18, v[13:14], off
	v_add_co_u32 v13, vcc_lo, s8, v22
	v_lshlrev_b64 v[5:6], 2, v[6:7]
	v_add_co_ci_u32_e32 v14, vcc_lo, s9, v23, vcc_lo
	v_add_co_u32 v15, vcc_lo, s10, v15
	v_add_co_ci_u32_e32 v16, vcc_lo, s11, v16, vcc_lo
	s_delay_alu instid0(VALU_DEP_4)
	v_add_co_u32 v5, vcc_lo, s8, v5
	v_add_co_ci_u32_e32 v6, vcc_lo, s9, v6, vcc_lo
	global_load_b32 v13, v[13:14], off
	global_load_b32 v14, v[15:16], off
	s_clause 0x1
	global_load_b32 v5, v[5:6], off
	global_load_b32 v6, v[20:21], off
	v_cmp_ge_i32_e32 vcc_lo, v2, v12
	v_add_nc_u32_e32 v4, 0x150, v4
	s_or_b32 s2, vcc_lo, s2
	s_waitcnt vmcnt(8)
	v_fmac_f32_e32 v10, v40, v38
	s_waitcnt vmcnt(6)
	v_fmac_f32_e32 v9, v41, v42
	;; [unrolled: 2-line block ×7, first 2 shown]
	s_and_not1_b32 exec_lo, exec_lo, s2
	s_cbranch_execnz .LBB27_15
; %bb.16:
	s_or_b32 exec_lo, exec_lo, s2
.LBB27_17:
	s_delay_alu instid0(SALU_CYCLE_1)
	s_or_b32 exec_lo, exec_lo, s3
.LBB27_18:
	v_mbcnt_lo_u32_b32 v2, -1, 0
	s_mov_b32 s2, -1
	s_delay_alu instid0(VALU_DEP_1) | instskip(SKIP_1) | instid1(VALU_DEP_2)
	v_xor_b32_e32 v3, 8, v2
	v_xor_b32_e32 v6, 4, v2
	v_cmp_gt_i32_e32 vcc_lo, 32, v3
	v_cndmask_b32_e32 v3, v2, v3, vcc_lo
	s_delay_alu instid0(VALU_DEP_3) | instskip(SKIP_1) | instid1(VALU_DEP_1)
	v_cmp_gt_i32_e32 vcc_lo, 32, v6
	v_cndmask_b32_e32 v6, v2, v6, vcc_lo
	v_lshlrev_b32_e32 v6, 2, v6
	s_delay_alu instid0(VALU_DEP_4)
	v_lshlrev_b32_e32 v3, 2, v3
	ds_bpermute_b32 v4, v3, v9
	s_waitcnt lgkmcnt(0)
	v_add_f32_e32 v4, v9, v4
	ds_bpermute_b32 v5, v3, v11
	ds_bpermute_b32 v3, v3, v10
	v_xor_b32_e32 v9, 2, v2
	ds_bpermute_b32 v7, v6, v4
	v_cmp_gt_i32_e32 vcc_lo, 32, v9
	v_cndmask_b32_e32 v9, v2, v9, vcc_lo
	s_waitcnt lgkmcnt(2)
	v_add_f32_e32 v5, v11, v5
	s_waitcnt lgkmcnt(1)
	v_add_f32_e32 v3, v10, v3
	;; [unrolled: 2-line block ×3, first 2 shown]
	ds_bpermute_b32 v8, v6, v5
	ds_bpermute_b32 v6, v6, v3
	v_lshlrev_b32_e32 v9, 2, v9
	s_waitcnt lgkmcnt(0)
	v_dual_add_f32 v5, v5, v8 :: v_dual_add_f32 v6, v3, v6
	ds_bpermute_b32 v3, v9, v4
	ds_bpermute_b32 v7, v9, v5
	;; [unrolled: 1-line block ×3, first 2 shown]
	v_xor_b32_e32 v9, 1, v2
	s_delay_alu instid0(VALU_DEP_1) | instskip(SKIP_3) | instid1(VALU_DEP_2)
	v_cmp_gt_i32_e32 vcc_lo, 32, v9
	v_cndmask_b32_e32 v2, v2, v9, vcc_lo
	v_cmp_eq_u32_e32 vcc_lo, 15, v0
	s_waitcnt lgkmcnt(2)
	v_dual_add_f32 v2, v4, v3 :: v_dual_lshlrev_b32 v9, 2, v2
	s_waitcnt lgkmcnt(0)
	v_dual_add_f32 v3, v5, v7 :: v_dual_add_f32 v4, v6, v8
	ds_bpermute_b32 v5, v9, v2
	ds_bpermute_b32 v6, v9, v3
	;; [unrolled: 1-line block ×3, first 2 shown]
	s_and_b32 exec_lo, exec_lo, vcc_lo
	s_cbranch_execz .LBB27_23
; %bb.19:
	s_load_b64 s[0:1], s[0:1], 0x38
	s_waitcnt lgkmcnt(0)
	v_add_f32_e32 v0, v2, v5
	v_add_f32_e32 v2, v3, v6
	;; [unrolled: 1-line block ×3, first 2 shown]
	v_lshl_add_u32 v3, v1, 1, v1
	v_cmp_eq_f32_e64 s3, s12, 0
	s_delay_alu instid0(VALU_DEP_4) | instskip(NEXT) | instid1(VALU_DEP_4)
	v_dual_mul_f32 v1, s16, v2 :: v_dual_mul_f32 v0, s16, v0
	v_mul_f32_e32 v2, s16, v4
	s_delay_alu instid0(VALU_DEP_4) | instskip(NEXT) | instid1(VALU_DEP_4)
	v_ashrrev_i32_e32 v4, 31, v3
	s_and_b32 vcc_lo, exec_lo, s3
	s_cbranch_vccz .LBB27_21
; %bb.20:
	s_delay_alu instid0(VALU_DEP_1) | instskip(SKIP_1) | instid1(VALU_DEP_1)
	v_lshlrev_b64 v[5:6], 2, v[3:4]
	s_mov_b32 s2, 0
	v_add_co_u32 v5, vcc_lo, s0, v5
	s_delay_alu instid0(VALU_DEP_2)
	v_add_co_ci_u32_e32 v6, vcc_lo, s1, v6, vcc_lo
	global_store_b96 v[5:6], v[0:2], off
.LBB27_21:
	s_and_not1_b32 vcc_lo, exec_lo, s2
	s_cbranch_vccnz .LBB27_23
; %bb.22:
	v_lshlrev_b64 v[3:4], 2, v[3:4]
	s_delay_alu instid0(VALU_DEP_1) | instskip(NEXT) | instid1(VALU_DEP_2)
	v_add_co_u32 v6, vcc_lo, s0, v3
	v_add_co_ci_u32_e32 v7, vcc_lo, s1, v4, vcc_lo
	global_load_b96 v[3:5], v[6:7], off
	s_waitcnt vmcnt(0)
	v_dual_fmac_f32 v0, s12, v3 :: v_dual_fmac_f32 v1, s12, v4
	v_fmac_f32_e32 v2, s12, v5
	global_store_b96 v[6:7], v[0:2], off
.LBB27_23:
	s_nop 0
	s_sendmsg sendmsg(MSG_DEALLOC_VGPRS)
	s_endpgm
	.section	.rodata,"a",@progbits
	.p2align	6, 0x0
	.amdhsa_kernel _ZN9rocsparseL19gebsrmvn_3xn_kernelILj128ELj7ELj16EfEEvi20rocsparse_direction_NS_24const_host_device_scalarIT2_EEPKiS6_PKS3_S8_S4_PS3_21rocsparse_index_base_b
		.amdhsa_group_segment_fixed_size 0
		.amdhsa_private_segment_fixed_size 0
		.amdhsa_kernarg_size 72
		.amdhsa_user_sgpr_count 15
		.amdhsa_user_sgpr_dispatch_ptr 0
		.amdhsa_user_sgpr_queue_ptr 0
		.amdhsa_user_sgpr_kernarg_segment_ptr 1
		.amdhsa_user_sgpr_dispatch_id 0
		.amdhsa_user_sgpr_private_segment_size 0
		.amdhsa_wavefront_size32 1
		.amdhsa_uses_dynamic_stack 0
		.amdhsa_enable_private_segment 0
		.amdhsa_system_sgpr_workgroup_id_x 1
		.amdhsa_system_sgpr_workgroup_id_y 0
		.amdhsa_system_sgpr_workgroup_id_z 0
		.amdhsa_system_sgpr_workgroup_info 0
		.amdhsa_system_vgpr_workitem_id 0
		.amdhsa_next_free_vgpr 44
		.amdhsa_next_free_sgpr 20
		.amdhsa_reserve_vcc 1
		.amdhsa_float_round_mode_32 0
		.amdhsa_float_round_mode_16_64 0
		.amdhsa_float_denorm_mode_32 3
		.amdhsa_float_denorm_mode_16_64 3
		.amdhsa_dx10_clamp 1
		.amdhsa_ieee_mode 1
		.amdhsa_fp16_overflow 0
		.amdhsa_workgroup_processor_mode 1
		.amdhsa_memory_ordered 1
		.amdhsa_forward_progress 0
		.amdhsa_shared_vgpr_count 0
		.amdhsa_exception_fp_ieee_invalid_op 0
		.amdhsa_exception_fp_denorm_src 0
		.amdhsa_exception_fp_ieee_div_zero 0
		.amdhsa_exception_fp_ieee_overflow 0
		.amdhsa_exception_fp_ieee_underflow 0
		.amdhsa_exception_fp_ieee_inexact 0
		.amdhsa_exception_int_div_zero 0
	.end_amdhsa_kernel
	.section	.text._ZN9rocsparseL19gebsrmvn_3xn_kernelILj128ELj7ELj16EfEEvi20rocsparse_direction_NS_24const_host_device_scalarIT2_EEPKiS6_PKS3_S8_S4_PS3_21rocsparse_index_base_b,"axG",@progbits,_ZN9rocsparseL19gebsrmvn_3xn_kernelILj128ELj7ELj16EfEEvi20rocsparse_direction_NS_24const_host_device_scalarIT2_EEPKiS6_PKS3_S8_S4_PS3_21rocsparse_index_base_b,comdat
.Lfunc_end27:
	.size	_ZN9rocsparseL19gebsrmvn_3xn_kernelILj128ELj7ELj16EfEEvi20rocsparse_direction_NS_24const_host_device_scalarIT2_EEPKiS6_PKS3_S8_S4_PS3_21rocsparse_index_base_b, .Lfunc_end27-_ZN9rocsparseL19gebsrmvn_3xn_kernelILj128ELj7ELj16EfEEvi20rocsparse_direction_NS_24const_host_device_scalarIT2_EEPKiS6_PKS3_S8_S4_PS3_21rocsparse_index_base_b
                                        ; -- End function
	.section	.AMDGPU.csdata,"",@progbits
; Kernel info:
; codeLenInByte = 3308
; NumSgprs: 22
; NumVgprs: 44
; ScratchSize: 0
; MemoryBound: 0
; FloatMode: 240
; IeeeMode: 1
; LDSByteSize: 0 bytes/workgroup (compile time only)
; SGPRBlocks: 2
; VGPRBlocks: 5
; NumSGPRsForWavesPerEU: 22
; NumVGPRsForWavesPerEU: 44
; Occupancy: 16
; WaveLimiterHint : 1
; COMPUTE_PGM_RSRC2:SCRATCH_EN: 0
; COMPUTE_PGM_RSRC2:USER_SGPR: 15
; COMPUTE_PGM_RSRC2:TRAP_HANDLER: 0
; COMPUTE_PGM_RSRC2:TGID_X_EN: 1
; COMPUTE_PGM_RSRC2:TGID_Y_EN: 0
; COMPUTE_PGM_RSRC2:TGID_Z_EN: 0
; COMPUTE_PGM_RSRC2:TIDIG_COMP_CNT: 0
	.section	.text._ZN9rocsparseL19gebsrmvn_3xn_kernelILj128ELj7ELj32EfEEvi20rocsparse_direction_NS_24const_host_device_scalarIT2_EEPKiS6_PKS3_S8_S4_PS3_21rocsparse_index_base_b,"axG",@progbits,_ZN9rocsparseL19gebsrmvn_3xn_kernelILj128ELj7ELj32EfEEvi20rocsparse_direction_NS_24const_host_device_scalarIT2_EEPKiS6_PKS3_S8_S4_PS3_21rocsparse_index_base_b,comdat
	.globl	_ZN9rocsparseL19gebsrmvn_3xn_kernelILj128ELj7ELj32EfEEvi20rocsparse_direction_NS_24const_host_device_scalarIT2_EEPKiS6_PKS3_S8_S4_PS3_21rocsparse_index_base_b ; -- Begin function _ZN9rocsparseL19gebsrmvn_3xn_kernelILj128ELj7ELj32EfEEvi20rocsparse_direction_NS_24const_host_device_scalarIT2_EEPKiS6_PKS3_S8_S4_PS3_21rocsparse_index_base_b
	.p2align	8
	.type	_ZN9rocsparseL19gebsrmvn_3xn_kernelILj128ELj7ELj32EfEEvi20rocsparse_direction_NS_24const_host_device_scalarIT2_EEPKiS6_PKS3_S8_S4_PS3_21rocsparse_index_base_b,@function
_ZN9rocsparseL19gebsrmvn_3xn_kernelILj128ELj7ELj32EfEEvi20rocsparse_direction_NS_24const_host_device_scalarIT2_EEPKiS6_PKS3_S8_S4_PS3_21rocsparse_index_base_b: ; @_ZN9rocsparseL19gebsrmvn_3xn_kernelILj128ELj7ELj32EfEEvi20rocsparse_direction_NS_24const_host_device_scalarIT2_EEPKiS6_PKS3_S8_S4_PS3_21rocsparse_index_base_b
; %bb.0:
	s_clause 0x2
	s_load_b64 s[18:19], s[0:1], 0x40
	s_load_b64 s[16:17], s[0:1], 0x8
	;; [unrolled: 1-line block ×3, first 2 shown]
	s_waitcnt lgkmcnt(0)
	s_bitcmp1_b32 s19, 0
	s_cselect_b32 s2, -1, 0
	s_delay_alu instid0(SALU_CYCLE_1)
	s_and_b32 vcc_lo, exec_lo, s2
	s_xor_b32 s2, s2, -1
	s_cbranch_vccnz .LBB28_2
; %bb.1:
	s_load_b32 s16, s[16:17], 0x0
.LBB28_2:
	s_and_not1_b32 vcc_lo, exec_lo, s2
	s_cbranch_vccnz .LBB28_4
; %bb.3:
	s_load_b32 s12, s[12:13], 0x0
.LBB28_4:
	s_waitcnt lgkmcnt(0)
	v_cmp_eq_f32_e64 s2, s16, 0
	v_cmp_eq_f32_e64 s3, s12, 1.0
	s_delay_alu instid0(VALU_DEP_1) | instskip(NEXT) | instid1(SALU_CYCLE_1)
	s_and_b32 s2, s2, s3
	s_and_b32 vcc_lo, exec_lo, s2
	s_cbranch_vccnz .LBB28_23
; %bb.5:
	s_load_b64 s[2:3], s[0:1], 0x0
	v_lshrrev_b32_e32 v1, 5, v0
	s_delay_alu instid0(VALU_DEP_1) | instskip(SKIP_1) | instid1(VALU_DEP_1)
	v_lshl_or_b32 v1, s15, 2, v1
	s_waitcnt lgkmcnt(0)
	v_cmp_gt_i32_e32 vcc_lo, s2, v1
	s_and_saveexec_b32 s2, vcc_lo
	s_cbranch_execz .LBB28_23
; %bb.6:
	s_load_b256 s[4:11], s[0:1], 0x10
	v_ashrrev_i32_e32 v2, 31, v1
	v_and_b32_e32 v0, 31, v0
	s_cmp_lg_u32 s3, 0
	s_delay_alu instid0(VALU_DEP_2) | instskip(SKIP_1) | instid1(VALU_DEP_1)
	v_lshlrev_b64 v[2:3], 2, v[1:2]
	s_waitcnt lgkmcnt(0)
	v_add_co_u32 v2, vcc_lo, s4, v2
	s_delay_alu instid0(VALU_DEP_2) | instskip(SKIP_4) | instid1(VALU_DEP_2)
	v_add_co_ci_u32_e32 v3, vcc_lo, s5, v3, vcc_lo
	global_load_b64 v[2:3], v[2:3], off
	s_waitcnt vmcnt(0)
	v_subrev_nc_u32_e32 v2, s18, v2
	v_subrev_nc_u32_e32 v12, s18, v3
	v_add_nc_u32_e32 v2, v2, v0
	s_delay_alu instid0(VALU_DEP_1)
	v_cmp_lt_i32_e64 s2, v2, v12
	s_cbranch_scc0 .LBB28_12
; %bb.7:
	v_dual_mov_b32 v9, 0 :: v_dual_mov_b32 v10, 0
	v_mov_b32_e32 v11, 0
	s_mov_b32 s3, 0
	s_and_saveexec_b32 s4, s2
	s_cbranch_execz .LBB28_11
; %bb.8:
	v_mad_u64_u32 v[3:4], null, v2, 21, 20
	v_dual_mov_b32 v6, 0 :: v_dual_mov_b32 v7, v2
	v_dual_mov_b32 v9, 0 :: v_dual_mov_b32 v10, 0
	v_mov_b32_e32 v11, 0
	s_mov_b32 s5, 0
.LBB28_9:                               ; =>This Inner Loop Header: Depth=1
	s_delay_alu instid0(VALU_DEP_3) | instskip(NEXT) | instid1(VALU_DEP_1)
	v_ashrrev_i32_e32 v8, 31, v7
	v_lshlrev_b64 v[4:5], 2, v[7:8]
	v_add_nc_u32_e32 v7, 32, v7
	s_delay_alu instid0(VALU_DEP_2) | instskip(NEXT) | instid1(VALU_DEP_3)
	v_add_co_u32 v4, vcc_lo, s6, v4
	v_add_co_ci_u32_e32 v5, vcc_lo, s7, v5, vcc_lo
	global_load_b32 v8, v[4:5], off
	v_subrev_nc_u32_e32 v5, 20, v3
	v_mov_b32_e32 v4, v6
	s_delay_alu instid0(VALU_DEP_2) | instskip(SKIP_1) | instid1(VALU_DEP_3)
	v_lshlrev_b64 v[15:16], 2, v[5:6]
	v_subrev_nc_u32_e32 v5, 19, v3
	v_lshlrev_b64 v[17:18], 2, v[3:4]
	s_delay_alu instid0(VALU_DEP_2)
	v_lshlrev_b64 v[19:20], 2, v[5:6]
	v_subrev_nc_u32_e32 v5, 18, v3
	v_add_co_u32 v15, vcc_lo, s8, v15
	v_add_co_ci_u32_e32 v16, vcc_lo, s9, v16, vcc_lo
	v_add_co_u32 v17, vcc_lo, s8, v17
	v_add_co_ci_u32_e32 v18, vcc_lo, s9, v18, vcc_lo
	v_lshlrev_b64 v[21:22], 2, v[5:6]
	v_subrev_nc_u32_e32 v5, 17, v3
	v_add_co_u32 v19, vcc_lo, s8, v19
	v_add_co_ci_u32_e32 v20, vcc_lo, s9, v20, vcc_lo
	s_delay_alu instid0(VALU_DEP_3)
	v_lshlrev_b64 v[4:5], 2, v[5:6]
	s_clause 0x1
	global_load_b32 v23, v[15:16], off
	global_load_b32 v24, v[19:20], off
	v_add_co_u32 v15, vcc_lo, s8, v21
	v_add_co_ci_u32_e32 v16, vcc_lo, s9, v22, vcc_lo
	v_add_co_u32 v4, vcc_lo, s8, v4
	v_add_co_ci_u32_e32 v5, vcc_lo, s9, v5, vcc_lo
	s_clause 0x1
	global_load_b32 v25, v[15:16], off
	global_load_b32 v26, v[4:5], off
	s_waitcnt vmcnt(4)
	v_subrev_nc_u32_e32 v4, s18, v8
	s_delay_alu instid0(VALU_DEP_1) | instskip(NEXT) | instid1(VALU_DEP_1)
	v_mul_lo_u32 v13, v4, 7
	v_dual_mov_b32 v14, v6 :: v_dual_add_nc_u32 v5, 1, v13
	s_delay_alu instid0(VALU_DEP_1) | instskip(NEXT) | instid1(VALU_DEP_2)
	v_lshlrev_b64 v[14:15], 2, v[13:14]
	v_lshlrev_b64 v[19:20], 2, v[5:6]
	v_add_nc_u32_e32 v5, -16, v3
	s_delay_alu instid0(VALU_DEP_3) | instskip(NEXT) | instid1(VALU_DEP_4)
	v_add_co_u32 v14, vcc_lo, s10, v14
	v_add_co_ci_u32_e32 v15, vcc_lo, s11, v15, vcc_lo
	s_delay_alu instid0(VALU_DEP_4)
	v_add_co_u32 v19, vcc_lo, s10, v19
	v_add_co_ci_u32_e32 v20, vcc_lo, s11, v20, vcc_lo
	global_load_b32 v8, v[14:15], off
	v_lshlrev_b64 v[21:22], 2, v[5:6]
	global_load_b32 v27, v[19:20], off
	v_add_nc_u32_e32 v5, -15, v3
	v_add_co_u32 v19, vcc_lo, s8, v21
	v_add_co_ci_u32_e32 v20, vcc_lo, s9, v22, vcc_lo
	global_load_b32 v28, v[19:20], off
	s_waitcnt vmcnt(2)
	v_fmac_f32_e32 v10, v25, v8
	v_lshlrev_b64 v[14:15], 2, v[5:6]
	v_add_nc_u32_e32 v5, -14, v3
	v_fmac_f32_e32 v11, v24, v8
	s_delay_alu instid0(VALU_DEP_3) | instskip(NEXT) | instid1(VALU_DEP_4)
	v_add_co_u32 v14, vcc_lo, s8, v14
	v_add_co_ci_u32_e32 v15, vcc_lo, s9, v15, vcc_lo
	s_delay_alu instid0(VALU_DEP_4)
	v_lshlrev_b64 v[21:22], 2, v[5:6]
	global_load_b32 v29, v[14:15], off
	v_add_nc_u32_e32 v5, 2, v13
	s_waitcnt vmcnt(1)
	v_fmac_f32_e32 v11, v28, v27
	v_add_co_u32 v14, vcc_lo, s8, v21
	v_add_co_ci_u32_e32 v15, vcc_lo, s9, v22, vcc_lo
	global_load_b32 v30, v[14:15], off
	s_waitcnt vmcnt(1)
	v_fmac_f32_e32 v10, v29, v27
	v_lshlrev_b64 v[19:20], 2, v[5:6]
	v_add_nc_u32_e32 v5, -13, v3
	s_delay_alu instid0(VALU_DEP_1) | instskip(SKIP_1) | instid1(VALU_DEP_4)
	v_lshlrev_b64 v[21:22], 2, v[5:6]
	v_add_nc_u32_e32 v5, -12, v3
	v_add_co_u32 v19, vcc_lo, s10, v19
	v_add_co_ci_u32_e32 v20, vcc_lo, s11, v20, vcc_lo
	s_delay_alu instid0(VALU_DEP_3)
	v_lshlrev_b64 v[14:15], 2, v[5:6]
	v_add_nc_u32_e32 v5, -11, v3
	global_load_b32 v31, v[19:20], off
	v_add_co_u32 v19, vcc_lo, s8, v21
	v_add_co_ci_u32_e32 v20, vcc_lo, s9, v22, vcc_lo
	v_add_co_u32 v14, vcc_lo, s8, v14
	v_add_co_ci_u32_e32 v15, vcc_lo, s9, v15, vcc_lo
	global_load_b32 v32, v[19:20], off
	v_lshlrev_b64 v[21:22], 2, v[5:6]
	global_load_b32 v33, v[14:15], off
	v_add_nc_u32_e32 v5, 3, v13
	v_add_co_u32 v14, vcc_lo, s8, v21
	v_add_co_ci_u32_e32 v15, vcc_lo, s9, v22, vcc_lo
	global_load_b32 v34, v[14:15], off
	s_waitcnt vmcnt(2)
	v_fmac_f32_e32 v11, v32, v31
	s_waitcnt vmcnt(1)
	v_fmac_f32_e32 v10, v33, v31
	v_lshlrev_b64 v[19:20], 2, v[5:6]
	v_add_nc_u32_e32 v5, -10, v3
	s_delay_alu instid0(VALU_DEP_1) | instskip(SKIP_1) | instid1(VALU_DEP_4)
	v_lshlrev_b64 v[21:22], 2, v[5:6]
	v_add_nc_u32_e32 v5, -9, v3
	v_add_co_u32 v19, vcc_lo, s10, v19
	v_add_co_ci_u32_e32 v20, vcc_lo, s11, v20, vcc_lo
	s_delay_alu instid0(VALU_DEP_3)
	v_lshlrev_b64 v[14:15], 2, v[5:6]
	v_add_nc_u32_e32 v5, -8, v3
	global_load_b32 v35, v[19:20], off
	v_add_co_u32 v19, vcc_lo, s8, v21
	v_add_co_ci_u32_e32 v20, vcc_lo, s9, v22, vcc_lo
	v_add_co_u32 v14, vcc_lo, s8, v14
	v_add_co_ci_u32_e32 v15, vcc_lo, s9, v15, vcc_lo
	global_load_b32 v36, v[19:20], off
	v_lshlrev_b64 v[21:22], 2, v[5:6]
	global_load_b32 v37, v[14:15], off
	v_add_nc_u32_e32 v5, 4, v13
	v_add_co_u32 v14, vcc_lo, s8, v21
	v_add_co_ci_u32_e32 v15, vcc_lo, s9, v22, vcc_lo
	global_load_b32 v38, v[14:15], off
	s_waitcnt vmcnt(2)
	v_fmac_f32_e32 v11, v36, v35
	;; [unrolled: 26-line block ×3, first 2 shown]
	s_waitcnt vmcnt(1)
	v_fmac_f32_e32 v10, v41, v39
	v_lshlrev_b64 v[19:20], 2, v[5:6]
	v_add_nc_u32_e32 v5, -4, v3
	s_delay_alu instid0(VALU_DEP_1) | instskip(SKIP_1) | instid1(VALU_DEP_4)
	v_lshlrev_b64 v[21:22], 2, v[5:6]
	v_add_nc_u32_e32 v5, -3, v3
	v_add_co_u32 v19, vcc_lo, s10, v19
	v_add_co_ci_u32_e32 v20, vcc_lo, s11, v20, vcc_lo
	s_delay_alu instid0(VALU_DEP_3)
	v_lshlrev_b64 v[14:15], 2, v[5:6]
	v_add_nc_u32_e32 v5, -2, v3
	global_load_b32 v43, v[19:20], off
	v_add_co_u32 v19, vcc_lo, s8, v21
	v_add_co_ci_u32_e32 v20, vcc_lo, s9, v22, vcc_lo
	v_lshlrev_b64 v[21:22], 2, v[5:6]
	v_add_nc_u32_e32 v5, 6, v13
	v_add_co_u32 v13, vcc_lo, s8, v14
	v_add_co_ci_u32_e32 v14, vcc_lo, s9, v15, vcc_lo
	s_clause 0x1
	global_load_b32 v19, v[19:20], off
	global_load_b32 v20, v[13:14], off
	v_add_co_u32 v13, vcc_lo, s8, v21
	v_add_co_ci_u32_e32 v14, vcc_lo, s9, v22, vcc_lo
	s_waitcnt vmcnt(1)
	v_fmac_f32_e32 v11, v19, v43
	s_waitcnt vmcnt(0)
	v_fmac_f32_e32 v10, v20, v43
	v_lshlrev_b64 v[15:16], 2, v[5:6]
	v_add_nc_u32_e32 v5, -1, v3
	v_add_nc_u32_e32 v3, 0x2a0, v3
	s_delay_alu instid0(VALU_DEP_2) | instskip(NEXT) | instid1(VALU_DEP_4)
	v_lshlrev_b64 v[4:5], 2, v[5:6]
	v_add_co_u32 v15, vcc_lo, s10, v15
	v_add_co_ci_u32_e32 v16, vcc_lo, s11, v16, vcc_lo
	s_delay_alu instid0(VALU_DEP_3) | instskip(NEXT) | instid1(VALU_DEP_4)
	v_add_co_u32 v4, vcc_lo, s8, v4
	v_add_co_ci_u32_e32 v5, vcc_lo, s9, v5, vcc_lo
	global_load_b32 v13, v[13:14], off
	global_load_b32 v14, v[15:16], off
	s_clause 0x1
	global_load_b32 v4, v[4:5], off
	global_load_b32 v5, v[17:18], off
	v_fmac_f32_e32 v9, v23, v8
	v_cmp_ge_i32_e32 vcc_lo, v7, v12
	s_or_b32 s5, vcc_lo, s5
	s_waitcnt vmcnt(1)
	v_fmac_f32_e32 v11, v4, v14
	s_waitcnt vmcnt(0)
	v_dual_fmac_f32 v10, v5, v14 :: v_dual_fmac_f32 v9, v26, v27
	s_delay_alu instid0(VALU_DEP_1) | instskip(NEXT) | instid1(VALU_DEP_1)
	v_fmac_f32_e32 v9, v30, v31
	v_fmac_f32_e32 v9, v34, v35
	s_delay_alu instid0(VALU_DEP_1) | instskip(NEXT) | instid1(VALU_DEP_1)
	v_fmac_f32_e32 v9, v38, v39
	v_fmac_f32_e32 v9, v42, v43
	s_delay_alu instid0(VALU_DEP_1)
	v_fmac_f32_e32 v9, v13, v14
	s_and_not1_b32 exec_lo, exec_lo, s5
	s_cbranch_execnz .LBB28_9
; %bb.10:
	s_or_b32 exec_lo, exec_lo, s5
.LBB28_11:
	s_delay_alu instid0(SALU_CYCLE_1) | instskip(NEXT) | instid1(SALU_CYCLE_1)
	s_or_b32 exec_lo, exec_lo, s4
	s_and_not1_b32 vcc_lo, exec_lo, s3
	s_cbranch_vccz .LBB28_13
	s_branch .LBB28_18
.LBB28_12:
                                        ; implicit-def: $vgpr9
                                        ; implicit-def: $vgpr10
                                        ; implicit-def: $vgpr11
.LBB28_13:
	v_dual_mov_b32 v9, 0 :: v_dual_mov_b32 v10, 0
	v_mov_b32_e32 v11, 0
	s_delay_alu instid0(VALU_DEP_3)
	s_and_saveexec_b32 s3, s2
	s_cbranch_execz .LBB28_17
; %bb.14:
	v_mad_u64_u32 v[4:5], null, v2, 21, 20
	v_dual_mov_b32 v7, 0 :: v_dual_mov_b32 v10, 0
	v_mov_b32_e32 v9, 0
	v_mov_b32_e32 v11, 0
	s_mov_b32 s2, 0
.LBB28_15:                              ; =>This Inner Loop Header: Depth=1
	v_ashrrev_i32_e32 v3, 31, v2
	v_dual_mov_b32 v14, v7 :: v_dual_add_nc_u32 v13, -13, v4
	v_dual_mov_b32 v16, v7 :: v_dual_add_nc_u32 v15, -6, v4
	s_delay_alu instid0(VALU_DEP_3) | instskip(SKIP_1) | instid1(VALU_DEP_4)
	v_lshlrev_b64 v[5:6], 2, v[2:3]
	v_add_nc_u32_e32 v2, 32, v2
	v_lshlrev_b64 v[13:14], 2, v[13:14]
	s_delay_alu instid0(VALU_DEP_4) | instskip(NEXT) | instid1(VALU_DEP_4)
	v_lshlrev_b64 v[15:16], 2, v[15:16]
	v_add_co_u32 v5, vcc_lo, s6, v5
	v_add_co_ci_u32_e32 v6, vcc_lo, s7, v6, vcc_lo
	global_load_b32 v3, v[5:6], off
	v_subrev_nc_u32_e32 v6, 20, v4
	v_mov_b32_e32 v5, v7
	s_delay_alu instid0(VALU_DEP_2) | instskip(SKIP_1) | instid1(VALU_DEP_3)
	v_lshlrev_b64 v[18:19], 2, v[6:7]
	v_subrev_nc_u32_e32 v6, 19, v4
	v_lshlrev_b64 v[20:21], 2, v[4:5]
	s_delay_alu instid0(VALU_DEP_2) | instskip(NEXT) | instid1(VALU_DEP_4)
	v_lshlrev_b64 v[5:6], 2, v[6:7]
	v_add_co_u32 v18, vcc_lo, s8, v18
	v_add_co_ci_u32_e32 v19, vcc_lo, s9, v19, vcc_lo
	v_add_co_u32 v13, vcc_lo, s8, v13
	v_add_co_ci_u32_e32 v14, vcc_lo, s9, v14, vcc_lo
	;; [unrolled: 2-line block ×5, first 2 shown]
	s_clause 0x3
	global_load_b32 v8, v[18:19], off
	global_load_b32 v19, v[13:14], off
	;; [unrolled: 1-line block ×4, first 2 shown]
	s_waitcnt vmcnt(4)
	v_subrev_nc_u32_e32 v3, s18, v3
	s_delay_alu instid0(VALU_DEP_1) | instskip(NEXT) | instid1(VALU_DEP_1)
	v_mul_lo_u32 v16, v3, 7
	v_dual_mov_b32 v17, v7 :: v_dual_add_nc_u32 v6, 1, v16
	s_delay_alu instid0(VALU_DEP_1) | instskip(NEXT) | instid1(VALU_DEP_2)
	v_lshlrev_b64 v[13:14], 2, v[16:17]
	v_lshlrev_b64 v[17:18], 2, v[6:7]
	v_add_nc_u32_e32 v6, -12, v4
	s_delay_alu instid0(VALU_DEP_3) | instskip(NEXT) | instid1(VALU_DEP_4)
	v_add_co_u32 v13, vcc_lo, s10, v13
	v_add_co_ci_u32_e32 v14, vcc_lo, s11, v14, vcc_lo
	s_delay_alu instid0(VALU_DEP_4)
	v_add_co_u32 v17, vcc_lo, s10, v17
	v_add_co_ci_u32_e32 v18, vcc_lo, s11, v18, vcc_lo
	global_load_b32 v3, v[13:14], off
	v_lshlrev_b64 v[22:23], 2, v[6:7]
	global_load_b32 v26, v[17:18], off
	v_add_nc_u32_e32 v6, -5, v4
	v_add_co_u32 v17, vcc_lo, s8, v22
	v_add_co_ci_u32_e32 v18, vcc_lo, s9, v23, vcc_lo
	global_load_b32 v27, v[17:18], off
	s_waitcnt vmcnt(2)
	v_fmac_f32_e32 v9, v8, v3
	v_lshlrev_b64 v[13:14], 2, v[6:7]
	v_subrev_nc_u32_e32 v6, 18, v4
	v_fmac_f32_e32 v11, v19, v3
	s_waitcnt vmcnt(1)
	v_dual_fmac_f32 v10, v24, v3 :: v_dual_fmac_f32 v9, v25, v26
	s_delay_alu instid0(VALU_DEP_4)
	v_add_co_u32 v13, vcc_lo, s8, v13
	v_lshlrev_b64 v[22:23], 2, v[6:7]
	v_add_nc_u32_e32 v6, 2, v16
	v_add_co_ci_u32_e32 v14, vcc_lo, s9, v14, vcc_lo
	global_load_b32 v28, v[13:14], off
	v_lshlrev_b64 v[17:18], 2, v[6:7]
	v_add_co_u32 v13, vcc_lo, s8, v22
	v_add_co_ci_u32_e32 v14, vcc_lo, s9, v23, vcc_lo
	v_add_nc_u32_e32 v6, -11, v4
	s_delay_alu instid0(VALU_DEP_4)
	v_add_co_u32 v17, vcc_lo, s10, v17
	v_add_co_ci_u32_e32 v18, vcc_lo, s11, v18, vcc_lo
	global_load_b32 v29, v[13:14], off
	v_lshlrev_b64 v[22:23], 2, v[6:7]
	s_waitcnt vmcnt(2)
	v_dual_fmac_f32 v11, v27, v26 :: v_dual_add_nc_u32 v6, -4, v4
	global_load_b32 v30, v[17:18], off
	v_add_co_u32 v17, vcc_lo, s8, v22
	v_add_co_ci_u32_e32 v18, vcc_lo, s9, v23, vcc_lo
	v_lshlrev_b64 v[13:14], 2, v[6:7]
	v_subrev_nc_u32_e32 v6, 17, v4
	global_load_b32 v31, v[17:18], off
	v_add_co_u32 v13, vcc_lo, s8, v13
	v_lshlrev_b64 v[22:23], 2, v[6:7]
	v_add_nc_u32_e32 v6, 3, v16
	v_add_co_ci_u32_e32 v14, vcc_lo, s9, v14, vcc_lo
	global_load_b32 v32, v[13:14], off
	v_add_co_u32 v13, vcc_lo, s8, v22
	v_add_co_ci_u32_e32 v14, vcc_lo, s9, v23, vcc_lo
	global_load_b32 v33, v[13:14], off
	s_waitcnt vmcnt(5)
	v_fmac_f32_e32 v10, v28, v26
	s_waitcnt vmcnt(3)
	v_fmac_f32_e32 v9, v29, v30
	v_lshlrev_b64 v[17:18], 2, v[6:7]
	v_add_nc_u32_e32 v6, -10, v4
	s_delay_alu instid0(VALU_DEP_2) | instskip(NEXT) | instid1(VALU_DEP_3)
	v_add_co_u32 v17, vcc_lo, s10, v17
	v_add_co_ci_u32_e32 v18, vcc_lo, s11, v18, vcc_lo
	s_waitcnt vmcnt(2)
	v_fmac_f32_e32 v11, v31, v30
	v_lshlrev_b64 v[22:23], 2, v[6:7]
	global_load_b32 v34, v[17:18], off
	v_add_nc_u32_e32 v6, -3, v4
	v_add_co_u32 v17, vcc_lo, s8, v22
	v_add_co_ci_u32_e32 v18, vcc_lo, s9, v23, vcc_lo
	s_waitcnt vmcnt(2)
	v_fmac_f32_e32 v10, v32, v30
	global_load_b32 v35, v[17:18], off
	s_waitcnt vmcnt(1)
	v_fmac_f32_e32 v9, v33, v34
	v_lshlrev_b64 v[13:14], 2, v[6:7]
	s_delay_alu instid0(VALU_DEP_1) | instskip(NEXT) | instid1(VALU_DEP_2)
	v_add_co_u32 v13, vcc_lo, s8, v13
	v_add_co_ci_u32_e32 v14, vcc_lo, s9, v14, vcc_lo
	global_load_b32 v36, v[13:14], off
	s_waitcnt vmcnt(1)
	v_dual_fmac_f32 v11, v35, v34 :: v_dual_add_nc_u32 v6, -16, v4
	s_delay_alu instid0(VALU_DEP_1) | instskip(NEXT) | instid1(VALU_DEP_1)
	v_lshlrev_b64 v[22:23], 2, v[6:7]
	v_add_co_u32 v13, vcc_lo, s8, v22
	s_delay_alu instid0(VALU_DEP_2) | instskip(SKIP_2) | instid1(VALU_DEP_1)
	v_add_co_ci_u32_e32 v14, vcc_lo, s9, v23, vcc_lo
	global_load_b32 v37, v[13:14], off
	v_add_nc_u32_e32 v6, 4, v16
	v_lshlrev_b64 v[17:18], 2, v[6:7]
	s_delay_alu instid0(VALU_DEP_1) | instskip(NEXT) | instid1(VALU_DEP_2)
	v_add_co_u32 v17, vcc_lo, s10, v17
	v_add_co_ci_u32_e32 v18, vcc_lo, s11, v18, vcc_lo
	global_load_b32 v38, v[17:18], off
	v_add_nc_u32_e32 v6, -9, v4
	s_delay_alu instid0(VALU_DEP_1) | instskip(NEXT) | instid1(VALU_DEP_1)
	v_lshlrev_b64 v[22:23], 2, v[6:7]
	v_add_co_u32 v17, vcc_lo, s8, v22
	s_delay_alu instid0(VALU_DEP_2)
	v_add_co_ci_u32_e32 v18, vcc_lo, s9, v23, vcc_lo
	global_load_b32 v39, v[17:18], off
	s_waitcnt vmcnt(3)
	v_fmac_f32_e32 v10, v36, v34
	s_waitcnt vmcnt(1)
	v_dual_fmac_f32 v9, v37, v38 :: v_dual_add_nc_u32 v6, -2, v4
	s_delay_alu instid0(VALU_DEP_1) | instskip(NEXT) | instid1(VALU_DEP_1)
	v_lshlrev_b64 v[13:14], 2, v[6:7]
	v_add_co_u32 v13, vcc_lo, s8, v13
	s_delay_alu instid0(VALU_DEP_2) | instskip(SKIP_3) | instid1(VALU_DEP_1)
	v_add_co_ci_u32_e32 v14, vcc_lo, s9, v14, vcc_lo
	global_load_b32 v40, v[13:14], off
	s_waitcnt vmcnt(1)
	v_dual_fmac_f32 v11, v39, v38 :: v_dual_add_nc_u32 v6, -15, v4
	v_lshlrev_b64 v[22:23], 2, v[6:7]
	v_add_nc_u32_e32 v6, 5, v16
	s_delay_alu instid0(VALU_DEP_1) | instskip(SKIP_1) | instid1(VALU_DEP_4)
	v_lshlrev_b64 v[17:18], 2, v[6:7]
	v_add_nc_u32_e32 v6, -8, v4
	v_add_co_u32 v13, vcc_lo, s8, v22
	v_add_co_ci_u32_e32 v14, vcc_lo, s9, v23, vcc_lo
	s_delay_alu instid0(VALU_DEP_3)
	v_lshlrev_b64 v[22:23], 2, v[6:7]
	v_add_nc_u32_e32 v6, -1, v4
	v_add_co_u32 v17, vcc_lo, s10, v17
	v_add_co_ci_u32_e32 v18, vcc_lo, s11, v18, vcc_lo
	global_load_b32 v41, v[13:14], off
	v_lshlrev_b64 v[13:14], 2, v[6:7]
	v_add_nc_u32_e32 v6, -14, v4
	global_load_b32 v42, v[17:18], off
	v_add_co_u32 v17, vcc_lo, s8, v22
	v_add_co_ci_u32_e32 v18, vcc_lo, s9, v23, vcc_lo
	v_lshlrev_b64 v[22:23], 2, v[6:7]
	v_add_nc_u32_e32 v6, 6, v16
	v_add_co_u32 v13, vcc_lo, s8, v13
	v_add_co_ci_u32_e32 v14, vcc_lo, s9, v14, vcc_lo
	s_delay_alu instid0(VALU_DEP_3)
	v_lshlrev_b64 v[15:16], 2, v[6:7]
	v_add_nc_u32_e32 v6, -7, v4
	s_clause 0x1
	global_load_b32 v17, v[17:18], off
	global_load_b32 v18, v[13:14], off
	v_add_co_u32 v13, vcc_lo, s8, v22
	v_lshlrev_b64 v[5:6], 2, v[6:7]
	v_add_co_ci_u32_e32 v14, vcc_lo, s9, v23, vcc_lo
	v_add_co_u32 v15, vcc_lo, s10, v15
	v_add_co_ci_u32_e32 v16, vcc_lo, s11, v16, vcc_lo
	s_delay_alu instid0(VALU_DEP_4)
	v_add_co_u32 v5, vcc_lo, s8, v5
	v_add_co_ci_u32_e32 v6, vcc_lo, s9, v6, vcc_lo
	global_load_b32 v13, v[13:14], off
	global_load_b32 v14, v[15:16], off
	s_clause 0x1
	global_load_b32 v5, v[5:6], off
	global_load_b32 v6, v[20:21], off
	v_cmp_ge_i32_e32 vcc_lo, v2, v12
	v_add_nc_u32_e32 v4, 0x2a0, v4
	s_or_b32 s2, vcc_lo, s2
	s_waitcnt vmcnt(8)
	v_fmac_f32_e32 v10, v40, v38
	s_waitcnt vmcnt(6)
	v_fmac_f32_e32 v9, v41, v42
	;; [unrolled: 2-line block ×7, first 2 shown]
	s_and_not1_b32 exec_lo, exec_lo, s2
	s_cbranch_execnz .LBB28_15
; %bb.16:
	s_or_b32 exec_lo, exec_lo, s2
.LBB28_17:
	s_delay_alu instid0(SALU_CYCLE_1)
	s_or_b32 exec_lo, exec_lo, s3
.LBB28_18:
	v_mbcnt_lo_u32_b32 v2, -1, 0
	s_mov_b32 s2, -1
	s_delay_alu instid0(VALU_DEP_1) | instskip(SKIP_1) | instid1(VALU_DEP_2)
	v_xor_b32_e32 v3, 16, v2
	v_xor_b32_e32 v6, 8, v2
	v_cmp_gt_i32_e32 vcc_lo, 32, v3
	v_cndmask_b32_e32 v3, v2, v3, vcc_lo
	s_delay_alu instid0(VALU_DEP_3) | instskip(SKIP_1) | instid1(VALU_DEP_1)
	v_cmp_gt_i32_e32 vcc_lo, 32, v6
	v_cndmask_b32_e32 v6, v2, v6, vcc_lo
	v_lshlrev_b32_e32 v6, 2, v6
	s_delay_alu instid0(VALU_DEP_4)
	v_lshlrev_b32_e32 v3, 2, v3
	ds_bpermute_b32 v4, v3, v9
	s_waitcnt lgkmcnt(0)
	v_add_f32_e32 v4, v9, v4
	ds_bpermute_b32 v5, v3, v11
	ds_bpermute_b32 v3, v3, v10
	v_xor_b32_e32 v9, 4, v2
	ds_bpermute_b32 v7, v6, v4
	v_cmp_gt_i32_e32 vcc_lo, 32, v9
	v_cndmask_b32_e32 v9, v2, v9, vcc_lo
	s_waitcnt lgkmcnt(0)
	v_dual_add_f32 v5, v11, v5 :: v_dual_add_f32 v4, v4, v7
	v_add_f32_e32 v3, v10, v3
	ds_bpermute_b32 v8, v6, v5
	ds_bpermute_b32 v6, v6, v3
	s_waitcnt lgkmcnt(1)
	v_add_f32_e32 v5, v5, v8
	s_waitcnt lgkmcnt(0)
	v_add_f32_e32 v3, v3, v6
	v_lshlrev_b32_e32 v9, 2, v9
	ds_bpermute_b32 v6, v9, v4
	ds_bpermute_b32 v8, v9, v3
	s_waitcnt lgkmcnt(1)
	v_add_f32_e32 v4, v4, v6
	s_waitcnt lgkmcnt(0)
	v_add_f32_e32 v6, v3, v8
	ds_bpermute_b32 v7, v9, v5
	v_xor_b32_e32 v9, 2, v2
	s_delay_alu instid0(VALU_DEP_1) | instskip(SKIP_1) | instid1(VALU_DEP_1)
	v_cmp_gt_i32_e32 vcc_lo, 32, v9
	v_cndmask_b32_e32 v9, v2, v9, vcc_lo
	v_lshlrev_b32_e32 v9, 2, v9
	s_waitcnt lgkmcnt(0)
	v_add_f32_e32 v5, v5, v7
	ds_bpermute_b32 v3, v9, v4
	ds_bpermute_b32 v8, v9, v6
	;; [unrolled: 1-line block ×3, first 2 shown]
	v_xor_b32_e32 v9, 1, v2
	s_delay_alu instid0(VALU_DEP_1) | instskip(SKIP_3) | instid1(VALU_DEP_2)
	v_cmp_gt_i32_e32 vcc_lo, 32, v9
	v_cndmask_b32_e32 v2, v2, v9, vcc_lo
	v_cmp_eq_u32_e32 vcc_lo, 31, v0
	s_waitcnt lgkmcnt(2)
	v_dual_add_f32 v2, v4, v3 :: v_dual_lshlrev_b32 v9, 2, v2
	s_waitcnt lgkmcnt(0)
	v_dual_add_f32 v4, v6, v8 :: v_dual_add_f32 v3, v5, v7
	ds_bpermute_b32 v5, v9, v2
	ds_bpermute_b32 v7, v9, v4
	ds_bpermute_b32 v6, v9, v3
	s_and_b32 exec_lo, exec_lo, vcc_lo
	s_cbranch_execz .LBB28_23
; %bb.19:
	s_load_b64 s[0:1], s[0:1], 0x38
	s_waitcnt lgkmcnt(0)
	v_add_f32_e32 v0, v2, v5
	v_add_f32_e32 v2, v3, v6
	;; [unrolled: 1-line block ×3, first 2 shown]
	v_lshl_add_u32 v3, v1, 1, v1
	v_cmp_eq_f32_e64 s3, s12, 0
	s_delay_alu instid0(VALU_DEP_4) | instskip(NEXT) | instid1(VALU_DEP_4)
	v_dual_mul_f32 v1, s16, v2 :: v_dual_mul_f32 v0, s16, v0
	v_mul_f32_e32 v2, s16, v4
	s_delay_alu instid0(VALU_DEP_4) | instskip(NEXT) | instid1(VALU_DEP_4)
	v_ashrrev_i32_e32 v4, 31, v3
	s_and_b32 vcc_lo, exec_lo, s3
	s_cbranch_vccz .LBB28_21
; %bb.20:
	s_delay_alu instid0(VALU_DEP_1) | instskip(SKIP_1) | instid1(VALU_DEP_1)
	v_lshlrev_b64 v[5:6], 2, v[3:4]
	s_mov_b32 s2, 0
	v_add_co_u32 v5, vcc_lo, s0, v5
	s_delay_alu instid0(VALU_DEP_2)
	v_add_co_ci_u32_e32 v6, vcc_lo, s1, v6, vcc_lo
	global_store_b96 v[5:6], v[0:2], off
.LBB28_21:
	s_and_not1_b32 vcc_lo, exec_lo, s2
	s_cbranch_vccnz .LBB28_23
; %bb.22:
	v_lshlrev_b64 v[3:4], 2, v[3:4]
	s_delay_alu instid0(VALU_DEP_1) | instskip(NEXT) | instid1(VALU_DEP_2)
	v_add_co_u32 v6, vcc_lo, s0, v3
	v_add_co_ci_u32_e32 v7, vcc_lo, s1, v4, vcc_lo
	global_load_b96 v[3:5], v[6:7], off
	s_waitcnt vmcnt(0)
	v_dual_fmac_f32 v0, s12, v3 :: v_dual_fmac_f32 v1, s12, v4
	v_fmac_f32_e32 v2, s12, v5
	global_store_b96 v[6:7], v[0:2], off
.LBB28_23:
	s_nop 0
	s_sendmsg sendmsg(MSG_DEALLOC_VGPRS)
	s_endpgm
	.section	.rodata,"a",@progbits
	.p2align	6, 0x0
	.amdhsa_kernel _ZN9rocsparseL19gebsrmvn_3xn_kernelILj128ELj7ELj32EfEEvi20rocsparse_direction_NS_24const_host_device_scalarIT2_EEPKiS6_PKS3_S8_S4_PS3_21rocsparse_index_base_b
		.amdhsa_group_segment_fixed_size 0
		.amdhsa_private_segment_fixed_size 0
		.amdhsa_kernarg_size 72
		.amdhsa_user_sgpr_count 15
		.amdhsa_user_sgpr_dispatch_ptr 0
		.amdhsa_user_sgpr_queue_ptr 0
		.amdhsa_user_sgpr_kernarg_segment_ptr 1
		.amdhsa_user_sgpr_dispatch_id 0
		.amdhsa_user_sgpr_private_segment_size 0
		.amdhsa_wavefront_size32 1
		.amdhsa_uses_dynamic_stack 0
		.amdhsa_enable_private_segment 0
		.amdhsa_system_sgpr_workgroup_id_x 1
		.amdhsa_system_sgpr_workgroup_id_y 0
		.amdhsa_system_sgpr_workgroup_id_z 0
		.amdhsa_system_sgpr_workgroup_info 0
		.amdhsa_system_vgpr_workitem_id 0
		.amdhsa_next_free_vgpr 44
		.amdhsa_next_free_sgpr 20
		.amdhsa_reserve_vcc 1
		.amdhsa_float_round_mode_32 0
		.amdhsa_float_round_mode_16_64 0
		.amdhsa_float_denorm_mode_32 3
		.amdhsa_float_denorm_mode_16_64 3
		.amdhsa_dx10_clamp 1
		.amdhsa_ieee_mode 1
		.amdhsa_fp16_overflow 0
		.amdhsa_workgroup_processor_mode 1
		.amdhsa_memory_ordered 1
		.amdhsa_forward_progress 0
		.amdhsa_shared_vgpr_count 0
		.amdhsa_exception_fp_ieee_invalid_op 0
		.amdhsa_exception_fp_denorm_src 0
		.amdhsa_exception_fp_ieee_div_zero 0
		.amdhsa_exception_fp_ieee_overflow 0
		.amdhsa_exception_fp_ieee_underflow 0
		.amdhsa_exception_fp_ieee_inexact 0
		.amdhsa_exception_int_div_zero 0
	.end_amdhsa_kernel
	.section	.text._ZN9rocsparseL19gebsrmvn_3xn_kernelILj128ELj7ELj32EfEEvi20rocsparse_direction_NS_24const_host_device_scalarIT2_EEPKiS6_PKS3_S8_S4_PS3_21rocsparse_index_base_b,"axG",@progbits,_ZN9rocsparseL19gebsrmvn_3xn_kernelILj128ELj7ELj32EfEEvi20rocsparse_direction_NS_24const_host_device_scalarIT2_EEPKiS6_PKS3_S8_S4_PS3_21rocsparse_index_base_b,comdat
.Lfunc_end28:
	.size	_ZN9rocsparseL19gebsrmvn_3xn_kernelILj128ELj7ELj32EfEEvi20rocsparse_direction_NS_24const_host_device_scalarIT2_EEPKiS6_PKS3_S8_S4_PS3_21rocsparse_index_base_b, .Lfunc_end28-_ZN9rocsparseL19gebsrmvn_3xn_kernelILj128ELj7ELj32EfEEvi20rocsparse_direction_NS_24const_host_device_scalarIT2_EEPKiS6_PKS3_S8_S4_PS3_21rocsparse_index_base_b
                                        ; -- End function
	.section	.AMDGPU.csdata,"",@progbits
; Kernel info:
; codeLenInByte = 3372
; NumSgprs: 22
; NumVgprs: 44
; ScratchSize: 0
; MemoryBound: 0
; FloatMode: 240
; IeeeMode: 1
; LDSByteSize: 0 bytes/workgroup (compile time only)
; SGPRBlocks: 2
; VGPRBlocks: 5
; NumSGPRsForWavesPerEU: 22
; NumVGPRsForWavesPerEU: 44
; Occupancy: 16
; WaveLimiterHint : 1
; COMPUTE_PGM_RSRC2:SCRATCH_EN: 0
; COMPUTE_PGM_RSRC2:USER_SGPR: 15
; COMPUTE_PGM_RSRC2:TRAP_HANDLER: 0
; COMPUTE_PGM_RSRC2:TGID_X_EN: 1
; COMPUTE_PGM_RSRC2:TGID_Y_EN: 0
; COMPUTE_PGM_RSRC2:TGID_Z_EN: 0
; COMPUTE_PGM_RSRC2:TIDIG_COMP_CNT: 0
	.section	.text._ZN9rocsparseL19gebsrmvn_3xn_kernelILj128ELj7ELj64EfEEvi20rocsparse_direction_NS_24const_host_device_scalarIT2_EEPKiS6_PKS3_S8_S4_PS3_21rocsparse_index_base_b,"axG",@progbits,_ZN9rocsparseL19gebsrmvn_3xn_kernelILj128ELj7ELj64EfEEvi20rocsparse_direction_NS_24const_host_device_scalarIT2_EEPKiS6_PKS3_S8_S4_PS3_21rocsparse_index_base_b,comdat
	.globl	_ZN9rocsparseL19gebsrmvn_3xn_kernelILj128ELj7ELj64EfEEvi20rocsparse_direction_NS_24const_host_device_scalarIT2_EEPKiS6_PKS3_S8_S4_PS3_21rocsparse_index_base_b ; -- Begin function _ZN9rocsparseL19gebsrmvn_3xn_kernelILj128ELj7ELj64EfEEvi20rocsparse_direction_NS_24const_host_device_scalarIT2_EEPKiS6_PKS3_S8_S4_PS3_21rocsparse_index_base_b
	.p2align	8
	.type	_ZN9rocsparseL19gebsrmvn_3xn_kernelILj128ELj7ELj64EfEEvi20rocsparse_direction_NS_24const_host_device_scalarIT2_EEPKiS6_PKS3_S8_S4_PS3_21rocsparse_index_base_b,@function
_ZN9rocsparseL19gebsrmvn_3xn_kernelILj128ELj7ELj64EfEEvi20rocsparse_direction_NS_24const_host_device_scalarIT2_EEPKiS6_PKS3_S8_S4_PS3_21rocsparse_index_base_b: ; @_ZN9rocsparseL19gebsrmvn_3xn_kernelILj128ELj7ELj64EfEEvi20rocsparse_direction_NS_24const_host_device_scalarIT2_EEPKiS6_PKS3_S8_S4_PS3_21rocsparse_index_base_b
; %bb.0:
	s_clause 0x2
	s_load_b64 s[18:19], s[0:1], 0x40
	s_load_b64 s[16:17], s[0:1], 0x8
	s_load_b64 s[12:13], s[0:1], 0x30
	s_waitcnt lgkmcnt(0)
	s_bitcmp1_b32 s19, 0
	s_cselect_b32 s2, -1, 0
	s_delay_alu instid0(SALU_CYCLE_1)
	s_and_b32 vcc_lo, exec_lo, s2
	s_xor_b32 s2, s2, -1
	s_cbranch_vccnz .LBB29_2
; %bb.1:
	s_load_b32 s16, s[16:17], 0x0
.LBB29_2:
	s_and_not1_b32 vcc_lo, exec_lo, s2
	s_cbranch_vccnz .LBB29_4
; %bb.3:
	s_load_b32 s12, s[12:13], 0x0
.LBB29_4:
	s_waitcnt lgkmcnt(0)
	v_cmp_eq_f32_e64 s2, s16, 0
	v_cmp_eq_f32_e64 s3, s12, 1.0
	s_delay_alu instid0(VALU_DEP_1) | instskip(NEXT) | instid1(SALU_CYCLE_1)
	s_and_b32 s2, s2, s3
	s_and_b32 vcc_lo, exec_lo, s2
	s_cbranch_vccnz .LBB29_23
; %bb.5:
	s_load_b64 s[2:3], s[0:1], 0x0
	v_lshrrev_b32_e32 v1, 6, v0
	s_delay_alu instid0(VALU_DEP_1) | instskip(SKIP_1) | instid1(VALU_DEP_1)
	v_lshl_or_b32 v1, s15, 1, v1
	s_waitcnt lgkmcnt(0)
	v_cmp_gt_i32_e32 vcc_lo, s2, v1
	s_and_saveexec_b32 s2, vcc_lo
	s_cbranch_execz .LBB29_23
; %bb.6:
	s_load_b256 s[4:11], s[0:1], 0x10
	v_ashrrev_i32_e32 v2, 31, v1
	v_and_b32_e32 v0, 63, v0
	s_cmp_lg_u32 s3, 0
	s_delay_alu instid0(VALU_DEP_2) | instskip(SKIP_1) | instid1(VALU_DEP_1)
	v_lshlrev_b64 v[2:3], 2, v[1:2]
	s_waitcnt lgkmcnt(0)
	v_add_co_u32 v2, vcc_lo, s4, v2
	s_delay_alu instid0(VALU_DEP_2) | instskip(SKIP_4) | instid1(VALU_DEP_2)
	v_add_co_ci_u32_e32 v3, vcc_lo, s5, v3, vcc_lo
	global_load_b64 v[2:3], v[2:3], off
	s_waitcnt vmcnt(0)
	v_subrev_nc_u32_e32 v2, s18, v2
	v_subrev_nc_u32_e32 v12, s18, v3
	v_add_nc_u32_e32 v2, v2, v0
	s_delay_alu instid0(VALU_DEP_1)
	v_cmp_lt_i32_e64 s2, v2, v12
	s_cbranch_scc0 .LBB29_12
; %bb.7:
	v_dual_mov_b32 v9, 0 :: v_dual_mov_b32 v10, 0
	v_mov_b32_e32 v11, 0
	s_mov_b32 s3, 0
	s_and_saveexec_b32 s4, s2
	s_cbranch_execz .LBB29_11
; %bb.8:
	v_mad_u64_u32 v[3:4], null, v2, 21, 20
	v_dual_mov_b32 v6, 0 :: v_dual_mov_b32 v7, v2
	v_dual_mov_b32 v9, 0 :: v_dual_mov_b32 v10, 0
	v_mov_b32_e32 v11, 0
	s_mov_b32 s5, 0
.LBB29_9:                               ; =>This Inner Loop Header: Depth=1
	s_delay_alu instid0(VALU_DEP_3) | instskip(NEXT) | instid1(VALU_DEP_1)
	v_ashrrev_i32_e32 v8, 31, v7
	v_lshlrev_b64 v[4:5], 2, v[7:8]
	v_add_nc_u32_e32 v7, 64, v7
	s_delay_alu instid0(VALU_DEP_2) | instskip(NEXT) | instid1(VALU_DEP_3)
	v_add_co_u32 v4, vcc_lo, s6, v4
	v_add_co_ci_u32_e32 v5, vcc_lo, s7, v5, vcc_lo
	global_load_b32 v8, v[4:5], off
	v_subrev_nc_u32_e32 v5, 20, v3
	v_mov_b32_e32 v4, v6
	s_delay_alu instid0(VALU_DEP_2) | instskip(SKIP_1) | instid1(VALU_DEP_3)
	v_lshlrev_b64 v[15:16], 2, v[5:6]
	v_subrev_nc_u32_e32 v5, 19, v3
	v_lshlrev_b64 v[17:18], 2, v[3:4]
	s_delay_alu instid0(VALU_DEP_2)
	v_lshlrev_b64 v[19:20], 2, v[5:6]
	v_subrev_nc_u32_e32 v5, 18, v3
	v_add_co_u32 v15, vcc_lo, s8, v15
	v_add_co_ci_u32_e32 v16, vcc_lo, s9, v16, vcc_lo
	v_add_co_u32 v17, vcc_lo, s8, v17
	v_add_co_ci_u32_e32 v18, vcc_lo, s9, v18, vcc_lo
	v_lshlrev_b64 v[21:22], 2, v[5:6]
	v_subrev_nc_u32_e32 v5, 17, v3
	v_add_co_u32 v19, vcc_lo, s8, v19
	v_add_co_ci_u32_e32 v20, vcc_lo, s9, v20, vcc_lo
	s_delay_alu instid0(VALU_DEP_3)
	v_lshlrev_b64 v[4:5], 2, v[5:6]
	s_clause 0x1
	global_load_b32 v23, v[15:16], off
	global_load_b32 v24, v[19:20], off
	v_add_co_u32 v15, vcc_lo, s8, v21
	v_add_co_ci_u32_e32 v16, vcc_lo, s9, v22, vcc_lo
	v_add_co_u32 v4, vcc_lo, s8, v4
	v_add_co_ci_u32_e32 v5, vcc_lo, s9, v5, vcc_lo
	s_clause 0x1
	global_load_b32 v25, v[15:16], off
	global_load_b32 v26, v[4:5], off
	s_waitcnt vmcnt(4)
	v_subrev_nc_u32_e32 v4, s18, v8
	s_delay_alu instid0(VALU_DEP_1) | instskip(NEXT) | instid1(VALU_DEP_1)
	v_mul_lo_u32 v13, v4, 7
	v_dual_mov_b32 v14, v6 :: v_dual_add_nc_u32 v5, 1, v13
	s_delay_alu instid0(VALU_DEP_1) | instskip(NEXT) | instid1(VALU_DEP_2)
	v_lshlrev_b64 v[14:15], 2, v[13:14]
	v_lshlrev_b64 v[19:20], 2, v[5:6]
	v_add_nc_u32_e32 v5, -16, v3
	s_delay_alu instid0(VALU_DEP_3) | instskip(NEXT) | instid1(VALU_DEP_4)
	v_add_co_u32 v14, vcc_lo, s10, v14
	v_add_co_ci_u32_e32 v15, vcc_lo, s11, v15, vcc_lo
	s_delay_alu instid0(VALU_DEP_4)
	v_add_co_u32 v19, vcc_lo, s10, v19
	v_add_co_ci_u32_e32 v20, vcc_lo, s11, v20, vcc_lo
	global_load_b32 v8, v[14:15], off
	v_lshlrev_b64 v[21:22], 2, v[5:6]
	global_load_b32 v27, v[19:20], off
	v_add_nc_u32_e32 v5, -15, v3
	v_add_co_u32 v19, vcc_lo, s8, v21
	v_add_co_ci_u32_e32 v20, vcc_lo, s9, v22, vcc_lo
	global_load_b32 v28, v[19:20], off
	s_waitcnt vmcnt(2)
	v_fmac_f32_e32 v10, v25, v8
	v_lshlrev_b64 v[14:15], 2, v[5:6]
	v_add_nc_u32_e32 v5, -14, v3
	v_fmac_f32_e32 v11, v24, v8
	s_delay_alu instid0(VALU_DEP_3) | instskip(NEXT) | instid1(VALU_DEP_4)
	v_add_co_u32 v14, vcc_lo, s8, v14
	v_add_co_ci_u32_e32 v15, vcc_lo, s9, v15, vcc_lo
	s_delay_alu instid0(VALU_DEP_4)
	v_lshlrev_b64 v[21:22], 2, v[5:6]
	global_load_b32 v29, v[14:15], off
	v_add_nc_u32_e32 v5, 2, v13
	s_waitcnt vmcnt(1)
	v_fmac_f32_e32 v11, v28, v27
	v_add_co_u32 v14, vcc_lo, s8, v21
	v_add_co_ci_u32_e32 v15, vcc_lo, s9, v22, vcc_lo
	global_load_b32 v30, v[14:15], off
	s_waitcnt vmcnt(1)
	v_fmac_f32_e32 v10, v29, v27
	v_lshlrev_b64 v[19:20], 2, v[5:6]
	v_add_nc_u32_e32 v5, -13, v3
	s_delay_alu instid0(VALU_DEP_1) | instskip(SKIP_1) | instid1(VALU_DEP_4)
	v_lshlrev_b64 v[21:22], 2, v[5:6]
	v_add_nc_u32_e32 v5, -12, v3
	v_add_co_u32 v19, vcc_lo, s10, v19
	v_add_co_ci_u32_e32 v20, vcc_lo, s11, v20, vcc_lo
	s_delay_alu instid0(VALU_DEP_3)
	v_lshlrev_b64 v[14:15], 2, v[5:6]
	v_add_nc_u32_e32 v5, -11, v3
	global_load_b32 v31, v[19:20], off
	v_add_co_u32 v19, vcc_lo, s8, v21
	v_add_co_ci_u32_e32 v20, vcc_lo, s9, v22, vcc_lo
	v_add_co_u32 v14, vcc_lo, s8, v14
	v_add_co_ci_u32_e32 v15, vcc_lo, s9, v15, vcc_lo
	global_load_b32 v32, v[19:20], off
	v_lshlrev_b64 v[21:22], 2, v[5:6]
	global_load_b32 v33, v[14:15], off
	v_add_nc_u32_e32 v5, 3, v13
	v_add_co_u32 v14, vcc_lo, s8, v21
	v_add_co_ci_u32_e32 v15, vcc_lo, s9, v22, vcc_lo
	global_load_b32 v34, v[14:15], off
	s_waitcnt vmcnt(2)
	v_fmac_f32_e32 v11, v32, v31
	s_waitcnt vmcnt(1)
	v_fmac_f32_e32 v10, v33, v31
	v_lshlrev_b64 v[19:20], 2, v[5:6]
	v_add_nc_u32_e32 v5, -10, v3
	s_delay_alu instid0(VALU_DEP_1) | instskip(SKIP_1) | instid1(VALU_DEP_4)
	v_lshlrev_b64 v[21:22], 2, v[5:6]
	v_add_nc_u32_e32 v5, -9, v3
	v_add_co_u32 v19, vcc_lo, s10, v19
	v_add_co_ci_u32_e32 v20, vcc_lo, s11, v20, vcc_lo
	s_delay_alu instid0(VALU_DEP_3)
	v_lshlrev_b64 v[14:15], 2, v[5:6]
	v_add_nc_u32_e32 v5, -8, v3
	global_load_b32 v35, v[19:20], off
	v_add_co_u32 v19, vcc_lo, s8, v21
	v_add_co_ci_u32_e32 v20, vcc_lo, s9, v22, vcc_lo
	v_add_co_u32 v14, vcc_lo, s8, v14
	v_add_co_ci_u32_e32 v15, vcc_lo, s9, v15, vcc_lo
	global_load_b32 v36, v[19:20], off
	v_lshlrev_b64 v[21:22], 2, v[5:6]
	global_load_b32 v37, v[14:15], off
	v_add_nc_u32_e32 v5, 4, v13
	v_add_co_u32 v14, vcc_lo, s8, v21
	v_add_co_ci_u32_e32 v15, vcc_lo, s9, v22, vcc_lo
	global_load_b32 v38, v[14:15], off
	s_waitcnt vmcnt(2)
	v_fmac_f32_e32 v11, v36, v35
	;; [unrolled: 26-line block ×3, first 2 shown]
	s_waitcnt vmcnt(1)
	v_fmac_f32_e32 v10, v41, v39
	v_lshlrev_b64 v[19:20], 2, v[5:6]
	v_add_nc_u32_e32 v5, -4, v3
	s_delay_alu instid0(VALU_DEP_1) | instskip(SKIP_1) | instid1(VALU_DEP_4)
	v_lshlrev_b64 v[21:22], 2, v[5:6]
	v_add_nc_u32_e32 v5, -3, v3
	v_add_co_u32 v19, vcc_lo, s10, v19
	v_add_co_ci_u32_e32 v20, vcc_lo, s11, v20, vcc_lo
	s_delay_alu instid0(VALU_DEP_3)
	v_lshlrev_b64 v[14:15], 2, v[5:6]
	v_add_nc_u32_e32 v5, -2, v3
	global_load_b32 v43, v[19:20], off
	v_add_co_u32 v19, vcc_lo, s8, v21
	v_add_co_ci_u32_e32 v20, vcc_lo, s9, v22, vcc_lo
	v_lshlrev_b64 v[21:22], 2, v[5:6]
	v_add_nc_u32_e32 v5, 6, v13
	v_add_co_u32 v13, vcc_lo, s8, v14
	v_add_co_ci_u32_e32 v14, vcc_lo, s9, v15, vcc_lo
	s_clause 0x1
	global_load_b32 v19, v[19:20], off
	global_load_b32 v20, v[13:14], off
	v_add_co_u32 v13, vcc_lo, s8, v21
	v_add_co_ci_u32_e32 v14, vcc_lo, s9, v22, vcc_lo
	s_waitcnt vmcnt(1)
	v_fmac_f32_e32 v11, v19, v43
	s_waitcnt vmcnt(0)
	v_fmac_f32_e32 v10, v20, v43
	v_lshlrev_b64 v[15:16], 2, v[5:6]
	v_add_nc_u32_e32 v5, -1, v3
	v_add_nc_u32_e32 v3, 0x540, v3
	s_delay_alu instid0(VALU_DEP_2) | instskip(NEXT) | instid1(VALU_DEP_4)
	v_lshlrev_b64 v[4:5], 2, v[5:6]
	v_add_co_u32 v15, vcc_lo, s10, v15
	v_add_co_ci_u32_e32 v16, vcc_lo, s11, v16, vcc_lo
	s_delay_alu instid0(VALU_DEP_3) | instskip(NEXT) | instid1(VALU_DEP_4)
	v_add_co_u32 v4, vcc_lo, s8, v4
	v_add_co_ci_u32_e32 v5, vcc_lo, s9, v5, vcc_lo
	global_load_b32 v13, v[13:14], off
	global_load_b32 v14, v[15:16], off
	s_clause 0x1
	global_load_b32 v4, v[4:5], off
	global_load_b32 v5, v[17:18], off
	v_fmac_f32_e32 v9, v23, v8
	v_cmp_ge_i32_e32 vcc_lo, v7, v12
	s_or_b32 s5, vcc_lo, s5
	s_waitcnt vmcnt(1)
	v_fmac_f32_e32 v11, v4, v14
	s_waitcnt vmcnt(0)
	v_dual_fmac_f32 v10, v5, v14 :: v_dual_fmac_f32 v9, v26, v27
	s_delay_alu instid0(VALU_DEP_1) | instskip(NEXT) | instid1(VALU_DEP_1)
	v_fmac_f32_e32 v9, v30, v31
	v_fmac_f32_e32 v9, v34, v35
	s_delay_alu instid0(VALU_DEP_1) | instskip(NEXT) | instid1(VALU_DEP_1)
	v_fmac_f32_e32 v9, v38, v39
	v_fmac_f32_e32 v9, v42, v43
	s_delay_alu instid0(VALU_DEP_1)
	v_fmac_f32_e32 v9, v13, v14
	s_and_not1_b32 exec_lo, exec_lo, s5
	s_cbranch_execnz .LBB29_9
; %bb.10:
	s_or_b32 exec_lo, exec_lo, s5
.LBB29_11:
	s_delay_alu instid0(SALU_CYCLE_1) | instskip(NEXT) | instid1(SALU_CYCLE_1)
	s_or_b32 exec_lo, exec_lo, s4
	s_and_not1_b32 vcc_lo, exec_lo, s3
	s_cbranch_vccz .LBB29_13
	s_branch .LBB29_18
.LBB29_12:
                                        ; implicit-def: $vgpr9
                                        ; implicit-def: $vgpr10
                                        ; implicit-def: $vgpr11
.LBB29_13:
	v_dual_mov_b32 v9, 0 :: v_dual_mov_b32 v10, 0
	v_mov_b32_e32 v11, 0
	s_delay_alu instid0(VALU_DEP_3)
	s_and_saveexec_b32 s3, s2
	s_cbranch_execz .LBB29_17
; %bb.14:
	v_mad_u64_u32 v[4:5], null, v2, 21, 20
	v_dual_mov_b32 v7, 0 :: v_dual_mov_b32 v10, 0
	v_mov_b32_e32 v9, 0
	v_mov_b32_e32 v11, 0
	s_mov_b32 s2, 0
.LBB29_15:                              ; =>This Inner Loop Header: Depth=1
	v_ashrrev_i32_e32 v3, 31, v2
	v_dual_mov_b32 v14, v7 :: v_dual_add_nc_u32 v13, -13, v4
	v_dual_mov_b32 v16, v7 :: v_dual_add_nc_u32 v15, -6, v4
	s_delay_alu instid0(VALU_DEP_3) | instskip(SKIP_1) | instid1(VALU_DEP_4)
	v_lshlrev_b64 v[5:6], 2, v[2:3]
	v_add_nc_u32_e32 v2, 64, v2
	v_lshlrev_b64 v[13:14], 2, v[13:14]
	s_delay_alu instid0(VALU_DEP_4) | instskip(NEXT) | instid1(VALU_DEP_4)
	v_lshlrev_b64 v[15:16], 2, v[15:16]
	v_add_co_u32 v5, vcc_lo, s6, v5
	v_add_co_ci_u32_e32 v6, vcc_lo, s7, v6, vcc_lo
	global_load_b32 v3, v[5:6], off
	v_subrev_nc_u32_e32 v6, 20, v4
	v_mov_b32_e32 v5, v7
	s_delay_alu instid0(VALU_DEP_2) | instskip(SKIP_1) | instid1(VALU_DEP_3)
	v_lshlrev_b64 v[18:19], 2, v[6:7]
	v_subrev_nc_u32_e32 v6, 19, v4
	v_lshlrev_b64 v[20:21], 2, v[4:5]
	s_delay_alu instid0(VALU_DEP_2) | instskip(NEXT) | instid1(VALU_DEP_4)
	v_lshlrev_b64 v[5:6], 2, v[6:7]
	v_add_co_u32 v18, vcc_lo, s8, v18
	v_add_co_ci_u32_e32 v19, vcc_lo, s9, v19, vcc_lo
	v_add_co_u32 v13, vcc_lo, s8, v13
	v_add_co_ci_u32_e32 v14, vcc_lo, s9, v14, vcc_lo
	;; [unrolled: 2-line block ×5, first 2 shown]
	s_clause 0x3
	global_load_b32 v8, v[18:19], off
	global_load_b32 v19, v[13:14], off
	;; [unrolled: 1-line block ×4, first 2 shown]
	s_waitcnt vmcnt(4)
	v_subrev_nc_u32_e32 v3, s18, v3
	s_delay_alu instid0(VALU_DEP_1) | instskip(NEXT) | instid1(VALU_DEP_1)
	v_mul_lo_u32 v16, v3, 7
	v_dual_mov_b32 v17, v7 :: v_dual_add_nc_u32 v6, 1, v16
	s_delay_alu instid0(VALU_DEP_1) | instskip(NEXT) | instid1(VALU_DEP_2)
	v_lshlrev_b64 v[13:14], 2, v[16:17]
	v_lshlrev_b64 v[17:18], 2, v[6:7]
	v_add_nc_u32_e32 v6, -12, v4
	s_delay_alu instid0(VALU_DEP_3) | instskip(NEXT) | instid1(VALU_DEP_4)
	v_add_co_u32 v13, vcc_lo, s10, v13
	v_add_co_ci_u32_e32 v14, vcc_lo, s11, v14, vcc_lo
	s_delay_alu instid0(VALU_DEP_4)
	v_add_co_u32 v17, vcc_lo, s10, v17
	v_add_co_ci_u32_e32 v18, vcc_lo, s11, v18, vcc_lo
	global_load_b32 v3, v[13:14], off
	v_lshlrev_b64 v[22:23], 2, v[6:7]
	global_load_b32 v26, v[17:18], off
	v_add_nc_u32_e32 v6, -5, v4
	v_add_co_u32 v17, vcc_lo, s8, v22
	v_add_co_ci_u32_e32 v18, vcc_lo, s9, v23, vcc_lo
	global_load_b32 v27, v[17:18], off
	s_waitcnt vmcnt(2)
	v_fmac_f32_e32 v9, v8, v3
	v_lshlrev_b64 v[13:14], 2, v[6:7]
	v_subrev_nc_u32_e32 v6, 18, v4
	v_fmac_f32_e32 v11, v19, v3
	s_waitcnt vmcnt(1)
	v_dual_fmac_f32 v10, v24, v3 :: v_dual_fmac_f32 v9, v25, v26
	s_delay_alu instid0(VALU_DEP_4)
	v_add_co_u32 v13, vcc_lo, s8, v13
	v_lshlrev_b64 v[22:23], 2, v[6:7]
	v_add_nc_u32_e32 v6, 2, v16
	v_add_co_ci_u32_e32 v14, vcc_lo, s9, v14, vcc_lo
	global_load_b32 v28, v[13:14], off
	v_lshlrev_b64 v[17:18], 2, v[6:7]
	v_add_co_u32 v13, vcc_lo, s8, v22
	v_add_co_ci_u32_e32 v14, vcc_lo, s9, v23, vcc_lo
	v_add_nc_u32_e32 v6, -11, v4
	s_delay_alu instid0(VALU_DEP_4)
	v_add_co_u32 v17, vcc_lo, s10, v17
	v_add_co_ci_u32_e32 v18, vcc_lo, s11, v18, vcc_lo
	global_load_b32 v29, v[13:14], off
	v_lshlrev_b64 v[22:23], 2, v[6:7]
	s_waitcnt vmcnt(2)
	v_dual_fmac_f32 v11, v27, v26 :: v_dual_add_nc_u32 v6, -4, v4
	global_load_b32 v30, v[17:18], off
	v_add_co_u32 v17, vcc_lo, s8, v22
	v_add_co_ci_u32_e32 v18, vcc_lo, s9, v23, vcc_lo
	v_lshlrev_b64 v[13:14], 2, v[6:7]
	v_subrev_nc_u32_e32 v6, 17, v4
	global_load_b32 v31, v[17:18], off
	v_add_co_u32 v13, vcc_lo, s8, v13
	v_lshlrev_b64 v[22:23], 2, v[6:7]
	v_add_nc_u32_e32 v6, 3, v16
	v_add_co_ci_u32_e32 v14, vcc_lo, s9, v14, vcc_lo
	global_load_b32 v32, v[13:14], off
	v_add_co_u32 v13, vcc_lo, s8, v22
	v_add_co_ci_u32_e32 v14, vcc_lo, s9, v23, vcc_lo
	global_load_b32 v33, v[13:14], off
	s_waitcnt vmcnt(5)
	v_fmac_f32_e32 v10, v28, v26
	s_waitcnt vmcnt(3)
	v_fmac_f32_e32 v9, v29, v30
	v_lshlrev_b64 v[17:18], 2, v[6:7]
	v_add_nc_u32_e32 v6, -10, v4
	s_delay_alu instid0(VALU_DEP_2) | instskip(NEXT) | instid1(VALU_DEP_3)
	v_add_co_u32 v17, vcc_lo, s10, v17
	v_add_co_ci_u32_e32 v18, vcc_lo, s11, v18, vcc_lo
	s_waitcnt vmcnt(2)
	v_fmac_f32_e32 v11, v31, v30
	v_lshlrev_b64 v[22:23], 2, v[6:7]
	global_load_b32 v34, v[17:18], off
	v_add_nc_u32_e32 v6, -3, v4
	v_add_co_u32 v17, vcc_lo, s8, v22
	v_add_co_ci_u32_e32 v18, vcc_lo, s9, v23, vcc_lo
	s_waitcnt vmcnt(2)
	v_fmac_f32_e32 v10, v32, v30
	global_load_b32 v35, v[17:18], off
	s_waitcnt vmcnt(1)
	v_fmac_f32_e32 v9, v33, v34
	v_lshlrev_b64 v[13:14], 2, v[6:7]
	s_delay_alu instid0(VALU_DEP_1) | instskip(NEXT) | instid1(VALU_DEP_2)
	v_add_co_u32 v13, vcc_lo, s8, v13
	v_add_co_ci_u32_e32 v14, vcc_lo, s9, v14, vcc_lo
	global_load_b32 v36, v[13:14], off
	s_waitcnt vmcnt(1)
	v_dual_fmac_f32 v11, v35, v34 :: v_dual_add_nc_u32 v6, -16, v4
	s_delay_alu instid0(VALU_DEP_1) | instskip(NEXT) | instid1(VALU_DEP_1)
	v_lshlrev_b64 v[22:23], 2, v[6:7]
	v_add_co_u32 v13, vcc_lo, s8, v22
	s_delay_alu instid0(VALU_DEP_2) | instskip(SKIP_2) | instid1(VALU_DEP_1)
	v_add_co_ci_u32_e32 v14, vcc_lo, s9, v23, vcc_lo
	global_load_b32 v37, v[13:14], off
	v_add_nc_u32_e32 v6, 4, v16
	v_lshlrev_b64 v[17:18], 2, v[6:7]
	s_delay_alu instid0(VALU_DEP_1) | instskip(NEXT) | instid1(VALU_DEP_2)
	v_add_co_u32 v17, vcc_lo, s10, v17
	v_add_co_ci_u32_e32 v18, vcc_lo, s11, v18, vcc_lo
	global_load_b32 v38, v[17:18], off
	v_add_nc_u32_e32 v6, -9, v4
	s_delay_alu instid0(VALU_DEP_1) | instskip(NEXT) | instid1(VALU_DEP_1)
	v_lshlrev_b64 v[22:23], 2, v[6:7]
	v_add_co_u32 v17, vcc_lo, s8, v22
	s_delay_alu instid0(VALU_DEP_2)
	v_add_co_ci_u32_e32 v18, vcc_lo, s9, v23, vcc_lo
	global_load_b32 v39, v[17:18], off
	s_waitcnt vmcnt(3)
	v_fmac_f32_e32 v10, v36, v34
	s_waitcnt vmcnt(1)
	v_dual_fmac_f32 v9, v37, v38 :: v_dual_add_nc_u32 v6, -2, v4
	s_delay_alu instid0(VALU_DEP_1) | instskip(NEXT) | instid1(VALU_DEP_1)
	v_lshlrev_b64 v[13:14], 2, v[6:7]
	v_add_co_u32 v13, vcc_lo, s8, v13
	s_delay_alu instid0(VALU_DEP_2) | instskip(SKIP_3) | instid1(VALU_DEP_1)
	v_add_co_ci_u32_e32 v14, vcc_lo, s9, v14, vcc_lo
	global_load_b32 v40, v[13:14], off
	s_waitcnt vmcnt(1)
	v_dual_fmac_f32 v11, v39, v38 :: v_dual_add_nc_u32 v6, -15, v4
	v_lshlrev_b64 v[22:23], 2, v[6:7]
	v_add_nc_u32_e32 v6, 5, v16
	s_delay_alu instid0(VALU_DEP_1) | instskip(SKIP_1) | instid1(VALU_DEP_4)
	v_lshlrev_b64 v[17:18], 2, v[6:7]
	v_add_nc_u32_e32 v6, -8, v4
	v_add_co_u32 v13, vcc_lo, s8, v22
	v_add_co_ci_u32_e32 v14, vcc_lo, s9, v23, vcc_lo
	s_delay_alu instid0(VALU_DEP_3)
	v_lshlrev_b64 v[22:23], 2, v[6:7]
	v_add_nc_u32_e32 v6, -1, v4
	v_add_co_u32 v17, vcc_lo, s10, v17
	v_add_co_ci_u32_e32 v18, vcc_lo, s11, v18, vcc_lo
	global_load_b32 v41, v[13:14], off
	v_lshlrev_b64 v[13:14], 2, v[6:7]
	v_add_nc_u32_e32 v6, -14, v4
	global_load_b32 v42, v[17:18], off
	v_add_co_u32 v17, vcc_lo, s8, v22
	v_add_co_ci_u32_e32 v18, vcc_lo, s9, v23, vcc_lo
	v_lshlrev_b64 v[22:23], 2, v[6:7]
	v_add_nc_u32_e32 v6, 6, v16
	v_add_co_u32 v13, vcc_lo, s8, v13
	v_add_co_ci_u32_e32 v14, vcc_lo, s9, v14, vcc_lo
	s_delay_alu instid0(VALU_DEP_3)
	v_lshlrev_b64 v[15:16], 2, v[6:7]
	v_add_nc_u32_e32 v6, -7, v4
	s_clause 0x1
	global_load_b32 v17, v[17:18], off
	global_load_b32 v18, v[13:14], off
	v_add_co_u32 v13, vcc_lo, s8, v22
	v_lshlrev_b64 v[5:6], 2, v[6:7]
	v_add_co_ci_u32_e32 v14, vcc_lo, s9, v23, vcc_lo
	v_add_co_u32 v15, vcc_lo, s10, v15
	v_add_co_ci_u32_e32 v16, vcc_lo, s11, v16, vcc_lo
	s_delay_alu instid0(VALU_DEP_4)
	v_add_co_u32 v5, vcc_lo, s8, v5
	v_add_co_ci_u32_e32 v6, vcc_lo, s9, v6, vcc_lo
	global_load_b32 v13, v[13:14], off
	global_load_b32 v14, v[15:16], off
	s_clause 0x1
	global_load_b32 v5, v[5:6], off
	global_load_b32 v6, v[20:21], off
	v_cmp_ge_i32_e32 vcc_lo, v2, v12
	v_add_nc_u32_e32 v4, 0x540, v4
	s_or_b32 s2, vcc_lo, s2
	s_waitcnt vmcnt(8)
	v_fmac_f32_e32 v10, v40, v38
	s_waitcnt vmcnt(6)
	v_fmac_f32_e32 v9, v41, v42
	;; [unrolled: 2-line block ×7, first 2 shown]
	s_and_not1_b32 exec_lo, exec_lo, s2
	s_cbranch_execnz .LBB29_15
; %bb.16:
	s_or_b32 exec_lo, exec_lo, s2
.LBB29_17:
	s_delay_alu instid0(SALU_CYCLE_1)
	s_or_b32 exec_lo, exec_lo, s3
.LBB29_18:
	v_mbcnt_lo_u32_b32 v2, -1, 0
	s_mov_b32 s2, -1
	s_delay_alu instid0(VALU_DEP_1) | instskip(SKIP_1) | instid1(VALU_DEP_2)
	v_or_b32_e32 v3, 32, v2
	v_xor_b32_e32 v6, 16, v2
	v_cmp_gt_i32_e32 vcc_lo, 32, v3
	v_cndmask_b32_e32 v3, v2, v3, vcc_lo
	s_delay_alu instid0(VALU_DEP_3) | instskip(SKIP_1) | instid1(VALU_DEP_1)
	v_cmp_gt_i32_e32 vcc_lo, 32, v6
	v_cndmask_b32_e32 v6, v2, v6, vcc_lo
	v_lshlrev_b32_e32 v6, 2, v6
	s_delay_alu instid0(VALU_DEP_4)
	v_lshlrev_b32_e32 v3, 2, v3
	ds_bpermute_b32 v4, v3, v9
	s_waitcnt lgkmcnt(0)
	v_add_f32_e32 v4, v9, v4
	ds_bpermute_b32 v5, v3, v11
	ds_bpermute_b32 v3, v3, v10
	v_xor_b32_e32 v9, 8, v2
	ds_bpermute_b32 v7, v6, v4
	v_cmp_gt_i32_e32 vcc_lo, 32, v9
	v_cndmask_b32_e32 v9, v2, v9, vcc_lo
	s_waitcnt lgkmcnt(0)
	v_dual_add_f32 v5, v11, v5 :: v_dual_add_f32 v4, v4, v7
	v_add_f32_e32 v3, v10, v3
	ds_bpermute_b32 v8, v6, v5
	v_lshlrev_b32_e32 v9, 2, v9
	ds_bpermute_b32 v6, v6, v3
	s_waitcnt lgkmcnt(1)
	v_add_f32_e32 v5, v5, v8
	s_waitcnt lgkmcnt(0)
	v_add_f32_e32 v3, v3, v6
	ds_bpermute_b32 v6, v9, v4
	ds_bpermute_b32 v7, v9, v5
	;; [unrolled: 1-line block ×3, first 2 shown]
	v_xor_b32_e32 v9, 4, v2
	s_delay_alu instid0(VALU_DEP_1)
	v_cmp_gt_i32_e32 vcc_lo, 32, v9
	s_waitcnt lgkmcnt(1)
	v_dual_add_f32 v4, v4, v6 :: v_dual_add_f32 v5, v5, v7
	s_waitcnt lgkmcnt(0)
	v_add_f32_e32 v3, v3, v8
	v_cndmask_b32_e32 v9, v2, v9, vcc_lo
	s_delay_alu instid0(VALU_DEP_1) | instskip(SKIP_4) | instid1(VALU_DEP_1)
	v_lshlrev_b32_e32 v9, 2, v9
	ds_bpermute_b32 v6, v9, v4
	ds_bpermute_b32 v7, v9, v5
	;; [unrolled: 1-line block ×3, first 2 shown]
	v_xor_b32_e32 v9, 2, v2
	v_cmp_gt_i32_e32 vcc_lo, 32, v9
	v_cndmask_b32_e32 v9, v2, v9, vcc_lo
	s_waitcnt lgkmcnt(2)
	s_delay_alu instid0(VALU_DEP_1)
	v_dual_add_f32 v4, v4, v6 :: v_dual_lshlrev_b32 v9, 2, v9
	s_waitcnt lgkmcnt(0)
	v_dual_add_f32 v5, v5, v7 :: v_dual_add_f32 v6, v3, v8
	ds_bpermute_b32 v3, v9, v4
	ds_bpermute_b32 v7, v9, v5
	;; [unrolled: 1-line block ×3, first 2 shown]
	v_xor_b32_e32 v9, 1, v2
	s_delay_alu instid0(VALU_DEP_1) | instskip(SKIP_3) | instid1(VALU_DEP_2)
	v_cmp_gt_i32_e32 vcc_lo, 32, v9
	v_cndmask_b32_e32 v2, v2, v9, vcc_lo
	v_cmp_eq_u32_e32 vcc_lo, 63, v0
	s_waitcnt lgkmcnt(2)
	v_dual_add_f32 v2, v4, v3 :: v_dual_lshlrev_b32 v9, 2, v2
	s_waitcnt lgkmcnt(0)
	v_dual_add_f32 v3, v5, v7 :: v_dual_add_f32 v4, v6, v8
	ds_bpermute_b32 v5, v9, v2
	ds_bpermute_b32 v6, v9, v3
	;; [unrolled: 1-line block ×3, first 2 shown]
	s_and_b32 exec_lo, exec_lo, vcc_lo
	s_cbranch_execz .LBB29_23
; %bb.19:
	s_load_b64 s[0:1], s[0:1], 0x38
	s_waitcnt lgkmcnt(0)
	v_add_f32_e32 v0, v2, v5
	v_add_f32_e32 v2, v3, v6
	;; [unrolled: 1-line block ×3, first 2 shown]
	v_lshl_add_u32 v3, v1, 1, v1
	v_cmp_eq_f32_e64 s3, s12, 0
	s_delay_alu instid0(VALU_DEP_4) | instskip(NEXT) | instid1(VALU_DEP_4)
	v_dual_mul_f32 v1, s16, v2 :: v_dual_mul_f32 v0, s16, v0
	v_mul_f32_e32 v2, s16, v4
	s_delay_alu instid0(VALU_DEP_4) | instskip(NEXT) | instid1(VALU_DEP_4)
	v_ashrrev_i32_e32 v4, 31, v3
	s_and_b32 vcc_lo, exec_lo, s3
	s_cbranch_vccz .LBB29_21
; %bb.20:
	s_delay_alu instid0(VALU_DEP_1) | instskip(SKIP_1) | instid1(VALU_DEP_1)
	v_lshlrev_b64 v[5:6], 2, v[3:4]
	s_mov_b32 s2, 0
	v_add_co_u32 v5, vcc_lo, s0, v5
	s_delay_alu instid0(VALU_DEP_2)
	v_add_co_ci_u32_e32 v6, vcc_lo, s1, v6, vcc_lo
	global_store_b96 v[5:6], v[0:2], off
.LBB29_21:
	s_and_not1_b32 vcc_lo, exec_lo, s2
	s_cbranch_vccnz .LBB29_23
; %bb.22:
	v_lshlrev_b64 v[3:4], 2, v[3:4]
	s_delay_alu instid0(VALU_DEP_1) | instskip(NEXT) | instid1(VALU_DEP_2)
	v_add_co_u32 v6, vcc_lo, s0, v3
	v_add_co_ci_u32_e32 v7, vcc_lo, s1, v4, vcc_lo
	global_load_b96 v[3:5], v[6:7], off
	s_waitcnt vmcnt(0)
	v_dual_fmac_f32 v0, s12, v3 :: v_dual_fmac_f32 v1, s12, v4
	v_fmac_f32_e32 v2, s12, v5
	global_store_b96 v[6:7], v[0:2], off
.LBB29_23:
	s_nop 0
	s_sendmsg sendmsg(MSG_DEALLOC_VGPRS)
	s_endpgm
	.section	.rodata,"a",@progbits
	.p2align	6, 0x0
	.amdhsa_kernel _ZN9rocsparseL19gebsrmvn_3xn_kernelILj128ELj7ELj64EfEEvi20rocsparse_direction_NS_24const_host_device_scalarIT2_EEPKiS6_PKS3_S8_S4_PS3_21rocsparse_index_base_b
		.amdhsa_group_segment_fixed_size 0
		.amdhsa_private_segment_fixed_size 0
		.amdhsa_kernarg_size 72
		.amdhsa_user_sgpr_count 15
		.amdhsa_user_sgpr_dispatch_ptr 0
		.amdhsa_user_sgpr_queue_ptr 0
		.amdhsa_user_sgpr_kernarg_segment_ptr 1
		.amdhsa_user_sgpr_dispatch_id 0
		.amdhsa_user_sgpr_private_segment_size 0
		.amdhsa_wavefront_size32 1
		.amdhsa_uses_dynamic_stack 0
		.amdhsa_enable_private_segment 0
		.amdhsa_system_sgpr_workgroup_id_x 1
		.amdhsa_system_sgpr_workgroup_id_y 0
		.amdhsa_system_sgpr_workgroup_id_z 0
		.amdhsa_system_sgpr_workgroup_info 0
		.amdhsa_system_vgpr_workitem_id 0
		.amdhsa_next_free_vgpr 44
		.amdhsa_next_free_sgpr 20
		.amdhsa_reserve_vcc 1
		.amdhsa_float_round_mode_32 0
		.amdhsa_float_round_mode_16_64 0
		.amdhsa_float_denorm_mode_32 3
		.amdhsa_float_denorm_mode_16_64 3
		.amdhsa_dx10_clamp 1
		.amdhsa_ieee_mode 1
		.amdhsa_fp16_overflow 0
		.amdhsa_workgroup_processor_mode 1
		.amdhsa_memory_ordered 1
		.amdhsa_forward_progress 0
		.amdhsa_shared_vgpr_count 0
		.amdhsa_exception_fp_ieee_invalid_op 0
		.amdhsa_exception_fp_denorm_src 0
		.amdhsa_exception_fp_ieee_div_zero 0
		.amdhsa_exception_fp_ieee_overflow 0
		.amdhsa_exception_fp_ieee_underflow 0
		.amdhsa_exception_fp_ieee_inexact 0
		.amdhsa_exception_int_div_zero 0
	.end_amdhsa_kernel
	.section	.text._ZN9rocsparseL19gebsrmvn_3xn_kernelILj128ELj7ELj64EfEEvi20rocsparse_direction_NS_24const_host_device_scalarIT2_EEPKiS6_PKS3_S8_S4_PS3_21rocsparse_index_base_b,"axG",@progbits,_ZN9rocsparseL19gebsrmvn_3xn_kernelILj128ELj7ELj64EfEEvi20rocsparse_direction_NS_24const_host_device_scalarIT2_EEPKiS6_PKS3_S8_S4_PS3_21rocsparse_index_base_b,comdat
.Lfunc_end29:
	.size	_ZN9rocsparseL19gebsrmvn_3xn_kernelILj128ELj7ELj64EfEEvi20rocsparse_direction_NS_24const_host_device_scalarIT2_EEPKiS6_PKS3_S8_S4_PS3_21rocsparse_index_base_b, .Lfunc_end29-_ZN9rocsparseL19gebsrmvn_3xn_kernelILj128ELj7ELj64EfEEvi20rocsparse_direction_NS_24const_host_device_scalarIT2_EEPKiS6_PKS3_S8_S4_PS3_21rocsparse_index_base_b
                                        ; -- End function
	.section	.AMDGPU.csdata,"",@progbits
; Kernel info:
; codeLenInByte = 3436
; NumSgprs: 22
; NumVgprs: 44
; ScratchSize: 0
; MemoryBound: 0
; FloatMode: 240
; IeeeMode: 1
; LDSByteSize: 0 bytes/workgroup (compile time only)
; SGPRBlocks: 2
; VGPRBlocks: 5
; NumSGPRsForWavesPerEU: 22
; NumVGPRsForWavesPerEU: 44
; Occupancy: 16
; WaveLimiterHint : 1
; COMPUTE_PGM_RSRC2:SCRATCH_EN: 0
; COMPUTE_PGM_RSRC2:USER_SGPR: 15
; COMPUTE_PGM_RSRC2:TRAP_HANDLER: 0
; COMPUTE_PGM_RSRC2:TGID_X_EN: 1
; COMPUTE_PGM_RSRC2:TGID_Y_EN: 0
; COMPUTE_PGM_RSRC2:TGID_Z_EN: 0
; COMPUTE_PGM_RSRC2:TIDIG_COMP_CNT: 0
	.section	.text._ZN9rocsparseL19gebsrmvn_3xn_kernelILj128ELj8ELj4EfEEvi20rocsparse_direction_NS_24const_host_device_scalarIT2_EEPKiS6_PKS3_S8_S4_PS3_21rocsparse_index_base_b,"axG",@progbits,_ZN9rocsparseL19gebsrmvn_3xn_kernelILj128ELj8ELj4EfEEvi20rocsparse_direction_NS_24const_host_device_scalarIT2_EEPKiS6_PKS3_S8_S4_PS3_21rocsparse_index_base_b,comdat
	.globl	_ZN9rocsparseL19gebsrmvn_3xn_kernelILj128ELj8ELj4EfEEvi20rocsparse_direction_NS_24const_host_device_scalarIT2_EEPKiS6_PKS3_S8_S4_PS3_21rocsparse_index_base_b ; -- Begin function _ZN9rocsparseL19gebsrmvn_3xn_kernelILj128ELj8ELj4EfEEvi20rocsparse_direction_NS_24const_host_device_scalarIT2_EEPKiS6_PKS3_S8_S4_PS3_21rocsparse_index_base_b
	.p2align	8
	.type	_ZN9rocsparseL19gebsrmvn_3xn_kernelILj128ELj8ELj4EfEEvi20rocsparse_direction_NS_24const_host_device_scalarIT2_EEPKiS6_PKS3_S8_S4_PS3_21rocsparse_index_base_b,@function
_ZN9rocsparseL19gebsrmvn_3xn_kernelILj128ELj8ELj4EfEEvi20rocsparse_direction_NS_24const_host_device_scalarIT2_EEPKiS6_PKS3_S8_S4_PS3_21rocsparse_index_base_b: ; @_ZN9rocsparseL19gebsrmvn_3xn_kernelILj128ELj8ELj4EfEEvi20rocsparse_direction_NS_24const_host_device_scalarIT2_EEPKiS6_PKS3_S8_S4_PS3_21rocsparse_index_base_b
; %bb.0:
	s_clause 0x2
	s_load_b64 s[18:19], s[0:1], 0x40
	s_load_b64 s[16:17], s[0:1], 0x8
	;; [unrolled: 1-line block ×3, first 2 shown]
	s_waitcnt lgkmcnt(0)
	s_bitcmp1_b32 s19, 0
	s_cselect_b32 s2, -1, 0
	s_delay_alu instid0(SALU_CYCLE_1)
	s_and_b32 vcc_lo, exec_lo, s2
	s_xor_b32 s2, s2, -1
	s_cbranch_vccnz .LBB30_2
; %bb.1:
	s_load_b32 s16, s[16:17], 0x0
.LBB30_2:
	s_and_not1_b32 vcc_lo, exec_lo, s2
	s_cbranch_vccnz .LBB30_4
; %bb.3:
	s_load_b32 s12, s[12:13], 0x0
.LBB30_4:
	s_waitcnt lgkmcnt(0)
	v_cmp_eq_f32_e64 s2, s16, 0
	v_cmp_eq_f32_e64 s3, s12, 1.0
	s_delay_alu instid0(VALU_DEP_1) | instskip(NEXT) | instid1(SALU_CYCLE_1)
	s_and_b32 s2, s2, s3
	s_and_b32 vcc_lo, exec_lo, s2
	s_cbranch_vccnz .LBB30_23
; %bb.5:
	s_load_b64 s[2:3], s[0:1], 0x0
	v_lshrrev_b32_e32 v1, 2, v0
	s_delay_alu instid0(VALU_DEP_1) | instskip(SKIP_1) | instid1(VALU_DEP_1)
	v_lshl_or_b32 v1, s15, 5, v1
	s_waitcnt lgkmcnt(0)
	v_cmp_gt_i32_e32 vcc_lo, s2, v1
	s_and_saveexec_b32 s2, vcc_lo
	s_cbranch_execz .LBB30_23
; %bb.6:
	s_load_b256 s[4:11], s[0:1], 0x10
	v_ashrrev_i32_e32 v2, 31, v1
	v_and_b32_e32 v0, 3, v0
	s_cmp_lg_u32 s3, 0
	s_delay_alu instid0(VALU_DEP_2) | instskip(SKIP_1) | instid1(VALU_DEP_1)
	v_lshlrev_b64 v[2:3], 2, v[1:2]
	s_waitcnt lgkmcnt(0)
	v_add_co_u32 v2, vcc_lo, s4, v2
	s_delay_alu instid0(VALU_DEP_2) | instskip(SKIP_4) | instid1(VALU_DEP_2)
	v_add_co_ci_u32_e32 v3, vcc_lo, s5, v3, vcc_lo
	global_load_b64 v[2:3], v[2:3], off
	s_waitcnt vmcnt(0)
	v_subrev_nc_u32_e32 v2, s18, v2
	v_subrev_nc_u32_e32 v12, s18, v3
	v_add_nc_u32_e32 v2, v2, v0
	s_delay_alu instid0(VALU_DEP_1)
	v_cmp_lt_i32_e64 s2, v2, v12
	s_cbranch_scc0 .LBB30_12
; %bb.7:
	v_dual_mov_b32 v9, 0 :: v_dual_mov_b32 v10, 0
	v_mov_b32_e32 v11, 0
	s_mov_b32 s3, 0
	s_and_saveexec_b32 s4, s2
	s_cbranch_execz .LBB30_11
; %bb.8:
	v_mad_u64_u32 v[3:4], null, v2, 24, 23
	v_dual_mov_b32 v6, 0 :: v_dual_mov_b32 v7, v2
	v_dual_mov_b32 v9, 0 :: v_dual_mov_b32 v10, 0
	v_mov_b32_e32 v11, 0
	s_mov_b32 s5, 0
.LBB30_9:                               ; =>This Inner Loop Header: Depth=1
	s_delay_alu instid0(VALU_DEP_3) | instskip(SKIP_1) | instid1(VALU_DEP_2)
	v_ashrrev_i32_e32 v8, 31, v7
	v_mov_b32_e32 v22, v6
	v_lshlrev_b64 v[4:5], 2, v[7:8]
	v_add_nc_u32_e32 v7, 4, v7
	s_delay_alu instid0(VALU_DEP_2) | instskip(NEXT) | instid1(VALU_DEP_3)
	v_add_co_u32 v4, vcc_lo, s6, v4
	v_add_co_ci_u32_e32 v5, vcc_lo, s7, v5, vcc_lo
	global_load_b32 v8, v[4:5], off
	v_subrev_nc_u32_e32 v5, 23, v3
	v_mov_b32_e32 v4, v6
	s_delay_alu instid0(VALU_DEP_2) | instskip(SKIP_1) | instid1(VALU_DEP_1)
	v_lshlrev_b64 v[13:14], 2, v[5:6]
	v_add_nc_u32_e32 v5, -15, v3
	v_lshlrev_b64 v[17:18], 2, v[5:6]
	v_add_nc_u32_e32 v5, -14, v3
	v_lshlrev_b64 v[15:16], 2, v[3:4]
	v_add_co_u32 v19, vcc_lo, s8, v13
	v_add_co_ci_u32_e32 v20, vcc_lo, s9, v14, vcc_lo
	s_delay_alu instid0(VALU_DEP_4) | instskip(NEXT) | instid1(VALU_DEP_4)
	v_lshlrev_b64 v[23:24], 2, v[5:6]
	v_add_co_u32 v29, vcc_lo, s8, v15
	v_add_co_ci_u32_e32 v30, vcc_lo, s9, v16, vcc_lo
	v_add_co_u32 v25, vcc_lo, s8, v17
	v_add_co_ci_u32_e32 v26, vcc_lo, s9, v18, vcc_lo
	s_clause 0x1
	global_load_b128 v[13:16], v[19:20], off offset:16
	global_load_b128 v[17:20], v[19:20], off
	v_add_nc_u32_e32 v5, -13, v3
	v_add_co_u32 v23, vcc_lo, s8, v23
	v_add_co_ci_u32_e32 v24, vcc_lo, s9, v24, vcc_lo
	s_delay_alu instid0(VALU_DEP_3)
	v_lshlrev_b64 v[27:28], 2, v[5:6]
	v_add_nc_u32_e32 v5, -12, v3
	global_load_b32 v37, v[25:26], off
	v_add_co_u32 v27, vcc_lo, s8, v27
	v_add_co_ci_u32_e32 v28, vcc_lo, s9, v28, vcc_lo
	s_clause 0x1
	global_load_b32 v39, v[27:28], off
	global_load_b32 v38, v[23:24], off
	v_lshlrev_b64 v[25:26], 2, v[5:6]
	s_delay_alu instid0(VALU_DEP_1) | instskip(NEXT) | instid1(VALU_DEP_2)
	v_add_co_u32 v25, vcc_lo, s8, v25
	v_add_co_ci_u32_e32 v26, vcc_lo, s9, v26, vcc_lo
	global_load_b32 v40, v[25:26], off
	v_add_nc_u32_e32 v5, -11, v3
	s_delay_alu instid0(VALU_DEP_1) | instskip(SKIP_1) | instid1(VALU_DEP_2)
	v_lshlrev_b64 v[23:24], 2, v[5:6]
	v_add_nc_u32_e32 v5, -10, v3
	v_add_co_u32 v23, vcc_lo, s8, v23
	s_delay_alu instid0(VALU_DEP_2)
	v_lshlrev_b64 v[27:28], 2, v[5:6]
	v_add_nc_u32_e32 v5, -9, v3
	v_add_co_ci_u32_e32 v24, vcc_lo, s9, v24, vcc_lo
	global_load_b32 v41, v[23:24], off
	v_lshlrev_b64 v[25:26], 2, v[5:6]
	v_add_nc_u32_e32 v5, -8, v3
	v_add_co_u32 v23, vcc_lo, s8, v27
	v_add_co_ci_u32_e32 v24, vcc_lo, s9, v28, vcc_lo
	s_delay_alu instid0(VALU_DEP_4) | instskip(NEXT) | instid1(VALU_DEP_4)
	v_add_co_u32 v25, vcc_lo, s8, v25
	v_lshlrev_b64 v[27:28], 2, v[5:6]
	v_add_nc_u32_e32 v5, -7, v3
	v_add_co_ci_u32_e32 v26, vcc_lo, s9, v26, vcc_lo
	s_clause 0x1
	global_load_b32 v42, v[23:24], off
	global_load_b32 v43, v[25:26], off
	v_lshlrev_b64 v[23:24], 2, v[5:6]
	v_add_nc_u32_e32 v5, -6, v3
	v_add_co_u32 v25, vcc_lo, s8, v27
	v_add_co_ci_u32_e32 v26, vcc_lo, s9, v28, vcc_lo
	s_delay_alu instid0(VALU_DEP_3)
	v_lshlrev_b64 v[27:28], 2, v[5:6]
	v_add_co_u32 v23, vcc_lo, s8, v23
	v_add_co_ci_u32_e32 v24, vcc_lo, s9, v24, vcc_lo
	global_load_b32 v44, v[25:26], off
	v_add_co_u32 v33, vcc_lo, s8, v27
	global_load_b32 v45, v[23:24], off
	v_add_co_ci_u32_e32 v34, vcc_lo, s9, v28, vcc_lo
	v_add_nc_u32_e32 v5, -5, v3
	s_delay_alu instid0(VALU_DEP_1) | instskip(SKIP_1) | instid1(VALU_DEP_1)
	v_lshlrev_b64 v[31:32], 2, v[5:6]
	v_add_nc_u32_e32 v5, -4, v3
	v_lshlrev_b64 v[35:36], 2, v[5:6]
	v_add_nc_u32_e32 v5, -3, v3
	s_waitcnt vmcnt(11)
	v_subrev_nc_u32_e32 v4, s18, v8
	s_delay_alu instid0(VALU_DEP_1) | instskip(NEXT) | instid1(VALU_DEP_1)
	v_lshlrev_b32_e32 v21, 3, v4
	v_lshlrev_b64 v[21:22], 2, v[21:22]
	s_delay_alu instid0(VALU_DEP_1) | instskip(NEXT) | instid1(VALU_DEP_2)
	v_add_co_u32 v25, vcc_lo, s10, v21
	v_add_co_ci_u32_e32 v26, vcc_lo, s11, v22, vcc_lo
	v_add_co_u32 v31, vcc_lo, s8, v31
	v_add_co_ci_u32_e32 v32, vcc_lo, s9, v32, vcc_lo
	s_clause 0x1
	global_load_b128 v[21:24], v[25:26], off
	global_load_b128 v[25:28], v[25:26], off offset:16
	s_clause 0x1
	global_load_b32 v8, v[33:34], off
	global_load_b32 v46, v[31:32], off
	v_lshlrev_b64 v[33:34], 2, v[5:6]
	v_add_nc_u32_e32 v5, -2, v3
	v_add_co_u32 v31, vcc_lo, s8, v35
	v_add_co_ci_u32_e32 v32, vcc_lo, s9, v36, vcc_lo
	s_delay_alu instid0(VALU_DEP_3) | instskip(SKIP_3) | instid1(VALU_DEP_3)
	v_lshlrev_b64 v[35:36], 2, v[5:6]
	v_add_nc_u32_e32 v5, -1, v3
	v_add_co_u32 v33, vcc_lo, s8, v33
	v_add_co_ci_u32_e32 v34, vcc_lo, s9, v34, vcc_lo
	v_lshlrev_b64 v[4:5], 2, v[5:6]
	global_load_b32 v47, v[31:32], off
	v_add_nc_u32_e32 v3, 0x60, v3
	global_load_b32 v33, v[33:34], off
	v_add_co_u32 v31, vcc_lo, s8, v35
	v_add_co_ci_u32_e32 v32, vcc_lo, s9, v36, vcc_lo
	v_add_co_u32 v4, vcc_lo, s8, v4
	v_add_co_ci_u32_e32 v5, vcc_lo, s9, v5, vcc_lo
	s_clause 0x2
	global_load_b32 v31, v[31:32], off
	global_load_b32 v4, v[4:5], off
	;; [unrolled: 1-line block ×3, first 2 shown]
	v_cmp_ge_i32_e32 vcc_lo, v7, v12
	s_or_b32 s5, vcc_lo, s5
	s_waitcnt vmcnt(8)
	v_fmac_f32_e32 v10, v19, v21
	s_delay_alu instid0(VALU_DEP_1) | instskip(NEXT) | instid1(VALU_DEP_1)
	v_dual_fmac_f32 v9, v17, v21 :: v_dual_fmac_f32 v10, v14, v22
	v_fmac_f32_e32 v10, v37, v23
	s_delay_alu instid0(VALU_DEP_1) | instskip(SKIP_1) | instid1(VALU_DEP_1)
	v_fmac_f32_e32 v10, v40, v24
	s_waitcnt vmcnt(7)
	v_fmac_f32_e32 v10, v43, v25
	s_waitcnt vmcnt(6)
	s_delay_alu instid0(VALU_DEP_1) | instskip(SKIP_1) | instid1(VALU_DEP_1)
	v_dual_fmac_f32 v10, v8, v26 :: v_dual_fmac_f32 v11, v18, v21
	s_waitcnt vmcnt(3)
	v_dual_fmac_f32 v10, v33, v27 :: v_dual_fmac_f32 v9, v20, v22
	s_delay_alu instid0(VALU_DEP_2) | instskip(SKIP_1) | instid1(VALU_DEP_2)
	v_fmac_f32_e32 v11, v13, v22
	s_waitcnt vmcnt(0)
	v_dual_fmac_f32 v10, v5, v28 :: v_dual_fmac_f32 v9, v15, v23
	s_delay_alu instid0(VALU_DEP_2) | instskip(NEXT) | instid1(VALU_DEP_2)
	v_fmac_f32_e32 v11, v16, v23
	v_fmac_f32_e32 v9, v38, v24
	s_delay_alu instid0(VALU_DEP_2) | instskip(NEXT) | instid1(VALU_DEP_2)
	v_fmac_f32_e32 v11, v39, v24
	v_fmac_f32_e32 v9, v41, v25
	s_delay_alu instid0(VALU_DEP_2) | instskip(NEXT) | instid1(VALU_DEP_2)
	v_fmac_f32_e32 v11, v42, v25
	v_fmac_f32_e32 v9, v44, v26
	s_delay_alu instid0(VALU_DEP_2) | instskip(NEXT) | instid1(VALU_DEP_2)
	v_fmac_f32_e32 v11, v45, v26
	v_fmac_f32_e32 v9, v46, v27
	s_delay_alu instid0(VALU_DEP_2) | instskip(NEXT) | instid1(VALU_DEP_2)
	v_fmac_f32_e32 v11, v47, v27
	v_fmac_f32_e32 v9, v31, v28
	s_delay_alu instid0(VALU_DEP_2)
	v_fmac_f32_e32 v11, v4, v28
	s_and_not1_b32 exec_lo, exec_lo, s5
	s_cbranch_execnz .LBB30_9
; %bb.10:
	s_or_b32 exec_lo, exec_lo, s5
.LBB30_11:
	s_delay_alu instid0(SALU_CYCLE_1) | instskip(NEXT) | instid1(SALU_CYCLE_1)
	s_or_b32 exec_lo, exec_lo, s4
	s_and_not1_b32 vcc_lo, exec_lo, s3
	s_cbranch_vccz .LBB30_13
	s_branch .LBB30_18
.LBB30_12:
                                        ; implicit-def: $vgpr9
                                        ; implicit-def: $vgpr10
                                        ; implicit-def: $vgpr11
.LBB30_13:
	v_dual_mov_b32 v9, 0 :: v_dual_mov_b32 v10, 0
	v_mov_b32_e32 v11, 0
	s_delay_alu instid0(VALU_DEP_3)
	s_and_saveexec_b32 s3, s2
	s_cbranch_execz .LBB30_17
; %bb.14:
	v_mad_u64_u32 v[4:5], null, v2, 24, 23
	v_dual_mov_b32 v7, 0 :: v_dual_mov_b32 v10, 0
	v_mov_b32_e32 v9, 0
	v_mov_b32_e32 v11, 0
	s_mov_b32 s2, 0
.LBB30_15:                              ; =>This Inner Loop Header: Depth=1
	v_ashrrev_i32_e32 v3, 31, v2
	v_dual_mov_b32 v22, v7 :: v_dual_add_nc_u32 v13, -15, v4
	v_dual_mov_b32 v14, v7 :: v_dual_add_nc_u32 v15, -7, v4
	s_delay_alu instid0(VALU_DEP_3) | instskip(SKIP_1) | instid1(VALU_DEP_3)
	v_lshlrev_b64 v[5:6], 2, v[2:3]
	v_add_nc_u32_e32 v2, 4, v2
	v_lshlrev_b64 v[13:14], 2, v[13:14]
	s_delay_alu instid0(VALU_DEP_3) | instskip(NEXT) | instid1(VALU_DEP_4)
	v_add_co_u32 v5, vcc_lo, s6, v5
	v_add_co_ci_u32_e32 v6, vcc_lo, s7, v6, vcc_lo
	global_load_b32 v3, v[5:6], off
	v_subrev_nc_u32_e32 v6, 23, v4
	v_mov_b32_e32 v5, v7
	s_delay_alu instid0(VALU_DEP_2) | instskip(SKIP_1) | instid1(VALU_DEP_3)
	v_lshlrev_b64 v[17:18], 2, v[6:7]
	v_add_nc_u32_e32 v6, -14, v4
	v_lshlrev_b64 v[19:20], 2, v[4:5]
	s_delay_alu instid0(VALU_DEP_2) | instskip(NEXT) | instid1(VALU_DEP_4)
	v_lshlrev_b64 v[23:24], 2, v[6:7]
	v_add_co_u32 v17, vcc_lo, s8, v17
	v_add_co_ci_u32_e32 v18, vcc_lo, s9, v18, vcc_lo
	v_add_co_u32 v25, vcc_lo, s8, v13
	v_add_co_ci_u32_e32 v26, vcc_lo, s9, v14, vcc_lo
	s_waitcnt vmcnt(0)
	v_subrev_nc_u32_e32 v3, s18, v3
	s_delay_alu instid0(VALU_DEP_1) | instskip(NEXT) | instid1(VALU_DEP_1)
	v_dual_mov_b32 v16, v7 :: v_dual_lshlrev_b32 v21, 3, v3
	v_lshlrev_b64 v[15:16], 2, v[15:16]
	s_delay_alu instid0(VALU_DEP_2) | instskip(NEXT) | instid1(VALU_DEP_2)
	v_lshlrev_b64 v[21:22], 2, v[21:22]
	v_add_co_u32 v27, vcc_lo, s8, v15
	s_delay_alu instid0(VALU_DEP_3)
	v_add_co_ci_u32_e32 v28, vcc_lo, s9, v16, vcc_lo
	v_add_co_u32 v29, vcc_lo, s8, v19
	v_add_co_ci_u32_e32 v30, vcc_lo, s9, v20, vcc_lo
	s_clause 0x1
	global_load_b128 v[13:16], v[17:18], off offset:16
	global_load_b128 v[17:20], v[17:18], off
	v_add_nc_u32_e32 v6, -6, v4
	s_clause 0x1
	global_load_b32 v8, v[25:26], off
	global_load_b32 v37, v[27:28], off
	v_add_co_u32 v23, vcc_lo, s8, v23
	v_add_co_ci_u32_e32 v24, vcc_lo, s9, v24, vcc_lo
	v_lshlrev_b64 v[31:32], 2, v[6:7]
	v_add_nc_u32_e32 v6, -13, v4
	global_load_b32 v38, v[23:24], off
	v_lshlrev_b64 v[25:26], 2, v[6:7]
	v_add_nc_u32_e32 v6, -5, v4
	v_add_co_u32 v23, vcc_lo, s8, v31
	v_add_co_ci_u32_e32 v24, vcc_lo, s9, v32, vcc_lo
	s_delay_alu instid0(VALU_DEP_4) | instskip(NEXT) | instid1(VALU_DEP_4)
	v_add_co_u32 v25, vcc_lo, s8, v25
	v_lshlrev_b64 v[27:28], 2, v[6:7]
	v_add_nc_u32_e32 v6, -12, v4
	v_add_co_ci_u32_e32 v26, vcc_lo, s9, v26, vcc_lo
	s_clause 0x1
	global_load_b32 v39, v[23:24], off
	global_load_b32 v40, v[25:26], off
	v_lshlrev_b64 v[23:24], 2, v[6:7]
	v_add_nc_u32_e32 v6, -4, v4
	v_add_co_u32 v25, vcc_lo, s8, v27
	v_add_co_ci_u32_e32 v26, vcc_lo, s9, v28, vcc_lo
	s_delay_alu instid0(VALU_DEP_4) | instskip(NEXT) | instid1(VALU_DEP_4)
	v_add_co_u32 v23, vcc_lo, s8, v23
	v_lshlrev_b64 v[27:28], 2, v[6:7]
	v_add_nc_u32_e32 v6, -11, v4
	v_add_co_ci_u32_e32 v24, vcc_lo, s9, v24, vcc_lo
	s_clause 0x1
	global_load_b32 v41, v[25:26], off
	global_load_b32 v42, v[23:24], off
	v_lshlrev_b64 v[25:26], 2, v[6:7]
	v_add_nc_u32_e32 v6, -3, v4
	v_add_co_u32 v23, vcc_lo, s8, v27
	v_add_co_ci_u32_e32 v24, vcc_lo, s9, v28, vcc_lo
	s_delay_alu instid0(VALU_DEP_3)
	v_lshlrev_b64 v[27:28], 2, v[6:7]
	v_add_co_u32 v25, vcc_lo, s8, v25
	v_add_co_ci_u32_e32 v26, vcc_lo, s9, v26, vcc_lo
	global_load_b32 v43, v[23:24], off
	v_add_co_u32 v33, vcc_lo, s8, v27
	global_load_b32 v44, v[25:26], off
	v_add_co_ci_u32_e32 v34, vcc_lo, s9, v28, vcc_lo
	v_add_co_u32 v25, vcc_lo, s10, v21
	v_add_co_ci_u32_e32 v26, vcc_lo, s11, v22, vcc_lo
	s_clause 0x1
	global_load_b128 v[21:24], v[25:26], off
	global_load_b128 v[25:28], v[25:26], off offset:16
	global_load_b32 v3, v[33:34], off
	s_waitcnt vmcnt(2)
	v_fmac_f32_e32 v9, v17, v21
	v_fmac_f32_e32 v11, v8, v21
	s_delay_alu instid0(VALU_DEP_2) | instskip(NEXT) | instid1(VALU_DEP_2)
	v_fmac_f32_e32 v9, v18, v22
	v_fmac_f32_e32 v11, v38, v22
	s_delay_alu instid0(VALU_DEP_2) | instskip(NEXT) | instid1(VALU_DEP_2)
	v_dual_fmac_f32 v9, v19, v23 :: v_dual_fmac_f32 v10, v37, v21
	v_fmac_f32_e32 v11, v40, v23
	s_delay_alu instid0(VALU_DEP_2) | instskip(NEXT) | instid1(VALU_DEP_2)
	v_dual_fmac_f32 v9, v20, v24 :: v_dual_fmac_f32 v10, v39, v22
	v_fmac_f32_e32 v11, v42, v24
	s_waitcnt vmcnt(1)
	s_delay_alu instid0(VALU_DEP_2) | instskip(NEXT) | instid1(VALU_DEP_2)
	v_dual_fmac_f32 v9, v13, v25 :: v_dual_add_nc_u32 v6, -10, v4
	v_fmac_f32_e32 v11, v44, v25
	s_delay_alu instid0(VALU_DEP_2) | instskip(NEXT) | instid1(VALU_DEP_3)
	v_lshlrev_b64 v[31:32], 2, v[6:7]
	v_dual_fmac_f32 v9, v14, v26 :: v_dual_add_nc_u32 v6, -2, v4
	s_delay_alu instid0(VALU_DEP_2) | instskip(NEXT) | instid1(VALU_DEP_3)
	v_add_co_u32 v31, vcc_lo, s8, v31
	v_add_co_ci_u32_e32 v32, vcc_lo, s9, v32, vcc_lo
	s_delay_alu instid0(VALU_DEP_3) | instskip(NEXT) | instid1(VALU_DEP_4)
	v_lshlrev_b64 v[35:36], 2, v[6:7]
	v_fmac_f32_e32 v9, v15, v27
	v_fmac_f32_e32 v10, v41, v23
	global_load_b32 v45, v[31:32], off
	v_add_nc_u32_e32 v6, -9, v4
	v_add_co_u32 v31, vcc_lo, s8, v35
	v_add_co_ci_u32_e32 v32, vcc_lo, s9, v36, vcc_lo
	v_fmac_f32_e32 v9, v16, v28
	v_fmac_f32_e32 v10, v43, v24
	global_load_b32 v46, v[31:32], off
	s_waitcnt vmcnt(1)
	v_fmac_f32_e32 v11, v45, v26
	v_lshlrev_b64 v[33:34], 2, v[6:7]
	v_add_nc_u32_e32 v6, -1, v4
	s_delay_alu instid0(VALU_DEP_2) | instskip(NEXT) | instid1(VALU_DEP_3)
	v_add_co_u32 v33, vcc_lo, s8, v33
	v_add_co_ci_u32_e32 v34, vcc_lo, s9, v34, vcc_lo
	s_delay_alu instid0(VALU_DEP_3)
	v_lshlrev_b64 v[35:36], 2, v[6:7]
	global_load_b32 v33, v[33:34], off
	v_add_nc_u32_e32 v6, -8, v4
	v_add_nc_u32_e32 v4, 0x60, v4
	v_add_co_u32 v31, vcc_lo, s8, v35
	v_add_co_ci_u32_e32 v32, vcc_lo, s9, v36, vcc_lo
	s_waitcnt vmcnt(0)
	v_fmac_f32_e32 v11, v33, v27
	v_lshlrev_b64 v[5:6], 2, v[6:7]
	s_delay_alu instid0(VALU_DEP_1) | instskip(NEXT) | instid1(VALU_DEP_2)
	v_add_co_u32 v5, vcc_lo, s8, v5
	v_add_co_ci_u32_e32 v6, vcc_lo, s9, v6, vcc_lo
	s_clause 0x2
	global_load_b32 v31, v[31:32], off
	global_load_b32 v5, v[5:6], off
	;; [unrolled: 1-line block ×3, first 2 shown]
	v_fmac_f32_e32 v10, v3, v25
	v_cmp_ge_i32_e32 vcc_lo, v2, v12
	s_or_b32 s2, vcc_lo, s2
	s_waitcnt vmcnt(1)
	s_delay_alu instid0(VALU_DEP_2) | instskip(NEXT) | instid1(VALU_DEP_1)
	v_dual_fmac_f32 v11, v5, v28 :: v_dual_fmac_f32 v10, v46, v26
	v_fmac_f32_e32 v10, v31, v27
	s_waitcnt vmcnt(0)
	s_delay_alu instid0(VALU_DEP_1)
	v_fmac_f32_e32 v10, v6, v28
	s_and_not1_b32 exec_lo, exec_lo, s2
	s_cbranch_execnz .LBB30_15
; %bb.16:
	s_or_b32 exec_lo, exec_lo, s2
.LBB30_17:
	s_delay_alu instid0(SALU_CYCLE_1)
	s_or_b32 exec_lo, exec_lo, s3
.LBB30_18:
	v_mbcnt_lo_u32_b32 v2, -1, 0
	s_mov_b32 s2, -1
	s_delay_alu instid0(VALU_DEP_1) | instskip(NEXT) | instid1(VALU_DEP_1)
	v_xor_b32_e32 v3, 2, v2
	v_cmp_gt_i32_e32 vcc_lo, 32, v3
	v_cndmask_b32_e32 v3, v2, v3, vcc_lo
	s_delay_alu instid0(VALU_DEP_1) | instskip(SKIP_4) | instid1(VALU_DEP_1)
	v_lshlrev_b32_e32 v3, 2, v3
	ds_bpermute_b32 v4, v3, v9
	ds_bpermute_b32 v5, v3, v11
	;; [unrolled: 1-line block ×3, first 2 shown]
	v_xor_b32_e32 v3, 1, v2
	v_cmp_gt_i32_e32 vcc_lo, 32, v3
	v_cndmask_b32_e32 v2, v2, v3, vcc_lo
	v_cmp_eq_u32_e32 vcc_lo, 3, v0
	s_waitcnt lgkmcnt(1)
	v_add_f32_e32 v3, v11, v5
	s_delay_alu instid0(VALU_DEP_3)
	v_dual_add_f32 v2, v9, v4 :: v_dual_lshlrev_b32 v7, 2, v2
	s_waitcnt lgkmcnt(0)
	v_add_f32_e32 v4, v10, v6
	ds_bpermute_b32 v6, v7, v3
	ds_bpermute_b32 v5, v7, v2
	;; [unrolled: 1-line block ×3, first 2 shown]
	s_and_b32 exec_lo, exec_lo, vcc_lo
	s_cbranch_execz .LBB30_23
; %bb.19:
	s_load_b64 s[0:1], s[0:1], 0x38
	s_waitcnt lgkmcnt(0)
	v_add_f32_e32 v0, v2, v5
	v_add_f32_e32 v2, v3, v6
	;; [unrolled: 1-line block ×3, first 2 shown]
	v_lshl_add_u32 v3, v1, 1, v1
	v_cmp_eq_f32_e64 s3, s12, 0
	s_delay_alu instid0(VALU_DEP_4) | instskip(NEXT) | instid1(VALU_DEP_4)
	v_dual_mul_f32 v1, s16, v2 :: v_dual_mul_f32 v0, s16, v0
	v_mul_f32_e32 v2, s16, v4
	s_delay_alu instid0(VALU_DEP_4) | instskip(NEXT) | instid1(VALU_DEP_4)
	v_ashrrev_i32_e32 v4, 31, v3
	s_and_b32 vcc_lo, exec_lo, s3
	s_cbranch_vccz .LBB30_21
; %bb.20:
	s_delay_alu instid0(VALU_DEP_1) | instskip(SKIP_1) | instid1(VALU_DEP_1)
	v_lshlrev_b64 v[5:6], 2, v[3:4]
	s_mov_b32 s2, 0
	v_add_co_u32 v5, vcc_lo, s0, v5
	s_delay_alu instid0(VALU_DEP_2)
	v_add_co_ci_u32_e32 v6, vcc_lo, s1, v6, vcc_lo
	global_store_b96 v[5:6], v[0:2], off
.LBB30_21:
	s_and_not1_b32 vcc_lo, exec_lo, s2
	s_cbranch_vccnz .LBB30_23
; %bb.22:
	v_lshlrev_b64 v[3:4], 2, v[3:4]
	s_delay_alu instid0(VALU_DEP_1) | instskip(NEXT) | instid1(VALU_DEP_2)
	v_add_co_u32 v6, vcc_lo, s0, v3
	v_add_co_ci_u32_e32 v7, vcc_lo, s1, v4, vcc_lo
	global_load_b96 v[3:5], v[6:7], off
	s_waitcnt vmcnt(0)
	v_dual_fmac_f32 v0, s12, v3 :: v_dual_fmac_f32 v1, s12, v4
	v_fmac_f32_e32 v2, s12, v5
	global_store_b96 v[6:7], v[0:2], off
.LBB30_23:
	s_nop 0
	s_sendmsg sendmsg(MSG_DEALLOC_VGPRS)
	s_endpgm
	.section	.rodata,"a",@progbits
	.p2align	6, 0x0
	.amdhsa_kernel _ZN9rocsparseL19gebsrmvn_3xn_kernelILj128ELj8ELj4EfEEvi20rocsparse_direction_NS_24const_host_device_scalarIT2_EEPKiS6_PKS3_S8_S4_PS3_21rocsparse_index_base_b
		.amdhsa_group_segment_fixed_size 0
		.amdhsa_private_segment_fixed_size 0
		.amdhsa_kernarg_size 72
		.amdhsa_user_sgpr_count 15
		.amdhsa_user_sgpr_dispatch_ptr 0
		.amdhsa_user_sgpr_queue_ptr 0
		.amdhsa_user_sgpr_kernarg_segment_ptr 1
		.amdhsa_user_sgpr_dispatch_id 0
		.amdhsa_user_sgpr_private_segment_size 0
		.amdhsa_wavefront_size32 1
		.amdhsa_uses_dynamic_stack 0
		.amdhsa_enable_private_segment 0
		.amdhsa_system_sgpr_workgroup_id_x 1
		.amdhsa_system_sgpr_workgroup_id_y 0
		.amdhsa_system_sgpr_workgroup_id_z 0
		.amdhsa_system_sgpr_workgroup_info 0
		.amdhsa_system_vgpr_workitem_id 0
		.amdhsa_next_free_vgpr 48
		.amdhsa_next_free_sgpr 20
		.amdhsa_reserve_vcc 1
		.amdhsa_float_round_mode_32 0
		.amdhsa_float_round_mode_16_64 0
		.amdhsa_float_denorm_mode_32 3
		.amdhsa_float_denorm_mode_16_64 3
		.amdhsa_dx10_clamp 1
		.amdhsa_ieee_mode 1
		.amdhsa_fp16_overflow 0
		.amdhsa_workgroup_processor_mode 1
		.amdhsa_memory_ordered 1
		.amdhsa_forward_progress 0
		.amdhsa_shared_vgpr_count 0
		.amdhsa_exception_fp_ieee_invalid_op 0
		.amdhsa_exception_fp_denorm_src 0
		.amdhsa_exception_fp_ieee_div_zero 0
		.amdhsa_exception_fp_ieee_overflow 0
		.amdhsa_exception_fp_ieee_underflow 0
		.amdhsa_exception_fp_ieee_inexact 0
		.amdhsa_exception_int_div_zero 0
	.end_amdhsa_kernel
	.section	.text._ZN9rocsparseL19gebsrmvn_3xn_kernelILj128ELj8ELj4EfEEvi20rocsparse_direction_NS_24const_host_device_scalarIT2_EEPKiS6_PKS3_S8_S4_PS3_21rocsparse_index_base_b,"axG",@progbits,_ZN9rocsparseL19gebsrmvn_3xn_kernelILj128ELj8ELj4EfEEvi20rocsparse_direction_NS_24const_host_device_scalarIT2_EEPKiS6_PKS3_S8_S4_PS3_21rocsparse_index_base_b,comdat
.Lfunc_end30:
	.size	_ZN9rocsparseL19gebsrmvn_3xn_kernelILj128ELj8ELj4EfEEvi20rocsparse_direction_NS_24const_host_device_scalarIT2_EEPKiS6_PKS3_S8_S4_PS3_21rocsparse_index_base_b, .Lfunc_end30-_ZN9rocsparseL19gebsrmvn_3xn_kernelILj128ELj8ELj4EfEEvi20rocsparse_direction_NS_24const_host_device_scalarIT2_EEPKiS6_PKS3_S8_S4_PS3_21rocsparse_index_base_b
                                        ; -- End function
	.section	.AMDGPU.csdata,"",@progbits
; Kernel info:
; codeLenInByte = 2520
; NumSgprs: 22
; NumVgprs: 48
; ScratchSize: 0
; MemoryBound: 0
; FloatMode: 240
; IeeeMode: 1
; LDSByteSize: 0 bytes/workgroup (compile time only)
; SGPRBlocks: 2
; VGPRBlocks: 5
; NumSGPRsForWavesPerEU: 22
; NumVGPRsForWavesPerEU: 48
; Occupancy: 16
; WaveLimiterHint : 1
; COMPUTE_PGM_RSRC2:SCRATCH_EN: 0
; COMPUTE_PGM_RSRC2:USER_SGPR: 15
; COMPUTE_PGM_RSRC2:TRAP_HANDLER: 0
; COMPUTE_PGM_RSRC2:TGID_X_EN: 1
; COMPUTE_PGM_RSRC2:TGID_Y_EN: 0
; COMPUTE_PGM_RSRC2:TGID_Z_EN: 0
; COMPUTE_PGM_RSRC2:TIDIG_COMP_CNT: 0
	.section	.text._ZN9rocsparseL19gebsrmvn_3xn_kernelILj128ELj8ELj8EfEEvi20rocsparse_direction_NS_24const_host_device_scalarIT2_EEPKiS6_PKS3_S8_S4_PS3_21rocsparse_index_base_b,"axG",@progbits,_ZN9rocsparseL19gebsrmvn_3xn_kernelILj128ELj8ELj8EfEEvi20rocsparse_direction_NS_24const_host_device_scalarIT2_EEPKiS6_PKS3_S8_S4_PS3_21rocsparse_index_base_b,comdat
	.globl	_ZN9rocsparseL19gebsrmvn_3xn_kernelILj128ELj8ELj8EfEEvi20rocsparse_direction_NS_24const_host_device_scalarIT2_EEPKiS6_PKS3_S8_S4_PS3_21rocsparse_index_base_b ; -- Begin function _ZN9rocsparseL19gebsrmvn_3xn_kernelILj128ELj8ELj8EfEEvi20rocsparse_direction_NS_24const_host_device_scalarIT2_EEPKiS6_PKS3_S8_S4_PS3_21rocsparse_index_base_b
	.p2align	8
	.type	_ZN9rocsparseL19gebsrmvn_3xn_kernelILj128ELj8ELj8EfEEvi20rocsparse_direction_NS_24const_host_device_scalarIT2_EEPKiS6_PKS3_S8_S4_PS3_21rocsparse_index_base_b,@function
_ZN9rocsparseL19gebsrmvn_3xn_kernelILj128ELj8ELj8EfEEvi20rocsparse_direction_NS_24const_host_device_scalarIT2_EEPKiS6_PKS3_S8_S4_PS3_21rocsparse_index_base_b: ; @_ZN9rocsparseL19gebsrmvn_3xn_kernelILj128ELj8ELj8EfEEvi20rocsparse_direction_NS_24const_host_device_scalarIT2_EEPKiS6_PKS3_S8_S4_PS3_21rocsparse_index_base_b
; %bb.0:
	s_clause 0x2
	s_load_b64 s[18:19], s[0:1], 0x40
	s_load_b64 s[16:17], s[0:1], 0x8
	;; [unrolled: 1-line block ×3, first 2 shown]
	s_waitcnt lgkmcnt(0)
	s_bitcmp1_b32 s19, 0
	s_cselect_b32 s2, -1, 0
	s_delay_alu instid0(SALU_CYCLE_1)
	s_and_b32 vcc_lo, exec_lo, s2
	s_xor_b32 s2, s2, -1
	s_cbranch_vccnz .LBB31_2
; %bb.1:
	s_load_b32 s16, s[16:17], 0x0
.LBB31_2:
	s_and_not1_b32 vcc_lo, exec_lo, s2
	s_cbranch_vccnz .LBB31_4
; %bb.3:
	s_load_b32 s12, s[12:13], 0x0
.LBB31_4:
	s_waitcnt lgkmcnt(0)
	v_cmp_eq_f32_e64 s2, s16, 0
	v_cmp_eq_f32_e64 s3, s12, 1.0
	s_delay_alu instid0(VALU_DEP_1) | instskip(NEXT) | instid1(SALU_CYCLE_1)
	s_and_b32 s2, s2, s3
	s_and_b32 vcc_lo, exec_lo, s2
	s_cbranch_vccnz .LBB31_23
; %bb.5:
	s_load_b64 s[2:3], s[0:1], 0x0
	v_lshrrev_b32_e32 v1, 3, v0
	s_delay_alu instid0(VALU_DEP_1) | instskip(SKIP_1) | instid1(VALU_DEP_1)
	v_lshl_or_b32 v1, s15, 4, v1
	s_waitcnt lgkmcnt(0)
	v_cmp_gt_i32_e32 vcc_lo, s2, v1
	s_and_saveexec_b32 s2, vcc_lo
	s_cbranch_execz .LBB31_23
; %bb.6:
	s_load_b256 s[4:11], s[0:1], 0x10
	v_ashrrev_i32_e32 v2, 31, v1
	v_and_b32_e32 v0, 7, v0
	s_cmp_lg_u32 s3, 0
	s_delay_alu instid0(VALU_DEP_2) | instskip(SKIP_1) | instid1(VALU_DEP_1)
	v_lshlrev_b64 v[2:3], 2, v[1:2]
	s_waitcnt lgkmcnt(0)
	v_add_co_u32 v2, vcc_lo, s4, v2
	s_delay_alu instid0(VALU_DEP_2) | instskip(SKIP_4) | instid1(VALU_DEP_2)
	v_add_co_ci_u32_e32 v3, vcc_lo, s5, v3, vcc_lo
	global_load_b64 v[2:3], v[2:3], off
	s_waitcnt vmcnt(0)
	v_subrev_nc_u32_e32 v2, s18, v2
	v_subrev_nc_u32_e32 v12, s18, v3
	v_add_nc_u32_e32 v2, v2, v0
	s_delay_alu instid0(VALU_DEP_1)
	v_cmp_lt_i32_e64 s2, v2, v12
	s_cbranch_scc0 .LBB31_12
; %bb.7:
	v_dual_mov_b32 v9, 0 :: v_dual_mov_b32 v10, 0
	v_mov_b32_e32 v11, 0
	s_mov_b32 s3, 0
	s_and_saveexec_b32 s4, s2
	s_cbranch_execz .LBB31_11
; %bb.8:
	v_mad_u64_u32 v[3:4], null, v2, 24, 23
	v_dual_mov_b32 v6, 0 :: v_dual_mov_b32 v7, v2
	v_dual_mov_b32 v9, 0 :: v_dual_mov_b32 v10, 0
	v_mov_b32_e32 v11, 0
	s_mov_b32 s5, 0
.LBB31_9:                               ; =>This Inner Loop Header: Depth=1
	s_delay_alu instid0(VALU_DEP_3) | instskip(SKIP_1) | instid1(VALU_DEP_2)
	v_ashrrev_i32_e32 v8, 31, v7
	v_mov_b32_e32 v22, v6
	v_lshlrev_b64 v[4:5], 2, v[7:8]
	v_add_nc_u32_e32 v7, 8, v7
	s_delay_alu instid0(VALU_DEP_2) | instskip(NEXT) | instid1(VALU_DEP_3)
	v_add_co_u32 v4, vcc_lo, s6, v4
	v_add_co_ci_u32_e32 v5, vcc_lo, s7, v5, vcc_lo
	global_load_b32 v8, v[4:5], off
	v_subrev_nc_u32_e32 v5, 23, v3
	v_mov_b32_e32 v4, v6
	s_delay_alu instid0(VALU_DEP_2) | instskip(SKIP_1) | instid1(VALU_DEP_1)
	v_lshlrev_b64 v[13:14], 2, v[5:6]
	v_add_nc_u32_e32 v5, -15, v3
	v_lshlrev_b64 v[17:18], 2, v[5:6]
	v_add_nc_u32_e32 v5, -14, v3
	v_lshlrev_b64 v[15:16], 2, v[3:4]
	v_add_co_u32 v19, vcc_lo, s8, v13
	v_add_co_ci_u32_e32 v20, vcc_lo, s9, v14, vcc_lo
	s_delay_alu instid0(VALU_DEP_4) | instskip(NEXT) | instid1(VALU_DEP_4)
	v_lshlrev_b64 v[23:24], 2, v[5:6]
	v_add_co_u32 v29, vcc_lo, s8, v15
	v_add_co_ci_u32_e32 v30, vcc_lo, s9, v16, vcc_lo
	v_add_co_u32 v25, vcc_lo, s8, v17
	v_add_co_ci_u32_e32 v26, vcc_lo, s9, v18, vcc_lo
	s_clause 0x1
	global_load_b128 v[13:16], v[19:20], off offset:16
	global_load_b128 v[17:20], v[19:20], off
	v_add_nc_u32_e32 v5, -13, v3
	v_add_co_u32 v23, vcc_lo, s8, v23
	v_add_co_ci_u32_e32 v24, vcc_lo, s9, v24, vcc_lo
	s_delay_alu instid0(VALU_DEP_3)
	v_lshlrev_b64 v[27:28], 2, v[5:6]
	v_add_nc_u32_e32 v5, -12, v3
	global_load_b32 v37, v[25:26], off
	v_add_co_u32 v27, vcc_lo, s8, v27
	v_add_co_ci_u32_e32 v28, vcc_lo, s9, v28, vcc_lo
	s_clause 0x1
	global_load_b32 v39, v[27:28], off
	global_load_b32 v38, v[23:24], off
	v_lshlrev_b64 v[25:26], 2, v[5:6]
	s_delay_alu instid0(VALU_DEP_1) | instskip(NEXT) | instid1(VALU_DEP_2)
	v_add_co_u32 v25, vcc_lo, s8, v25
	v_add_co_ci_u32_e32 v26, vcc_lo, s9, v26, vcc_lo
	global_load_b32 v40, v[25:26], off
	v_add_nc_u32_e32 v5, -11, v3
	s_delay_alu instid0(VALU_DEP_1) | instskip(SKIP_1) | instid1(VALU_DEP_2)
	v_lshlrev_b64 v[23:24], 2, v[5:6]
	v_add_nc_u32_e32 v5, -10, v3
	v_add_co_u32 v23, vcc_lo, s8, v23
	s_delay_alu instid0(VALU_DEP_2)
	v_lshlrev_b64 v[27:28], 2, v[5:6]
	v_add_nc_u32_e32 v5, -9, v3
	v_add_co_ci_u32_e32 v24, vcc_lo, s9, v24, vcc_lo
	global_load_b32 v41, v[23:24], off
	v_lshlrev_b64 v[25:26], 2, v[5:6]
	v_add_nc_u32_e32 v5, -8, v3
	v_add_co_u32 v23, vcc_lo, s8, v27
	v_add_co_ci_u32_e32 v24, vcc_lo, s9, v28, vcc_lo
	s_delay_alu instid0(VALU_DEP_4) | instskip(NEXT) | instid1(VALU_DEP_4)
	v_add_co_u32 v25, vcc_lo, s8, v25
	v_lshlrev_b64 v[27:28], 2, v[5:6]
	v_add_nc_u32_e32 v5, -7, v3
	v_add_co_ci_u32_e32 v26, vcc_lo, s9, v26, vcc_lo
	s_clause 0x1
	global_load_b32 v42, v[23:24], off
	global_load_b32 v43, v[25:26], off
	v_lshlrev_b64 v[23:24], 2, v[5:6]
	v_add_nc_u32_e32 v5, -6, v3
	v_add_co_u32 v25, vcc_lo, s8, v27
	v_add_co_ci_u32_e32 v26, vcc_lo, s9, v28, vcc_lo
	s_delay_alu instid0(VALU_DEP_3)
	v_lshlrev_b64 v[27:28], 2, v[5:6]
	v_add_co_u32 v23, vcc_lo, s8, v23
	v_add_co_ci_u32_e32 v24, vcc_lo, s9, v24, vcc_lo
	global_load_b32 v44, v[25:26], off
	v_add_co_u32 v33, vcc_lo, s8, v27
	global_load_b32 v45, v[23:24], off
	v_add_co_ci_u32_e32 v34, vcc_lo, s9, v28, vcc_lo
	v_add_nc_u32_e32 v5, -5, v3
	s_delay_alu instid0(VALU_DEP_1) | instskip(SKIP_1) | instid1(VALU_DEP_1)
	v_lshlrev_b64 v[31:32], 2, v[5:6]
	v_add_nc_u32_e32 v5, -4, v3
	v_lshlrev_b64 v[35:36], 2, v[5:6]
	v_add_nc_u32_e32 v5, -3, v3
	s_waitcnt vmcnt(11)
	v_subrev_nc_u32_e32 v4, s18, v8
	s_delay_alu instid0(VALU_DEP_1) | instskip(NEXT) | instid1(VALU_DEP_1)
	v_lshlrev_b32_e32 v21, 3, v4
	v_lshlrev_b64 v[21:22], 2, v[21:22]
	s_delay_alu instid0(VALU_DEP_1) | instskip(NEXT) | instid1(VALU_DEP_2)
	v_add_co_u32 v25, vcc_lo, s10, v21
	v_add_co_ci_u32_e32 v26, vcc_lo, s11, v22, vcc_lo
	v_add_co_u32 v31, vcc_lo, s8, v31
	v_add_co_ci_u32_e32 v32, vcc_lo, s9, v32, vcc_lo
	s_clause 0x1
	global_load_b128 v[21:24], v[25:26], off
	global_load_b128 v[25:28], v[25:26], off offset:16
	s_clause 0x1
	global_load_b32 v8, v[33:34], off
	global_load_b32 v46, v[31:32], off
	v_lshlrev_b64 v[33:34], 2, v[5:6]
	v_add_nc_u32_e32 v5, -2, v3
	v_add_co_u32 v31, vcc_lo, s8, v35
	v_add_co_ci_u32_e32 v32, vcc_lo, s9, v36, vcc_lo
	s_delay_alu instid0(VALU_DEP_3) | instskip(SKIP_3) | instid1(VALU_DEP_3)
	v_lshlrev_b64 v[35:36], 2, v[5:6]
	v_add_nc_u32_e32 v5, -1, v3
	v_add_co_u32 v33, vcc_lo, s8, v33
	v_add_co_ci_u32_e32 v34, vcc_lo, s9, v34, vcc_lo
	v_lshlrev_b64 v[4:5], 2, v[5:6]
	global_load_b32 v47, v[31:32], off
	v_add_nc_u32_e32 v3, 0xc0, v3
	global_load_b32 v33, v[33:34], off
	v_add_co_u32 v31, vcc_lo, s8, v35
	v_add_co_ci_u32_e32 v32, vcc_lo, s9, v36, vcc_lo
	v_add_co_u32 v4, vcc_lo, s8, v4
	v_add_co_ci_u32_e32 v5, vcc_lo, s9, v5, vcc_lo
	s_clause 0x2
	global_load_b32 v31, v[31:32], off
	global_load_b32 v4, v[4:5], off
	;; [unrolled: 1-line block ×3, first 2 shown]
	v_cmp_ge_i32_e32 vcc_lo, v7, v12
	s_or_b32 s5, vcc_lo, s5
	s_waitcnt vmcnt(8)
	v_fmac_f32_e32 v10, v19, v21
	s_delay_alu instid0(VALU_DEP_1) | instskip(NEXT) | instid1(VALU_DEP_1)
	v_dual_fmac_f32 v9, v17, v21 :: v_dual_fmac_f32 v10, v14, v22
	v_fmac_f32_e32 v10, v37, v23
	s_delay_alu instid0(VALU_DEP_1) | instskip(SKIP_1) | instid1(VALU_DEP_1)
	v_fmac_f32_e32 v10, v40, v24
	s_waitcnt vmcnt(7)
	v_fmac_f32_e32 v10, v43, v25
	s_waitcnt vmcnt(6)
	s_delay_alu instid0(VALU_DEP_1) | instskip(SKIP_1) | instid1(VALU_DEP_1)
	v_dual_fmac_f32 v10, v8, v26 :: v_dual_fmac_f32 v11, v18, v21
	s_waitcnt vmcnt(3)
	v_dual_fmac_f32 v10, v33, v27 :: v_dual_fmac_f32 v9, v20, v22
	s_delay_alu instid0(VALU_DEP_2) | instskip(SKIP_1) | instid1(VALU_DEP_2)
	v_fmac_f32_e32 v11, v13, v22
	s_waitcnt vmcnt(0)
	v_dual_fmac_f32 v10, v5, v28 :: v_dual_fmac_f32 v9, v15, v23
	s_delay_alu instid0(VALU_DEP_2) | instskip(NEXT) | instid1(VALU_DEP_2)
	v_fmac_f32_e32 v11, v16, v23
	v_fmac_f32_e32 v9, v38, v24
	s_delay_alu instid0(VALU_DEP_2) | instskip(NEXT) | instid1(VALU_DEP_2)
	v_fmac_f32_e32 v11, v39, v24
	v_fmac_f32_e32 v9, v41, v25
	;; [unrolled: 3-line block ×5, first 2 shown]
	s_delay_alu instid0(VALU_DEP_2)
	v_fmac_f32_e32 v11, v4, v28
	s_and_not1_b32 exec_lo, exec_lo, s5
	s_cbranch_execnz .LBB31_9
; %bb.10:
	s_or_b32 exec_lo, exec_lo, s5
.LBB31_11:
	s_delay_alu instid0(SALU_CYCLE_1) | instskip(NEXT) | instid1(SALU_CYCLE_1)
	s_or_b32 exec_lo, exec_lo, s4
	s_and_not1_b32 vcc_lo, exec_lo, s3
	s_cbranch_vccz .LBB31_13
	s_branch .LBB31_18
.LBB31_12:
                                        ; implicit-def: $vgpr9
                                        ; implicit-def: $vgpr10
                                        ; implicit-def: $vgpr11
.LBB31_13:
	v_dual_mov_b32 v9, 0 :: v_dual_mov_b32 v10, 0
	v_mov_b32_e32 v11, 0
	s_delay_alu instid0(VALU_DEP_3)
	s_and_saveexec_b32 s3, s2
	s_cbranch_execz .LBB31_17
; %bb.14:
	v_mad_u64_u32 v[4:5], null, v2, 24, 23
	v_dual_mov_b32 v7, 0 :: v_dual_mov_b32 v10, 0
	v_mov_b32_e32 v9, 0
	v_mov_b32_e32 v11, 0
	s_mov_b32 s2, 0
.LBB31_15:                              ; =>This Inner Loop Header: Depth=1
	v_ashrrev_i32_e32 v3, 31, v2
	v_dual_mov_b32 v22, v7 :: v_dual_add_nc_u32 v13, -15, v4
	v_dual_mov_b32 v14, v7 :: v_dual_add_nc_u32 v15, -7, v4
	s_delay_alu instid0(VALU_DEP_3) | instskip(SKIP_1) | instid1(VALU_DEP_3)
	v_lshlrev_b64 v[5:6], 2, v[2:3]
	v_add_nc_u32_e32 v2, 8, v2
	v_lshlrev_b64 v[13:14], 2, v[13:14]
	s_delay_alu instid0(VALU_DEP_3) | instskip(NEXT) | instid1(VALU_DEP_4)
	v_add_co_u32 v5, vcc_lo, s6, v5
	v_add_co_ci_u32_e32 v6, vcc_lo, s7, v6, vcc_lo
	global_load_b32 v3, v[5:6], off
	v_subrev_nc_u32_e32 v6, 23, v4
	v_mov_b32_e32 v5, v7
	s_delay_alu instid0(VALU_DEP_2) | instskip(SKIP_1) | instid1(VALU_DEP_3)
	v_lshlrev_b64 v[17:18], 2, v[6:7]
	v_add_nc_u32_e32 v6, -14, v4
	v_lshlrev_b64 v[19:20], 2, v[4:5]
	s_delay_alu instid0(VALU_DEP_2) | instskip(NEXT) | instid1(VALU_DEP_4)
	v_lshlrev_b64 v[23:24], 2, v[6:7]
	v_add_co_u32 v17, vcc_lo, s8, v17
	v_add_co_ci_u32_e32 v18, vcc_lo, s9, v18, vcc_lo
	v_add_co_u32 v25, vcc_lo, s8, v13
	v_add_co_ci_u32_e32 v26, vcc_lo, s9, v14, vcc_lo
	s_waitcnt vmcnt(0)
	v_subrev_nc_u32_e32 v3, s18, v3
	s_delay_alu instid0(VALU_DEP_1) | instskip(NEXT) | instid1(VALU_DEP_1)
	v_dual_mov_b32 v16, v7 :: v_dual_lshlrev_b32 v21, 3, v3
	v_lshlrev_b64 v[15:16], 2, v[15:16]
	s_delay_alu instid0(VALU_DEP_2) | instskip(NEXT) | instid1(VALU_DEP_2)
	v_lshlrev_b64 v[21:22], 2, v[21:22]
	v_add_co_u32 v27, vcc_lo, s8, v15
	s_delay_alu instid0(VALU_DEP_3)
	v_add_co_ci_u32_e32 v28, vcc_lo, s9, v16, vcc_lo
	v_add_co_u32 v29, vcc_lo, s8, v19
	v_add_co_ci_u32_e32 v30, vcc_lo, s9, v20, vcc_lo
	s_clause 0x1
	global_load_b128 v[13:16], v[17:18], off offset:16
	global_load_b128 v[17:20], v[17:18], off
	v_add_nc_u32_e32 v6, -6, v4
	s_clause 0x1
	global_load_b32 v8, v[25:26], off
	global_load_b32 v37, v[27:28], off
	v_add_co_u32 v23, vcc_lo, s8, v23
	v_add_co_ci_u32_e32 v24, vcc_lo, s9, v24, vcc_lo
	v_lshlrev_b64 v[31:32], 2, v[6:7]
	v_add_nc_u32_e32 v6, -13, v4
	global_load_b32 v38, v[23:24], off
	v_lshlrev_b64 v[25:26], 2, v[6:7]
	v_add_nc_u32_e32 v6, -5, v4
	v_add_co_u32 v23, vcc_lo, s8, v31
	v_add_co_ci_u32_e32 v24, vcc_lo, s9, v32, vcc_lo
	s_delay_alu instid0(VALU_DEP_4) | instskip(NEXT) | instid1(VALU_DEP_4)
	v_add_co_u32 v25, vcc_lo, s8, v25
	v_lshlrev_b64 v[27:28], 2, v[6:7]
	v_add_nc_u32_e32 v6, -12, v4
	v_add_co_ci_u32_e32 v26, vcc_lo, s9, v26, vcc_lo
	s_clause 0x1
	global_load_b32 v39, v[23:24], off
	global_load_b32 v40, v[25:26], off
	v_lshlrev_b64 v[23:24], 2, v[6:7]
	v_add_nc_u32_e32 v6, -4, v4
	v_add_co_u32 v25, vcc_lo, s8, v27
	v_add_co_ci_u32_e32 v26, vcc_lo, s9, v28, vcc_lo
	s_delay_alu instid0(VALU_DEP_4) | instskip(NEXT) | instid1(VALU_DEP_4)
	v_add_co_u32 v23, vcc_lo, s8, v23
	v_lshlrev_b64 v[27:28], 2, v[6:7]
	v_add_nc_u32_e32 v6, -11, v4
	v_add_co_ci_u32_e32 v24, vcc_lo, s9, v24, vcc_lo
	s_clause 0x1
	global_load_b32 v41, v[25:26], off
	global_load_b32 v42, v[23:24], off
	v_lshlrev_b64 v[25:26], 2, v[6:7]
	v_add_nc_u32_e32 v6, -3, v4
	v_add_co_u32 v23, vcc_lo, s8, v27
	v_add_co_ci_u32_e32 v24, vcc_lo, s9, v28, vcc_lo
	s_delay_alu instid0(VALU_DEP_3)
	v_lshlrev_b64 v[27:28], 2, v[6:7]
	v_add_co_u32 v25, vcc_lo, s8, v25
	v_add_co_ci_u32_e32 v26, vcc_lo, s9, v26, vcc_lo
	global_load_b32 v43, v[23:24], off
	v_add_co_u32 v33, vcc_lo, s8, v27
	global_load_b32 v44, v[25:26], off
	v_add_co_ci_u32_e32 v34, vcc_lo, s9, v28, vcc_lo
	v_add_co_u32 v25, vcc_lo, s10, v21
	v_add_co_ci_u32_e32 v26, vcc_lo, s11, v22, vcc_lo
	s_clause 0x1
	global_load_b128 v[21:24], v[25:26], off
	global_load_b128 v[25:28], v[25:26], off offset:16
	global_load_b32 v3, v[33:34], off
	s_waitcnt vmcnt(2)
	v_fmac_f32_e32 v9, v17, v21
	v_fmac_f32_e32 v11, v8, v21
	s_delay_alu instid0(VALU_DEP_2) | instskip(NEXT) | instid1(VALU_DEP_2)
	v_fmac_f32_e32 v9, v18, v22
	v_fmac_f32_e32 v11, v38, v22
	s_delay_alu instid0(VALU_DEP_2) | instskip(NEXT) | instid1(VALU_DEP_2)
	v_dual_fmac_f32 v9, v19, v23 :: v_dual_fmac_f32 v10, v37, v21
	v_fmac_f32_e32 v11, v40, v23
	s_delay_alu instid0(VALU_DEP_2) | instskip(NEXT) | instid1(VALU_DEP_2)
	v_dual_fmac_f32 v9, v20, v24 :: v_dual_fmac_f32 v10, v39, v22
	v_fmac_f32_e32 v11, v42, v24
	s_waitcnt vmcnt(1)
	s_delay_alu instid0(VALU_DEP_2) | instskip(NEXT) | instid1(VALU_DEP_2)
	v_dual_fmac_f32 v9, v13, v25 :: v_dual_add_nc_u32 v6, -10, v4
	v_fmac_f32_e32 v11, v44, v25
	s_delay_alu instid0(VALU_DEP_2) | instskip(NEXT) | instid1(VALU_DEP_3)
	v_lshlrev_b64 v[31:32], 2, v[6:7]
	v_dual_fmac_f32 v9, v14, v26 :: v_dual_add_nc_u32 v6, -2, v4
	s_delay_alu instid0(VALU_DEP_2) | instskip(NEXT) | instid1(VALU_DEP_3)
	v_add_co_u32 v31, vcc_lo, s8, v31
	v_add_co_ci_u32_e32 v32, vcc_lo, s9, v32, vcc_lo
	s_delay_alu instid0(VALU_DEP_3) | instskip(NEXT) | instid1(VALU_DEP_4)
	v_lshlrev_b64 v[35:36], 2, v[6:7]
	v_fmac_f32_e32 v9, v15, v27
	v_fmac_f32_e32 v10, v41, v23
	global_load_b32 v45, v[31:32], off
	v_add_nc_u32_e32 v6, -9, v4
	v_add_co_u32 v31, vcc_lo, s8, v35
	v_add_co_ci_u32_e32 v32, vcc_lo, s9, v36, vcc_lo
	v_fmac_f32_e32 v9, v16, v28
	v_fmac_f32_e32 v10, v43, v24
	global_load_b32 v46, v[31:32], off
	s_waitcnt vmcnt(1)
	v_fmac_f32_e32 v11, v45, v26
	v_lshlrev_b64 v[33:34], 2, v[6:7]
	v_add_nc_u32_e32 v6, -1, v4
	s_delay_alu instid0(VALU_DEP_2) | instskip(NEXT) | instid1(VALU_DEP_3)
	v_add_co_u32 v33, vcc_lo, s8, v33
	v_add_co_ci_u32_e32 v34, vcc_lo, s9, v34, vcc_lo
	s_delay_alu instid0(VALU_DEP_3)
	v_lshlrev_b64 v[35:36], 2, v[6:7]
	global_load_b32 v33, v[33:34], off
	v_add_nc_u32_e32 v6, -8, v4
	v_add_nc_u32_e32 v4, 0xc0, v4
	v_add_co_u32 v31, vcc_lo, s8, v35
	v_add_co_ci_u32_e32 v32, vcc_lo, s9, v36, vcc_lo
	s_waitcnt vmcnt(0)
	v_fmac_f32_e32 v11, v33, v27
	v_lshlrev_b64 v[5:6], 2, v[6:7]
	s_delay_alu instid0(VALU_DEP_1) | instskip(NEXT) | instid1(VALU_DEP_2)
	v_add_co_u32 v5, vcc_lo, s8, v5
	v_add_co_ci_u32_e32 v6, vcc_lo, s9, v6, vcc_lo
	s_clause 0x2
	global_load_b32 v31, v[31:32], off
	global_load_b32 v5, v[5:6], off
	;; [unrolled: 1-line block ×3, first 2 shown]
	v_fmac_f32_e32 v10, v3, v25
	v_cmp_ge_i32_e32 vcc_lo, v2, v12
	s_or_b32 s2, vcc_lo, s2
	s_waitcnt vmcnt(1)
	s_delay_alu instid0(VALU_DEP_2) | instskip(NEXT) | instid1(VALU_DEP_1)
	v_dual_fmac_f32 v11, v5, v28 :: v_dual_fmac_f32 v10, v46, v26
	v_fmac_f32_e32 v10, v31, v27
	s_waitcnt vmcnt(0)
	s_delay_alu instid0(VALU_DEP_1)
	v_fmac_f32_e32 v10, v6, v28
	s_and_not1_b32 exec_lo, exec_lo, s2
	s_cbranch_execnz .LBB31_15
; %bb.16:
	s_or_b32 exec_lo, exec_lo, s2
.LBB31_17:
	s_delay_alu instid0(SALU_CYCLE_1)
	s_or_b32 exec_lo, exec_lo, s3
.LBB31_18:
	v_mbcnt_lo_u32_b32 v2, -1, 0
	s_mov_b32 s2, -1
	s_delay_alu instid0(VALU_DEP_1) | instskip(SKIP_1) | instid1(VALU_DEP_2)
	v_xor_b32_e32 v3, 4, v2
	v_xor_b32_e32 v6, 2, v2
	v_cmp_gt_i32_e32 vcc_lo, 32, v3
	v_cndmask_b32_e32 v3, v2, v3, vcc_lo
	s_delay_alu instid0(VALU_DEP_3) | instskip(SKIP_1) | instid1(VALU_DEP_1)
	v_cmp_gt_i32_e32 vcc_lo, 32, v6
	v_cndmask_b32_e32 v6, v2, v6, vcc_lo
	v_lshlrev_b32_e32 v6, 2, v6
	s_delay_alu instid0(VALU_DEP_4)
	v_lshlrev_b32_e32 v3, 2, v3
	ds_bpermute_b32 v4, v3, v9
	s_waitcnt lgkmcnt(0)
	v_add_f32_e32 v4, v9, v4
	ds_bpermute_b32 v5, v3, v11
	ds_bpermute_b32 v3, v3, v10
	v_xor_b32_e32 v9, 1, v2
	s_delay_alu instid0(VALU_DEP_1)
	v_cmp_gt_i32_e32 vcc_lo, 32, v9
	s_waitcnt lgkmcnt(1)
	v_add_f32_e32 v5, v11, v5
	s_waitcnt lgkmcnt(0)
	v_add_f32_e32 v7, v10, v3
	ds_bpermute_b32 v3, v6, v4
	ds_bpermute_b32 v8, v6, v5
	;; [unrolled: 1-line block ×3, first 2 shown]
	v_cndmask_b32_e32 v2, v2, v9, vcc_lo
	v_cmp_eq_u32_e32 vcc_lo, 7, v0
	s_waitcnt lgkmcnt(2)
	s_delay_alu instid0(VALU_DEP_2)
	v_dual_add_f32 v2, v4, v3 :: v_dual_lshlrev_b32 v9, 2, v2
	s_waitcnt lgkmcnt(0)
	v_dual_add_f32 v3, v5, v8 :: v_dual_add_f32 v4, v7, v6
	ds_bpermute_b32 v5, v9, v2
	ds_bpermute_b32 v6, v9, v3
	ds_bpermute_b32 v7, v9, v4
	s_and_b32 exec_lo, exec_lo, vcc_lo
	s_cbranch_execz .LBB31_23
; %bb.19:
	s_load_b64 s[0:1], s[0:1], 0x38
	s_waitcnt lgkmcnt(0)
	v_add_f32_e32 v0, v2, v5
	v_add_f32_e32 v2, v3, v6
	;; [unrolled: 1-line block ×3, first 2 shown]
	v_lshl_add_u32 v3, v1, 1, v1
	v_cmp_eq_f32_e64 s3, s12, 0
	s_delay_alu instid0(VALU_DEP_4) | instskip(NEXT) | instid1(VALU_DEP_4)
	v_dual_mul_f32 v1, s16, v2 :: v_dual_mul_f32 v0, s16, v0
	v_mul_f32_e32 v2, s16, v4
	s_delay_alu instid0(VALU_DEP_4) | instskip(NEXT) | instid1(VALU_DEP_4)
	v_ashrrev_i32_e32 v4, 31, v3
	s_and_b32 vcc_lo, exec_lo, s3
	s_cbranch_vccz .LBB31_21
; %bb.20:
	s_delay_alu instid0(VALU_DEP_1) | instskip(SKIP_1) | instid1(VALU_DEP_1)
	v_lshlrev_b64 v[5:6], 2, v[3:4]
	s_mov_b32 s2, 0
	v_add_co_u32 v5, vcc_lo, s0, v5
	s_delay_alu instid0(VALU_DEP_2)
	v_add_co_ci_u32_e32 v6, vcc_lo, s1, v6, vcc_lo
	global_store_b96 v[5:6], v[0:2], off
.LBB31_21:
	s_and_not1_b32 vcc_lo, exec_lo, s2
	s_cbranch_vccnz .LBB31_23
; %bb.22:
	v_lshlrev_b64 v[3:4], 2, v[3:4]
	s_delay_alu instid0(VALU_DEP_1) | instskip(NEXT) | instid1(VALU_DEP_2)
	v_add_co_u32 v6, vcc_lo, s0, v3
	v_add_co_ci_u32_e32 v7, vcc_lo, s1, v4, vcc_lo
	global_load_b96 v[3:5], v[6:7], off
	s_waitcnt vmcnt(0)
	v_dual_fmac_f32 v0, s12, v3 :: v_dual_fmac_f32 v1, s12, v4
	v_fmac_f32_e32 v2, s12, v5
	global_store_b96 v[6:7], v[0:2], off
.LBB31_23:
	s_nop 0
	s_sendmsg sendmsg(MSG_DEALLOC_VGPRS)
	s_endpgm
	.section	.rodata,"a",@progbits
	.p2align	6, 0x0
	.amdhsa_kernel _ZN9rocsparseL19gebsrmvn_3xn_kernelILj128ELj8ELj8EfEEvi20rocsparse_direction_NS_24const_host_device_scalarIT2_EEPKiS6_PKS3_S8_S4_PS3_21rocsparse_index_base_b
		.amdhsa_group_segment_fixed_size 0
		.amdhsa_private_segment_fixed_size 0
		.amdhsa_kernarg_size 72
		.amdhsa_user_sgpr_count 15
		.amdhsa_user_sgpr_dispatch_ptr 0
		.amdhsa_user_sgpr_queue_ptr 0
		.amdhsa_user_sgpr_kernarg_segment_ptr 1
		.amdhsa_user_sgpr_dispatch_id 0
		.amdhsa_user_sgpr_private_segment_size 0
		.amdhsa_wavefront_size32 1
		.amdhsa_uses_dynamic_stack 0
		.amdhsa_enable_private_segment 0
		.amdhsa_system_sgpr_workgroup_id_x 1
		.amdhsa_system_sgpr_workgroup_id_y 0
		.amdhsa_system_sgpr_workgroup_id_z 0
		.amdhsa_system_sgpr_workgroup_info 0
		.amdhsa_system_vgpr_workitem_id 0
		.amdhsa_next_free_vgpr 48
		.amdhsa_next_free_sgpr 20
		.amdhsa_reserve_vcc 1
		.amdhsa_float_round_mode_32 0
		.amdhsa_float_round_mode_16_64 0
		.amdhsa_float_denorm_mode_32 3
		.amdhsa_float_denorm_mode_16_64 3
		.amdhsa_dx10_clamp 1
		.amdhsa_ieee_mode 1
		.amdhsa_fp16_overflow 0
		.amdhsa_workgroup_processor_mode 1
		.amdhsa_memory_ordered 1
		.amdhsa_forward_progress 0
		.amdhsa_shared_vgpr_count 0
		.amdhsa_exception_fp_ieee_invalid_op 0
		.amdhsa_exception_fp_denorm_src 0
		.amdhsa_exception_fp_ieee_div_zero 0
		.amdhsa_exception_fp_ieee_overflow 0
		.amdhsa_exception_fp_ieee_underflow 0
		.amdhsa_exception_fp_ieee_inexact 0
		.amdhsa_exception_int_div_zero 0
	.end_amdhsa_kernel
	.section	.text._ZN9rocsparseL19gebsrmvn_3xn_kernelILj128ELj8ELj8EfEEvi20rocsparse_direction_NS_24const_host_device_scalarIT2_EEPKiS6_PKS3_S8_S4_PS3_21rocsparse_index_base_b,"axG",@progbits,_ZN9rocsparseL19gebsrmvn_3xn_kernelILj128ELj8ELj8EfEEvi20rocsparse_direction_NS_24const_host_device_scalarIT2_EEPKiS6_PKS3_S8_S4_PS3_21rocsparse_index_base_b,comdat
.Lfunc_end31:
	.size	_ZN9rocsparseL19gebsrmvn_3xn_kernelILj128ELj8ELj8EfEEvi20rocsparse_direction_NS_24const_host_device_scalarIT2_EEPKiS6_PKS3_S8_S4_PS3_21rocsparse_index_base_b, .Lfunc_end31-_ZN9rocsparseL19gebsrmvn_3xn_kernelILj128ELj8ELj8EfEEvi20rocsparse_direction_NS_24const_host_device_scalarIT2_EEPKiS6_PKS3_S8_S4_PS3_21rocsparse_index_base_b
                                        ; -- End function
	.section	.AMDGPU.csdata,"",@progbits
; Kernel info:
; codeLenInByte = 2592
; NumSgprs: 22
; NumVgprs: 48
; ScratchSize: 0
; MemoryBound: 0
; FloatMode: 240
; IeeeMode: 1
; LDSByteSize: 0 bytes/workgroup (compile time only)
; SGPRBlocks: 2
; VGPRBlocks: 5
; NumSGPRsForWavesPerEU: 22
; NumVGPRsForWavesPerEU: 48
; Occupancy: 16
; WaveLimiterHint : 1
; COMPUTE_PGM_RSRC2:SCRATCH_EN: 0
; COMPUTE_PGM_RSRC2:USER_SGPR: 15
; COMPUTE_PGM_RSRC2:TRAP_HANDLER: 0
; COMPUTE_PGM_RSRC2:TGID_X_EN: 1
; COMPUTE_PGM_RSRC2:TGID_Y_EN: 0
; COMPUTE_PGM_RSRC2:TGID_Z_EN: 0
; COMPUTE_PGM_RSRC2:TIDIG_COMP_CNT: 0
	.section	.text._ZN9rocsparseL19gebsrmvn_3xn_kernelILj128ELj8ELj16EfEEvi20rocsparse_direction_NS_24const_host_device_scalarIT2_EEPKiS6_PKS3_S8_S4_PS3_21rocsparse_index_base_b,"axG",@progbits,_ZN9rocsparseL19gebsrmvn_3xn_kernelILj128ELj8ELj16EfEEvi20rocsparse_direction_NS_24const_host_device_scalarIT2_EEPKiS6_PKS3_S8_S4_PS3_21rocsparse_index_base_b,comdat
	.globl	_ZN9rocsparseL19gebsrmvn_3xn_kernelILj128ELj8ELj16EfEEvi20rocsparse_direction_NS_24const_host_device_scalarIT2_EEPKiS6_PKS3_S8_S4_PS3_21rocsparse_index_base_b ; -- Begin function _ZN9rocsparseL19gebsrmvn_3xn_kernelILj128ELj8ELj16EfEEvi20rocsparse_direction_NS_24const_host_device_scalarIT2_EEPKiS6_PKS3_S8_S4_PS3_21rocsparse_index_base_b
	.p2align	8
	.type	_ZN9rocsparseL19gebsrmvn_3xn_kernelILj128ELj8ELj16EfEEvi20rocsparse_direction_NS_24const_host_device_scalarIT2_EEPKiS6_PKS3_S8_S4_PS3_21rocsparse_index_base_b,@function
_ZN9rocsparseL19gebsrmvn_3xn_kernelILj128ELj8ELj16EfEEvi20rocsparse_direction_NS_24const_host_device_scalarIT2_EEPKiS6_PKS3_S8_S4_PS3_21rocsparse_index_base_b: ; @_ZN9rocsparseL19gebsrmvn_3xn_kernelILj128ELj8ELj16EfEEvi20rocsparse_direction_NS_24const_host_device_scalarIT2_EEPKiS6_PKS3_S8_S4_PS3_21rocsparse_index_base_b
; %bb.0:
	s_clause 0x2
	s_load_b64 s[18:19], s[0:1], 0x40
	s_load_b64 s[16:17], s[0:1], 0x8
	;; [unrolled: 1-line block ×3, first 2 shown]
	s_waitcnt lgkmcnt(0)
	s_bitcmp1_b32 s19, 0
	s_cselect_b32 s2, -1, 0
	s_delay_alu instid0(SALU_CYCLE_1)
	s_and_b32 vcc_lo, exec_lo, s2
	s_xor_b32 s2, s2, -1
	s_cbranch_vccnz .LBB32_2
; %bb.1:
	s_load_b32 s16, s[16:17], 0x0
.LBB32_2:
	s_and_not1_b32 vcc_lo, exec_lo, s2
	s_cbranch_vccnz .LBB32_4
; %bb.3:
	s_load_b32 s12, s[12:13], 0x0
.LBB32_4:
	s_waitcnt lgkmcnt(0)
	v_cmp_eq_f32_e64 s2, s16, 0
	v_cmp_eq_f32_e64 s3, s12, 1.0
	s_delay_alu instid0(VALU_DEP_1) | instskip(NEXT) | instid1(SALU_CYCLE_1)
	s_and_b32 s2, s2, s3
	s_and_b32 vcc_lo, exec_lo, s2
	s_cbranch_vccnz .LBB32_23
; %bb.5:
	s_load_b64 s[2:3], s[0:1], 0x0
	v_lshrrev_b32_e32 v1, 4, v0
	s_delay_alu instid0(VALU_DEP_1) | instskip(SKIP_1) | instid1(VALU_DEP_1)
	v_lshl_or_b32 v1, s15, 3, v1
	s_waitcnt lgkmcnt(0)
	v_cmp_gt_i32_e32 vcc_lo, s2, v1
	s_and_saveexec_b32 s2, vcc_lo
	s_cbranch_execz .LBB32_23
; %bb.6:
	s_load_b256 s[4:11], s[0:1], 0x10
	v_ashrrev_i32_e32 v2, 31, v1
	v_and_b32_e32 v0, 15, v0
	s_cmp_lg_u32 s3, 0
	s_delay_alu instid0(VALU_DEP_2) | instskip(SKIP_1) | instid1(VALU_DEP_1)
	v_lshlrev_b64 v[2:3], 2, v[1:2]
	s_waitcnt lgkmcnt(0)
	v_add_co_u32 v2, vcc_lo, s4, v2
	s_delay_alu instid0(VALU_DEP_2) | instskip(SKIP_4) | instid1(VALU_DEP_2)
	v_add_co_ci_u32_e32 v3, vcc_lo, s5, v3, vcc_lo
	global_load_b64 v[2:3], v[2:3], off
	s_waitcnt vmcnt(0)
	v_subrev_nc_u32_e32 v2, s18, v2
	v_subrev_nc_u32_e32 v12, s18, v3
	v_add_nc_u32_e32 v2, v2, v0
	s_delay_alu instid0(VALU_DEP_1)
	v_cmp_lt_i32_e64 s2, v2, v12
	s_cbranch_scc0 .LBB32_12
; %bb.7:
	v_dual_mov_b32 v9, 0 :: v_dual_mov_b32 v10, 0
	v_mov_b32_e32 v11, 0
	s_mov_b32 s3, 0
	s_and_saveexec_b32 s4, s2
	s_cbranch_execz .LBB32_11
; %bb.8:
	v_mad_u64_u32 v[3:4], null, v2, 24, 23
	v_dual_mov_b32 v6, 0 :: v_dual_mov_b32 v7, v2
	v_dual_mov_b32 v9, 0 :: v_dual_mov_b32 v10, 0
	v_mov_b32_e32 v11, 0
	s_mov_b32 s5, 0
.LBB32_9:                               ; =>This Inner Loop Header: Depth=1
	s_delay_alu instid0(VALU_DEP_3) | instskip(SKIP_1) | instid1(VALU_DEP_2)
	v_ashrrev_i32_e32 v8, 31, v7
	v_mov_b32_e32 v22, v6
	v_lshlrev_b64 v[4:5], 2, v[7:8]
	v_add_nc_u32_e32 v7, 16, v7
	s_delay_alu instid0(VALU_DEP_2) | instskip(NEXT) | instid1(VALU_DEP_3)
	v_add_co_u32 v4, vcc_lo, s6, v4
	v_add_co_ci_u32_e32 v5, vcc_lo, s7, v5, vcc_lo
	global_load_b32 v8, v[4:5], off
	v_subrev_nc_u32_e32 v5, 23, v3
	v_mov_b32_e32 v4, v6
	s_delay_alu instid0(VALU_DEP_2) | instskip(SKIP_1) | instid1(VALU_DEP_1)
	v_lshlrev_b64 v[13:14], 2, v[5:6]
	v_add_nc_u32_e32 v5, -15, v3
	v_lshlrev_b64 v[17:18], 2, v[5:6]
	v_add_nc_u32_e32 v5, -14, v3
	v_lshlrev_b64 v[15:16], 2, v[3:4]
	v_add_co_u32 v19, vcc_lo, s8, v13
	v_add_co_ci_u32_e32 v20, vcc_lo, s9, v14, vcc_lo
	s_delay_alu instid0(VALU_DEP_4) | instskip(NEXT) | instid1(VALU_DEP_4)
	v_lshlrev_b64 v[23:24], 2, v[5:6]
	v_add_co_u32 v29, vcc_lo, s8, v15
	v_add_co_ci_u32_e32 v30, vcc_lo, s9, v16, vcc_lo
	v_add_co_u32 v25, vcc_lo, s8, v17
	v_add_co_ci_u32_e32 v26, vcc_lo, s9, v18, vcc_lo
	s_clause 0x1
	global_load_b128 v[13:16], v[19:20], off offset:16
	global_load_b128 v[17:20], v[19:20], off
	v_add_nc_u32_e32 v5, -13, v3
	v_add_co_u32 v23, vcc_lo, s8, v23
	v_add_co_ci_u32_e32 v24, vcc_lo, s9, v24, vcc_lo
	s_delay_alu instid0(VALU_DEP_3)
	v_lshlrev_b64 v[27:28], 2, v[5:6]
	v_add_nc_u32_e32 v5, -12, v3
	global_load_b32 v37, v[25:26], off
	v_add_co_u32 v27, vcc_lo, s8, v27
	v_add_co_ci_u32_e32 v28, vcc_lo, s9, v28, vcc_lo
	s_clause 0x1
	global_load_b32 v39, v[27:28], off
	global_load_b32 v38, v[23:24], off
	v_lshlrev_b64 v[25:26], 2, v[5:6]
	s_delay_alu instid0(VALU_DEP_1) | instskip(NEXT) | instid1(VALU_DEP_2)
	v_add_co_u32 v25, vcc_lo, s8, v25
	v_add_co_ci_u32_e32 v26, vcc_lo, s9, v26, vcc_lo
	global_load_b32 v40, v[25:26], off
	v_add_nc_u32_e32 v5, -11, v3
	s_delay_alu instid0(VALU_DEP_1) | instskip(SKIP_1) | instid1(VALU_DEP_2)
	v_lshlrev_b64 v[23:24], 2, v[5:6]
	v_add_nc_u32_e32 v5, -10, v3
	v_add_co_u32 v23, vcc_lo, s8, v23
	s_delay_alu instid0(VALU_DEP_2)
	v_lshlrev_b64 v[27:28], 2, v[5:6]
	v_add_nc_u32_e32 v5, -9, v3
	v_add_co_ci_u32_e32 v24, vcc_lo, s9, v24, vcc_lo
	global_load_b32 v41, v[23:24], off
	v_lshlrev_b64 v[25:26], 2, v[5:6]
	v_add_nc_u32_e32 v5, -8, v3
	v_add_co_u32 v23, vcc_lo, s8, v27
	v_add_co_ci_u32_e32 v24, vcc_lo, s9, v28, vcc_lo
	s_delay_alu instid0(VALU_DEP_4) | instskip(NEXT) | instid1(VALU_DEP_4)
	v_add_co_u32 v25, vcc_lo, s8, v25
	v_lshlrev_b64 v[27:28], 2, v[5:6]
	v_add_nc_u32_e32 v5, -7, v3
	v_add_co_ci_u32_e32 v26, vcc_lo, s9, v26, vcc_lo
	s_clause 0x1
	global_load_b32 v42, v[23:24], off
	global_load_b32 v43, v[25:26], off
	v_lshlrev_b64 v[23:24], 2, v[5:6]
	v_add_nc_u32_e32 v5, -6, v3
	v_add_co_u32 v25, vcc_lo, s8, v27
	v_add_co_ci_u32_e32 v26, vcc_lo, s9, v28, vcc_lo
	s_delay_alu instid0(VALU_DEP_3)
	v_lshlrev_b64 v[27:28], 2, v[5:6]
	v_add_co_u32 v23, vcc_lo, s8, v23
	v_add_co_ci_u32_e32 v24, vcc_lo, s9, v24, vcc_lo
	global_load_b32 v44, v[25:26], off
	v_add_co_u32 v33, vcc_lo, s8, v27
	global_load_b32 v45, v[23:24], off
	v_add_co_ci_u32_e32 v34, vcc_lo, s9, v28, vcc_lo
	v_add_nc_u32_e32 v5, -5, v3
	s_delay_alu instid0(VALU_DEP_1) | instskip(SKIP_1) | instid1(VALU_DEP_1)
	v_lshlrev_b64 v[31:32], 2, v[5:6]
	v_add_nc_u32_e32 v5, -4, v3
	v_lshlrev_b64 v[35:36], 2, v[5:6]
	v_add_nc_u32_e32 v5, -3, v3
	s_waitcnt vmcnt(11)
	v_subrev_nc_u32_e32 v4, s18, v8
	s_delay_alu instid0(VALU_DEP_1) | instskip(NEXT) | instid1(VALU_DEP_1)
	v_lshlrev_b32_e32 v21, 3, v4
	v_lshlrev_b64 v[21:22], 2, v[21:22]
	s_delay_alu instid0(VALU_DEP_1) | instskip(NEXT) | instid1(VALU_DEP_2)
	v_add_co_u32 v25, vcc_lo, s10, v21
	v_add_co_ci_u32_e32 v26, vcc_lo, s11, v22, vcc_lo
	v_add_co_u32 v31, vcc_lo, s8, v31
	v_add_co_ci_u32_e32 v32, vcc_lo, s9, v32, vcc_lo
	s_clause 0x1
	global_load_b128 v[21:24], v[25:26], off
	global_load_b128 v[25:28], v[25:26], off offset:16
	s_clause 0x1
	global_load_b32 v8, v[33:34], off
	global_load_b32 v46, v[31:32], off
	v_lshlrev_b64 v[33:34], 2, v[5:6]
	v_add_nc_u32_e32 v5, -2, v3
	v_add_co_u32 v31, vcc_lo, s8, v35
	v_add_co_ci_u32_e32 v32, vcc_lo, s9, v36, vcc_lo
	s_delay_alu instid0(VALU_DEP_3) | instskip(SKIP_3) | instid1(VALU_DEP_3)
	v_lshlrev_b64 v[35:36], 2, v[5:6]
	v_add_nc_u32_e32 v5, -1, v3
	v_add_co_u32 v33, vcc_lo, s8, v33
	v_add_co_ci_u32_e32 v34, vcc_lo, s9, v34, vcc_lo
	v_lshlrev_b64 v[4:5], 2, v[5:6]
	global_load_b32 v47, v[31:32], off
	v_add_nc_u32_e32 v3, 0x180, v3
	global_load_b32 v33, v[33:34], off
	v_add_co_u32 v31, vcc_lo, s8, v35
	v_add_co_ci_u32_e32 v32, vcc_lo, s9, v36, vcc_lo
	v_add_co_u32 v4, vcc_lo, s8, v4
	v_add_co_ci_u32_e32 v5, vcc_lo, s9, v5, vcc_lo
	s_clause 0x2
	global_load_b32 v31, v[31:32], off
	global_load_b32 v4, v[4:5], off
	;; [unrolled: 1-line block ×3, first 2 shown]
	v_cmp_ge_i32_e32 vcc_lo, v7, v12
	s_or_b32 s5, vcc_lo, s5
	s_waitcnt vmcnt(8)
	v_fmac_f32_e32 v10, v19, v21
	s_delay_alu instid0(VALU_DEP_1) | instskip(NEXT) | instid1(VALU_DEP_1)
	v_dual_fmac_f32 v9, v17, v21 :: v_dual_fmac_f32 v10, v14, v22
	v_fmac_f32_e32 v10, v37, v23
	s_delay_alu instid0(VALU_DEP_1) | instskip(SKIP_1) | instid1(VALU_DEP_1)
	v_fmac_f32_e32 v10, v40, v24
	s_waitcnt vmcnt(7)
	v_fmac_f32_e32 v10, v43, v25
	s_waitcnt vmcnt(6)
	s_delay_alu instid0(VALU_DEP_1) | instskip(SKIP_1) | instid1(VALU_DEP_1)
	v_dual_fmac_f32 v10, v8, v26 :: v_dual_fmac_f32 v11, v18, v21
	s_waitcnt vmcnt(3)
	v_dual_fmac_f32 v10, v33, v27 :: v_dual_fmac_f32 v9, v20, v22
	s_delay_alu instid0(VALU_DEP_2) | instskip(SKIP_1) | instid1(VALU_DEP_2)
	v_fmac_f32_e32 v11, v13, v22
	s_waitcnt vmcnt(0)
	v_dual_fmac_f32 v10, v5, v28 :: v_dual_fmac_f32 v9, v15, v23
	s_delay_alu instid0(VALU_DEP_2) | instskip(NEXT) | instid1(VALU_DEP_2)
	v_fmac_f32_e32 v11, v16, v23
	v_fmac_f32_e32 v9, v38, v24
	s_delay_alu instid0(VALU_DEP_2) | instskip(NEXT) | instid1(VALU_DEP_2)
	v_fmac_f32_e32 v11, v39, v24
	v_fmac_f32_e32 v9, v41, v25
	;; [unrolled: 3-line block ×5, first 2 shown]
	s_delay_alu instid0(VALU_DEP_2)
	v_fmac_f32_e32 v11, v4, v28
	s_and_not1_b32 exec_lo, exec_lo, s5
	s_cbranch_execnz .LBB32_9
; %bb.10:
	s_or_b32 exec_lo, exec_lo, s5
.LBB32_11:
	s_delay_alu instid0(SALU_CYCLE_1) | instskip(NEXT) | instid1(SALU_CYCLE_1)
	s_or_b32 exec_lo, exec_lo, s4
	s_and_not1_b32 vcc_lo, exec_lo, s3
	s_cbranch_vccz .LBB32_13
	s_branch .LBB32_18
.LBB32_12:
                                        ; implicit-def: $vgpr9
                                        ; implicit-def: $vgpr10
                                        ; implicit-def: $vgpr11
.LBB32_13:
	v_dual_mov_b32 v9, 0 :: v_dual_mov_b32 v10, 0
	v_mov_b32_e32 v11, 0
	s_delay_alu instid0(VALU_DEP_3)
	s_and_saveexec_b32 s3, s2
	s_cbranch_execz .LBB32_17
; %bb.14:
	v_mad_u64_u32 v[4:5], null, v2, 24, 23
	v_dual_mov_b32 v7, 0 :: v_dual_mov_b32 v10, 0
	v_mov_b32_e32 v9, 0
	v_mov_b32_e32 v11, 0
	s_mov_b32 s2, 0
.LBB32_15:                              ; =>This Inner Loop Header: Depth=1
	v_ashrrev_i32_e32 v3, 31, v2
	v_dual_mov_b32 v22, v7 :: v_dual_add_nc_u32 v13, -15, v4
	v_dual_mov_b32 v14, v7 :: v_dual_add_nc_u32 v15, -7, v4
	s_delay_alu instid0(VALU_DEP_3) | instskip(SKIP_1) | instid1(VALU_DEP_3)
	v_lshlrev_b64 v[5:6], 2, v[2:3]
	v_add_nc_u32_e32 v2, 16, v2
	v_lshlrev_b64 v[13:14], 2, v[13:14]
	s_delay_alu instid0(VALU_DEP_3) | instskip(NEXT) | instid1(VALU_DEP_4)
	v_add_co_u32 v5, vcc_lo, s6, v5
	v_add_co_ci_u32_e32 v6, vcc_lo, s7, v6, vcc_lo
	global_load_b32 v3, v[5:6], off
	v_subrev_nc_u32_e32 v6, 23, v4
	v_mov_b32_e32 v5, v7
	s_delay_alu instid0(VALU_DEP_2) | instskip(SKIP_1) | instid1(VALU_DEP_3)
	v_lshlrev_b64 v[17:18], 2, v[6:7]
	v_add_nc_u32_e32 v6, -14, v4
	v_lshlrev_b64 v[19:20], 2, v[4:5]
	s_delay_alu instid0(VALU_DEP_2) | instskip(NEXT) | instid1(VALU_DEP_4)
	v_lshlrev_b64 v[23:24], 2, v[6:7]
	v_add_co_u32 v17, vcc_lo, s8, v17
	v_add_co_ci_u32_e32 v18, vcc_lo, s9, v18, vcc_lo
	v_add_co_u32 v25, vcc_lo, s8, v13
	v_add_co_ci_u32_e32 v26, vcc_lo, s9, v14, vcc_lo
	s_waitcnt vmcnt(0)
	v_subrev_nc_u32_e32 v3, s18, v3
	s_delay_alu instid0(VALU_DEP_1) | instskip(NEXT) | instid1(VALU_DEP_1)
	v_dual_mov_b32 v16, v7 :: v_dual_lshlrev_b32 v21, 3, v3
	v_lshlrev_b64 v[15:16], 2, v[15:16]
	s_delay_alu instid0(VALU_DEP_2) | instskip(NEXT) | instid1(VALU_DEP_2)
	v_lshlrev_b64 v[21:22], 2, v[21:22]
	v_add_co_u32 v27, vcc_lo, s8, v15
	s_delay_alu instid0(VALU_DEP_3)
	v_add_co_ci_u32_e32 v28, vcc_lo, s9, v16, vcc_lo
	v_add_co_u32 v29, vcc_lo, s8, v19
	v_add_co_ci_u32_e32 v30, vcc_lo, s9, v20, vcc_lo
	s_clause 0x1
	global_load_b128 v[13:16], v[17:18], off offset:16
	global_load_b128 v[17:20], v[17:18], off
	v_add_nc_u32_e32 v6, -6, v4
	s_clause 0x1
	global_load_b32 v8, v[25:26], off
	global_load_b32 v37, v[27:28], off
	v_add_co_u32 v23, vcc_lo, s8, v23
	v_add_co_ci_u32_e32 v24, vcc_lo, s9, v24, vcc_lo
	v_lshlrev_b64 v[31:32], 2, v[6:7]
	v_add_nc_u32_e32 v6, -13, v4
	global_load_b32 v38, v[23:24], off
	v_lshlrev_b64 v[25:26], 2, v[6:7]
	v_add_nc_u32_e32 v6, -5, v4
	v_add_co_u32 v23, vcc_lo, s8, v31
	v_add_co_ci_u32_e32 v24, vcc_lo, s9, v32, vcc_lo
	s_delay_alu instid0(VALU_DEP_4) | instskip(NEXT) | instid1(VALU_DEP_4)
	v_add_co_u32 v25, vcc_lo, s8, v25
	v_lshlrev_b64 v[27:28], 2, v[6:7]
	v_add_nc_u32_e32 v6, -12, v4
	v_add_co_ci_u32_e32 v26, vcc_lo, s9, v26, vcc_lo
	s_clause 0x1
	global_load_b32 v39, v[23:24], off
	global_load_b32 v40, v[25:26], off
	v_lshlrev_b64 v[23:24], 2, v[6:7]
	v_add_nc_u32_e32 v6, -4, v4
	v_add_co_u32 v25, vcc_lo, s8, v27
	v_add_co_ci_u32_e32 v26, vcc_lo, s9, v28, vcc_lo
	s_delay_alu instid0(VALU_DEP_4) | instskip(NEXT) | instid1(VALU_DEP_4)
	v_add_co_u32 v23, vcc_lo, s8, v23
	v_lshlrev_b64 v[27:28], 2, v[6:7]
	v_add_nc_u32_e32 v6, -11, v4
	v_add_co_ci_u32_e32 v24, vcc_lo, s9, v24, vcc_lo
	s_clause 0x1
	global_load_b32 v41, v[25:26], off
	global_load_b32 v42, v[23:24], off
	v_lshlrev_b64 v[25:26], 2, v[6:7]
	v_add_nc_u32_e32 v6, -3, v4
	v_add_co_u32 v23, vcc_lo, s8, v27
	v_add_co_ci_u32_e32 v24, vcc_lo, s9, v28, vcc_lo
	s_delay_alu instid0(VALU_DEP_3)
	v_lshlrev_b64 v[27:28], 2, v[6:7]
	v_add_co_u32 v25, vcc_lo, s8, v25
	v_add_co_ci_u32_e32 v26, vcc_lo, s9, v26, vcc_lo
	global_load_b32 v43, v[23:24], off
	v_add_co_u32 v33, vcc_lo, s8, v27
	global_load_b32 v44, v[25:26], off
	v_add_co_ci_u32_e32 v34, vcc_lo, s9, v28, vcc_lo
	v_add_co_u32 v25, vcc_lo, s10, v21
	v_add_co_ci_u32_e32 v26, vcc_lo, s11, v22, vcc_lo
	s_clause 0x1
	global_load_b128 v[21:24], v[25:26], off
	global_load_b128 v[25:28], v[25:26], off offset:16
	global_load_b32 v3, v[33:34], off
	s_waitcnt vmcnt(2)
	v_fmac_f32_e32 v9, v17, v21
	v_fmac_f32_e32 v11, v8, v21
	s_delay_alu instid0(VALU_DEP_2) | instskip(NEXT) | instid1(VALU_DEP_2)
	v_fmac_f32_e32 v9, v18, v22
	v_fmac_f32_e32 v11, v38, v22
	s_delay_alu instid0(VALU_DEP_2) | instskip(NEXT) | instid1(VALU_DEP_2)
	v_dual_fmac_f32 v9, v19, v23 :: v_dual_fmac_f32 v10, v37, v21
	v_fmac_f32_e32 v11, v40, v23
	s_delay_alu instid0(VALU_DEP_2) | instskip(NEXT) | instid1(VALU_DEP_2)
	v_dual_fmac_f32 v9, v20, v24 :: v_dual_fmac_f32 v10, v39, v22
	v_fmac_f32_e32 v11, v42, v24
	s_waitcnt vmcnt(1)
	s_delay_alu instid0(VALU_DEP_2) | instskip(NEXT) | instid1(VALU_DEP_2)
	v_dual_fmac_f32 v9, v13, v25 :: v_dual_add_nc_u32 v6, -10, v4
	v_fmac_f32_e32 v11, v44, v25
	s_delay_alu instid0(VALU_DEP_2) | instskip(NEXT) | instid1(VALU_DEP_3)
	v_lshlrev_b64 v[31:32], 2, v[6:7]
	v_dual_fmac_f32 v9, v14, v26 :: v_dual_add_nc_u32 v6, -2, v4
	s_delay_alu instid0(VALU_DEP_2) | instskip(NEXT) | instid1(VALU_DEP_3)
	v_add_co_u32 v31, vcc_lo, s8, v31
	v_add_co_ci_u32_e32 v32, vcc_lo, s9, v32, vcc_lo
	s_delay_alu instid0(VALU_DEP_3) | instskip(NEXT) | instid1(VALU_DEP_4)
	v_lshlrev_b64 v[35:36], 2, v[6:7]
	v_fmac_f32_e32 v9, v15, v27
	v_fmac_f32_e32 v10, v41, v23
	global_load_b32 v45, v[31:32], off
	v_add_nc_u32_e32 v6, -9, v4
	v_add_co_u32 v31, vcc_lo, s8, v35
	v_add_co_ci_u32_e32 v32, vcc_lo, s9, v36, vcc_lo
	v_fmac_f32_e32 v9, v16, v28
	v_fmac_f32_e32 v10, v43, v24
	global_load_b32 v46, v[31:32], off
	s_waitcnt vmcnt(1)
	v_fmac_f32_e32 v11, v45, v26
	v_lshlrev_b64 v[33:34], 2, v[6:7]
	v_add_nc_u32_e32 v6, -1, v4
	s_delay_alu instid0(VALU_DEP_2) | instskip(NEXT) | instid1(VALU_DEP_3)
	v_add_co_u32 v33, vcc_lo, s8, v33
	v_add_co_ci_u32_e32 v34, vcc_lo, s9, v34, vcc_lo
	s_delay_alu instid0(VALU_DEP_3)
	v_lshlrev_b64 v[35:36], 2, v[6:7]
	global_load_b32 v33, v[33:34], off
	v_add_nc_u32_e32 v6, -8, v4
	v_add_nc_u32_e32 v4, 0x180, v4
	v_add_co_u32 v31, vcc_lo, s8, v35
	v_add_co_ci_u32_e32 v32, vcc_lo, s9, v36, vcc_lo
	s_waitcnt vmcnt(0)
	v_fmac_f32_e32 v11, v33, v27
	v_lshlrev_b64 v[5:6], 2, v[6:7]
	s_delay_alu instid0(VALU_DEP_1) | instskip(NEXT) | instid1(VALU_DEP_2)
	v_add_co_u32 v5, vcc_lo, s8, v5
	v_add_co_ci_u32_e32 v6, vcc_lo, s9, v6, vcc_lo
	s_clause 0x2
	global_load_b32 v31, v[31:32], off
	global_load_b32 v5, v[5:6], off
	;; [unrolled: 1-line block ×3, first 2 shown]
	v_fmac_f32_e32 v10, v3, v25
	v_cmp_ge_i32_e32 vcc_lo, v2, v12
	s_or_b32 s2, vcc_lo, s2
	s_waitcnt vmcnt(1)
	s_delay_alu instid0(VALU_DEP_2) | instskip(NEXT) | instid1(VALU_DEP_1)
	v_dual_fmac_f32 v11, v5, v28 :: v_dual_fmac_f32 v10, v46, v26
	v_fmac_f32_e32 v10, v31, v27
	s_waitcnt vmcnt(0)
	s_delay_alu instid0(VALU_DEP_1)
	v_fmac_f32_e32 v10, v6, v28
	s_and_not1_b32 exec_lo, exec_lo, s2
	s_cbranch_execnz .LBB32_15
; %bb.16:
	s_or_b32 exec_lo, exec_lo, s2
.LBB32_17:
	s_delay_alu instid0(SALU_CYCLE_1)
	s_or_b32 exec_lo, exec_lo, s3
.LBB32_18:
	v_mbcnt_lo_u32_b32 v2, -1, 0
	s_mov_b32 s2, -1
	s_delay_alu instid0(VALU_DEP_1) | instskip(SKIP_1) | instid1(VALU_DEP_2)
	v_xor_b32_e32 v3, 8, v2
	v_xor_b32_e32 v6, 4, v2
	v_cmp_gt_i32_e32 vcc_lo, 32, v3
	v_cndmask_b32_e32 v3, v2, v3, vcc_lo
	s_delay_alu instid0(VALU_DEP_3) | instskip(SKIP_1) | instid1(VALU_DEP_1)
	v_cmp_gt_i32_e32 vcc_lo, 32, v6
	v_cndmask_b32_e32 v6, v2, v6, vcc_lo
	v_lshlrev_b32_e32 v6, 2, v6
	s_delay_alu instid0(VALU_DEP_4)
	v_lshlrev_b32_e32 v3, 2, v3
	ds_bpermute_b32 v4, v3, v9
	s_waitcnt lgkmcnt(0)
	v_add_f32_e32 v4, v9, v4
	ds_bpermute_b32 v5, v3, v11
	ds_bpermute_b32 v3, v3, v10
	v_xor_b32_e32 v9, 2, v2
	ds_bpermute_b32 v7, v6, v4
	v_cmp_gt_i32_e32 vcc_lo, 32, v9
	v_cndmask_b32_e32 v9, v2, v9, vcc_lo
	s_waitcnt lgkmcnt(2)
	v_add_f32_e32 v5, v11, v5
	s_waitcnt lgkmcnt(1)
	v_add_f32_e32 v3, v10, v3
	s_waitcnt lgkmcnt(0)
	v_add_f32_e32 v4, v4, v7
	ds_bpermute_b32 v8, v6, v5
	ds_bpermute_b32 v6, v6, v3
	v_lshlrev_b32_e32 v9, 2, v9
	s_waitcnt lgkmcnt(0)
	v_dual_add_f32 v5, v5, v8 :: v_dual_add_f32 v6, v3, v6
	ds_bpermute_b32 v3, v9, v4
	ds_bpermute_b32 v7, v9, v5
	;; [unrolled: 1-line block ×3, first 2 shown]
	v_xor_b32_e32 v9, 1, v2
	s_delay_alu instid0(VALU_DEP_1) | instskip(SKIP_3) | instid1(VALU_DEP_2)
	v_cmp_gt_i32_e32 vcc_lo, 32, v9
	v_cndmask_b32_e32 v2, v2, v9, vcc_lo
	v_cmp_eq_u32_e32 vcc_lo, 15, v0
	s_waitcnt lgkmcnt(2)
	v_dual_add_f32 v2, v4, v3 :: v_dual_lshlrev_b32 v9, 2, v2
	s_waitcnt lgkmcnt(0)
	v_dual_add_f32 v3, v5, v7 :: v_dual_add_f32 v4, v6, v8
	ds_bpermute_b32 v5, v9, v2
	ds_bpermute_b32 v6, v9, v3
	;; [unrolled: 1-line block ×3, first 2 shown]
	s_and_b32 exec_lo, exec_lo, vcc_lo
	s_cbranch_execz .LBB32_23
; %bb.19:
	s_load_b64 s[0:1], s[0:1], 0x38
	s_waitcnt lgkmcnt(0)
	v_add_f32_e32 v0, v2, v5
	v_add_f32_e32 v2, v3, v6
	;; [unrolled: 1-line block ×3, first 2 shown]
	v_lshl_add_u32 v3, v1, 1, v1
	v_cmp_eq_f32_e64 s3, s12, 0
	s_delay_alu instid0(VALU_DEP_4) | instskip(NEXT) | instid1(VALU_DEP_4)
	v_dual_mul_f32 v1, s16, v2 :: v_dual_mul_f32 v0, s16, v0
	v_mul_f32_e32 v2, s16, v4
	s_delay_alu instid0(VALU_DEP_4) | instskip(NEXT) | instid1(VALU_DEP_4)
	v_ashrrev_i32_e32 v4, 31, v3
	s_and_b32 vcc_lo, exec_lo, s3
	s_cbranch_vccz .LBB32_21
; %bb.20:
	s_delay_alu instid0(VALU_DEP_1) | instskip(SKIP_1) | instid1(VALU_DEP_1)
	v_lshlrev_b64 v[5:6], 2, v[3:4]
	s_mov_b32 s2, 0
	v_add_co_u32 v5, vcc_lo, s0, v5
	s_delay_alu instid0(VALU_DEP_2)
	v_add_co_ci_u32_e32 v6, vcc_lo, s1, v6, vcc_lo
	global_store_b96 v[5:6], v[0:2], off
.LBB32_21:
	s_and_not1_b32 vcc_lo, exec_lo, s2
	s_cbranch_vccnz .LBB32_23
; %bb.22:
	v_lshlrev_b64 v[3:4], 2, v[3:4]
	s_delay_alu instid0(VALU_DEP_1) | instskip(NEXT) | instid1(VALU_DEP_2)
	v_add_co_u32 v6, vcc_lo, s0, v3
	v_add_co_ci_u32_e32 v7, vcc_lo, s1, v4, vcc_lo
	global_load_b96 v[3:5], v[6:7], off
	s_waitcnt vmcnt(0)
	v_dual_fmac_f32 v0, s12, v3 :: v_dual_fmac_f32 v1, s12, v4
	v_fmac_f32_e32 v2, s12, v5
	global_store_b96 v[6:7], v[0:2], off
.LBB32_23:
	s_nop 0
	s_sendmsg sendmsg(MSG_DEALLOC_VGPRS)
	s_endpgm
	.section	.rodata,"a",@progbits
	.p2align	6, 0x0
	.amdhsa_kernel _ZN9rocsparseL19gebsrmvn_3xn_kernelILj128ELj8ELj16EfEEvi20rocsparse_direction_NS_24const_host_device_scalarIT2_EEPKiS6_PKS3_S8_S4_PS3_21rocsparse_index_base_b
		.amdhsa_group_segment_fixed_size 0
		.amdhsa_private_segment_fixed_size 0
		.amdhsa_kernarg_size 72
		.amdhsa_user_sgpr_count 15
		.amdhsa_user_sgpr_dispatch_ptr 0
		.amdhsa_user_sgpr_queue_ptr 0
		.amdhsa_user_sgpr_kernarg_segment_ptr 1
		.amdhsa_user_sgpr_dispatch_id 0
		.amdhsa_user_sgpr_private_segment_size 0
		.amdhsa_wavefront_size32 1
		.amdhsa_uses_dynamic_stack 0
		.amdhsa_enable_private_segment 0
		.amdhsa_system_sgpr_workgroup_id_x 1
		.amdhsa_system_sgpr_workgroup_id_y 0
		.amdhsa_system_sgpr_workgroup_id_z 0
		.amdhsa_system_sgpr_workgroup_info 0
		.amdhsa_system_vgpr_workitem_id 0
		.amdhsa_next_free_vgpr 48
		.amdhsa_next_free_sgpr 20
		.amdhsa_reserve_vcc 1
		.amdhsa_float_round_mode_32 0
		.amdhsa_float_round_mode_16_64 0
		.amdhsa_float_denorm_mode_32 3
		.amdhsa_float_denorm_mode_16_64 3
		.amdhsa_dx10_clamp 1
		.amdhsa_ieee_mode 1
		.amdhsa_fp16_overflow 0
		.amdhsa_workgroup_processor_mode 1
		.amdhsa_memory_ordered 1
		.amdhsa_forward_progress 0
		.amdhsa_shared_vgpr_count 0
		.amdhsa_exception_fp_ieee_invalid_op 0
		.amdhsa_exception_fp_denorm_src 0
		.amdhsa_exception_fp_ieee_div_zero 0
		.amdhsa_exception_fp_ieee_overflow 0
		.amdhsa_exception_fp_ieee_underflow 0
		.amdhsa_exception_fp_ieee_inexact 0
		.amdhsa_exception_int_div_zero 0
	.end_amdhsa_kernel
	.section	.text._ZN9rocsparseL19gebsrmvn_3xn_kernelILj128ELj8ELj16EfEEvi20rocsparse_direction_NS_24const_host_device_scalarIT2_EEPKiS6_PKS3_S8_S4_PS3_21rocsparse_index_base_b,"axG",@progbits,_ZN9rocsparseL19gebsrmvn_3xn_kernelILj128ELj8ELj16EfEEvi20rocsparse_direction_NS_24const_host_device_scalarIT2_EEPKiS6_PKS3_S8_S4_PS3_21rocsparse_index_base_b,comdat
.Lfunc_end32:
	.size	_ZN9rocsparseL19gebsrmvn_3xn_kernelILj128ELj8ELj16EfEEvi20rocsparse_direction_NS_24const_host_device_scalarIT2_EEPKiS6_PKS3_S8_S4_PS3_21rocsparse_index_base_b, .Lfunc_end32-_ZN9rocsparseL19gebsrmvn_3xn_kernelILj128ELj8ELj16EfEEvi20rocsparse_direction_NS_24const_host_device_scalarIT2_EEPKiS6_PKS3_S8_S4_PS3_21rocsparse_index_base_b
                                        ; -- End function
	.section	.AMDGPU.csdata,"",@progbits
; Kernel info:
; codeLenInByte = 2648
; NumSgprs: 22
; NumVgprs: 48
; ScratchSize: 0
; MemoryBound: 0
; FloatMode: 240
; IeeeMode: 1
; LDSByteSize: 0 bytes/workgroup (compile time only)
; SGPRBlocks: 2
; VGPRBlocks: 5
; NumSGPRsForWavesPerEU: 22
; NumVGPRsForWavesPerEU: 48
; Occupancy: 16
; WaveLimiterHint : 1
; COMPUTE_PGM_RSRC2:SCRATCH_EN: 0
; COMPUTE_PGM_RSRC2:USER_SGPR: 15
; COMPUTE_PGM_RSRC2:TRAP_HANDLER: 0
; COMPUTE_PGM_RSRC2:TGID_X_EN: 1
; COMPUTE_PGM_RSRC2:TGID_Y_EN: 0
; COMPUTE_PGM_RSRC2:TGID_Z_EN: 0
; COMPUTE_PGM_RSRC2:TIDIG_COMP_CNT: 0
	.section	.text._ZN9rocsparseL19gebsrmvn_3xn_kernelILj128ELj8ELj32EfEEvi20rocsparse_direction_NS_24const_host_device_scalarIT2_EEPKiS6_PKS3_S8_S4_PS3_21rocsparse_index_base_b,"axG",@progbits,_ZN9rocsparseL19gebsrmvn_3xn_kernelILj128ELj8ELj32EfEEvi20rocsparse_direction_NS_24const_host_device_scalarIT2_EEPKiS6_PKS3_S8_S4_PS3_21rocsparse_index_base_b,comdat
	.globl	_ZN9rocsparseL19gebsrmvn_3xn_kernelILj128ELj8ELj32EfEEvi20rocsparse_direction_NS_24const_host_device_scalarIT2_EEPKiS6_PKS3_S8_S4_PS3_21rocsparse_index_base_b ; -- Begin function _ZN9rocsparseL19gebsrmvn_3xn_kernelILj128ELj8ELj32EfEEvi20rocsparse_direction_NS_24const_host_device_scalarIT2_EEPKiS6_PKS3_S8_S4_PS3_21rocsparse_index_base_b
	.p2align	8
	.type	_ZN9rocsparseL19gebsrmvn_3xn_kernelILj128ELj8ELj32EfEEvi20rocsparse_direction_NS_24const_host_device_scalarIT2_EEPKiS6_PKS3_S8_S4_PS3_21rocsparse_index_base_b,@function
_ZN9rocsparseL19gebsrmvn_3xn_kernelILj128ELj8ELj32EfEEvi20rocsparse_direction_NS_24const_host_device_scalarIT2_EEPKiS6_PKS3_S8_S4_PS3_21rocsparse_index_base_b: ; @_ZN9rocsparseL19gebsrmvn_3xn_kernelILj128ELj8ELj32EfEEvi20rocsparse_direction_NS_24const_host_device_scalarIT2_EEPKiS6_PKS3_S8_S4_PS3_21rocsparse_index_base_b
; %bb.0:
	s_clause 0x2
	s_load_b64 s[18:19], s[0:1], 0x40
	s_load_b64 s[16:17], s[0:1], 0x8
	;; [unrolled: 1-line block ×3, first 2 shown]
	s_waitcnt lgkmcnt(0)
	s_bitcmp1_b32 s19, 0
	s_cselect_b32 s2, -1, 0
	s_delay_alu instid0(SALU_CYCLE_1)
	s_and_b32 vcc_lo, exec_lo, s2
	s_xor_b32 s2, s2, -1
	s_cbranch_vccnz .LBB33_2
; %bb.1:
	s_load_b32 s16, s[16:17], 0x0
.LBB33_2:
	s_and_not1_b32 vcc_lo, exec_lo, s2
	s_cbranch_vccnz .LBB33_4
; %bb.3:
	s_load_b32 s12, s[12:13], 0x0
.LBB33_4:
	s_waitcnt lgkmcnt(0)
	v_cmp_eq_f32_e64 s2, s16, 0
	v_cmp_eq_f32_e64 s3, s12, 1.0
	s_delay_alu instid0(VALU_DEP_1) | instskip(NEXT) | instid1(SALU_CYCLE_1)
	s_and_b32 s2, s2, s3
	s_and_b32 vcc_lo, exec_lo, s2
	s_cbranch_vccnz .LBB33_23
; %bb.5:
	s_load_b64 s[2:3], s[0:1], 0x0
	v_lshrrev_b32_e32 v1, 5, v0
	s_delay_alu instid0(VALU_DEP_1) | instskip(SKIP_1) | instid1(VALU_DEP_1)
	v_lshl_or_b32 v1, s15, 2, v1
	s_waitcnt lgkmcnt(0)
	v_cmp_gt_i32_e32 vcc_lo, s2, v1
	s_and_saveexec_b32 s2, vcc_lo
	s_cbranch_execz .LBB33_23
; %bb.6:
	s_load_b256 s[4:11], s[0:1], 0x10
	v_ashrrev_i32_e32 v2, 31, v1
	v_and_b32_e32 v0, 31, v0
	s_cmp_lg_u32 s3, 0
	s_delay_alu instid0(VALU_DEP_2) | instskip(SKIP_1) | instid1(VALU_DEP_1)
	v_lshlrev_b64 v[2:3], 2, v[1:2]
	s_waitcnt lgkmcnt(0)
	v_add_co_u32 v2, vcc_lo, s4, v2
	s_delay_alu instid0(VALU_DEP_2) | instskip(SKIP_4) | instid1(VALU_DEP_2)
	v_add_co_ci_u32_e32 v3, vcc_lo, s5, v3, vcc_lo
	global_load_b64 v[2:3], v[2:3], off
	s_waitcnt vmcnt(0)
	v_subrev_nc_u32_e32 v2, s18, v2
	v_subrev_nc_u32_e32 v12, s18, v3
	v_add_nc_u32_e32 v2, v2, v0
	s_delay_alu instid0(VALU_DEP_1)
	v_cmp_lt_i32_e64 s2, v2, v12
	s_cbranch_scc0 .LBB33_12
; %bb.7:
	v_dual_mov_b32 v9, 0 :: v_dual_mov_b32 v10, 0
	v_mov_b32_e32 v11, 0
	s_mov_b32 s3, 0
	s_and_saveexec_b32 s4, s2
	s_cbranch_execz .LBB33_11
; %bb.8:
	v_mad_u64_u32 v[3:4], null, v2, 24, 23
	v_dual_mov_b32 v6, 0 :: v_dual_mov_b32 v7, v2
	v_dual_mov_b32 v9, 0 :: v_dual_mov_b32 v10, 0
	v_mov_b32_e32 v11, 0
	s_mov_b32 s5, 0
.LBB33_9:                               ; =>This Inner Loop Header: Depth=1
	s_delay_alu instid0(VALU_DEP_3) | instskip(SKIP_1) | instid1(VALU_DEP_2)
	v_ashrrev_i32_e32 v8, 31, v7
	v_mov_b32_e32 v22, v6
	v_lshlrev_b64 v[4:5], 2, v[7:8]
	v_add_nc_u32_e32 v7, 32, v7
	s_delay_alu instid0(VALU_DEP_2) | instskip(NEXT) | instid1(VALU_DEP_3)
	v_add_co_u32 v4, vcc_lo, s6, v4
	v_add_co_ci_u32_e32 v5, vcc_lo, s7, v5, vcc_lo
	global_load_b32 v8, v[4:5], off
	v_subrev_nc_u32_e32 v5, 23, v3
	v_mov_b32_e32 v4, v6
	s_delay_alu instid0(VALU_DEP_2) | instskip(SKIP_1) | instid1(VALU_DEP_1)
	v_lshlrev_b64 v[13:14], 2, v[5:6]
	v_add_nc_u32_e32 v5, -15, v3
	v_lshlrev_b64 v[17:18], 2, v[5:6]
	v_add_nc_u32_e32 v5, -14, v3
	v_lshlrev_b64 v[15:16], 2, v[3:4]
	v_add_co_u32 v19, vcc_lo, s8, v13
	v_add_co_ci_u32_e32 v20, vcc_lo, s9, v14, vcc_lo
	s_delay_alu instid0(VALU_DEP_4) | instskip(NEXT) | instid1(VALU_DEP_4)
	v_lshlrev_b64 v[23:24], 2, v[5:6]
	v_add_co_u32 v29, vcc_lo, s8, v15
	v_add_co_ci_u32_e32 v30, vcc_lo, s9, v16, vcc_lo
	v_add_co_u32 v25, vcc_lo, s8, v17
	v_add_co_ci_u32_e32 v26, vcc_lo, s9, v18, vcc_lo
	s_clause 0x1
	global_load_b128 v[13:16], v[19:20], off offset:16
	global_load_b128 v[17:20], v[19:20], off
	v_add_nc_u32_e32 v5, -13, v3
	v_add_co_u32 v23, vcc_lo, s8, v23
	v_add_co_ci_u32_e32 v24, vcc_lo, s9, v24, vcc_lo
	s_delay_alu instid0(VALU_DEP_3)
	v_lshlrev_b64 v[27:28], 2, v[5:6]
	v_add_nc_u32_e32 v5, -12, v3
	global_load_b32 v37, v[25:26], off
	v_add_co_u32 v27, vcc_lo, s8, v27
	v_add_co_ci_u32_e32 v28, vcc_lo, s9, v28, vcc_lo
	s_clause 0x1
	global_load_b32 v39, v[27:28], off
	global_load_b32 v38, v[23:24], off
	v_lshlrev_b64 v[25:26], 2, v[5:6]
	s_delay_alu instid0(VALU_DEP_1) | instskip(NEXT) | instid1(VALU_DEP_2)
	v_add_co_u32 v25, vcc_lo, s8, v25
	v_add_co_ci_u32_e32 v26, vcc_lo, s9, v26, vcc_lo
	global_load_b32 v40, v[25:26], off
	v_add_nc_u32_e32 v5, -11, v3
	s_delay_alu instid0(VALU_DEP_1) | instskip(SKIP_1) | instid1(VALU_DEP_2)
	v_lshlrev_b64 v[23:24], 2, v[5:6]
	v_add_nc_u32_e32 v5, -10, v3
	v_add_co_u32 v23, vcc_lo, s8, v23
	s_delay_alu instid0(VALU_DEP_2)
	v_lshlrev_b64 v[27:28], 2, v[5:6]
	v_add_nc_u32_e32 v5, -9, v3
	v_add_co_ci_u32_e32 v24, vcc_lo, s9, v24, vcc_lo
	global_load_b32 v41, v[23:24], off
	v_lshlrev_b64 v[25:26], 2, v[5:6]
	v_add_nc_u32_e32 v5, -8, v3
	v_add_co_u32 v23, vcc_lo, s8, v27
	v_add_co_ci_u32_e32 v24, vcc_lo, s9, v28, vcc_lo
	s_delay_alu instid0(VALU_DEP_4) | instskip(NEXT) | instid1(VALU_DEP_4)
	v_add_co_u32 v25, vcc_lo, s8, v25
	v_lshlrev_b64 v[27:28], 2, v[5:6]
	v_add_nc_u32_e32 v5, -7, v3
	v_add_co_ci_u32_e32 v26, vcc_lo, s9, v26, vcc_lo
	s_clause 0x1
	global_load_b32 v42, v[23:24], off
	global_load_b32 v43, v[25:26], off
	v_lshlrev_b64 v[23:24], 2, v[5:6]
	v_add_nc_u32_e32 v5, -6, v3
	v_add_co_u32 v25, vcc_lo, s8, v27
	v_add_co_ci_u32_e32 v26, vcc_lo, s9, v28, vcc_lo
	s_delay_alu instid0(VALU_DEP_3)
	v_lshlrev_b64 v[27:28], 2, v[5:6]
	v_add_co_u32 v23, vcc_lo, s8, v23
	v_add_co_ci_u32_e32 v24, vcc_lo, s9, v24, vcc_lo
	global_load_b32 v44, v[25:26], off
	v_add_co_u32 v33, vcc_lo, s8, v27
	global_load_b32 v45, v[23:24], off
	v_add_co_ci_u32_e32 v34, vcc_lo, s9, v28, vcc_lo
	v_add_nc_u32_e32 v5, -5, v3
	s_delay_alu instid0(VALU_DEP_1) | instskip(SKIP_1) | instid1(VALU_DEP_1)
	v_lshlrev_b64 v[31:32], 2, v[5:6]
	v_add_nc_u32_e32 v5, -4, v3
	v_lshlrev_b64 v[35:36], 2, v[5:6]
	v_add_nc_u32_e32 v5, -3, v3
	s_waitcnt vmcnt(11)
	v_subrev_nc_u32_e32 v4, s18, v8
	s_delay_alu instid0(VALU_DEP_1) | instskip(NEXT) | instid1(VALU_DEP_1)
	v_lshlrev_b32_e32 v21, 3, v4
	v_lshlrev_b64 v[21:22], 2, v[21:22]
	s_delay_alu instid0(VALU_DEP_1) | instskip(NEXT) | instid1(VALU_DEP_2)
	v_add_co_u32 v25, vcc_lo, s10, v21
	v_add_co_ci_u32_e32 v26, vcc_lo, s11, v22, vcc_lo
	v_add_co_u32 v31, vcc_lo, s8, v31
	v_add_co_ci_u32_e32 v32, vcc_lo, s9, v32, vcc_lo
	s_clause 0x1
	global_load_b128 v[21:24], v[25:26], off
	global_load_b128 v[25:28], v[25:26], off offset:16
	s_clause 0x1
	global_load_b32 v8, v[33:34], off
	global_load_b32 v46, v[31:32], off
	v_lshlrev_b64 v[33:34], 2, v[5:6]
	v_add_nc_u32_e32 v5, -2, v3
	v_add_co_u32 v31, vcc_lo, s8, v35
	v_add_co_ci_u32_e32 v32, vcc_lo, s9, v36, vcc_lo
	s_delay_alu instid0(VALU_DEP_3) | instskip(SKIP_3) | instid1(VALU_DEP_3)
	v_lshlrev_b64 v[35:36], 2, v[5:6]
	v_add_nc_u32_e32 v5, -1, v3
	v_add_co_u32 v33, vcc_lo, s8, v33
	v_add_co_ci_u32_e32 v34, vcc_lo, s9, v34, vcc_lo
	v_lshlrev_b64 v[4:5], 2, v[5:6]
	global_load_b32 v47, v[31:32], off
	v_add_nc_u32_e32 v3, 0x300, v3
	global_load_b32 v33, v[33:34], off
	v_add_co_u32 v31, vcc_lo, s8, v35
	v_add_co_ci_u32_e32 v32, vcc_lo, s9, v36, vcc_lo
	v_add_co_u32 v4, vcc_lo, s8, v4
	v_add_co_ci_u32_e32 v5, vcc_lo, s9, v5, vcc_lo
	s_clause 0x2
	global_load_b32 v31, v[31:32], off
	global_load_b32 v4, v[4:5], off
	global_load_b32 v5, v[29:30], off
	v_cmp_ge_i32_e32 vcc_lo, v7, v12
	s_or_b32 s5, vcc_lo, s5
	s_waitcnt vmcnt(8)
	v_fmac_f32_e32 v10, v19, v21
	s_delay_alu instid0(VALU_DEP_1) | instskip(NEXT) | instid1(VALU_DEP_1)
	v_dual_fmac_f32 v9, v17, v21 :: v_dual_fmac_f32 v10, v14, v22
	v_fmac_f32_e32 v10, v37, v23
	s_delay_alu instid0(VALU_DEP_1) | instskip(SKIP_1) | instid1(VALU_DEP_1)
	v_fmac_f32_e32 v10, v40, v24
	s_waitcnt vmcnt(7)
	v_fmac_f32_e32 v10, v43, v25
	s_waitcnt vmcnt(6)
	s_delay_alu instid0(VALU_DEP_1) | instskip(SKIP_1) | instid1(VALU_DEP_1)
	v_dual_fmac_f32 v10, v8, v26 :: v_dual_fmac_f32 v11, v18, v21
	s_waitcnt vmcnt(3)
	v_dual_fmac_f32 v10, v33, v27 :: v_dual_fmac_f32 v9, v20, v22
	s_delay_alu instid0(VALU_DEP_2) | instskip(SKIP_1) | instid1(VALU_DEP_2)
	v_fmac_f32_e32 v11, v13, v22
	s_waitcnt vmcnt(0)
	v_dual_fmac_f32 v10, v5, v28 :: v_dual_fmac_f32 v9, v15, v23
	s_delay_alu instid0(VALU_DEP_2) | instskip(NEXT) | instid1(VALU_DEP_2)
	v_fmac_f32_e32 v11, v16, v23
	v_fmac_f32_e32 v9, v38, v24
	s_delay_alu instid0(VALU_DEP_2) | instskip(NEXT) | instid1(VALU_DEP_2)
	v_fmac_f32_e32 v11, v39, v24
	v_fmac_f32_e32 v9, v41, v25
	;; [unrolled: 3-line block ×5, first 2 shown]
	s_delay_alu instid0(VALU_DEP_2)
	v_fmac_f32_e32 v11, v4, v28
	s_and_not1_b32 exec_lo, exec_lo, s5
	s_cbranch_execnz .LBB33_9
; %bb.10:
	s_or_b32 exec_lo, exec_lo, s5
.LBB33_11:
	s_delay_alu instid0(SALU_CYCLE_1) | instskip(NEXT) | instid1(SALU_CYCLE_1)
	s_or_b32 exec_lo, exec_lo, s4
	s_and_not1_b32 vcc_lo, exec_lo, s3
	s_cbranch_vccz .LBB33_13
	s_branch .LBB33_18
.LBB33_12:
                                        ; implicit-def: $vgpr9
                                        ; implicit-def: $vgpr10
                                        ; implicit-def: $vgpr11
.LBB33_13:
	v_dual_mov_b32 v9, 0 :: v_dual_mov_b32 v10, 0
	v_mov_b32_e32 v11, 0
	s_delay_alu instid0(VALU_DEP_3)
	s_and_saveexec_b32 s3, s2
	s_cbranch_execz .LBB33_17
; %bb.14:
	v_mad_u64_u32 v[4:5], null, v2, 24, 23
	v_dual_mov_b32 v7, 0 :: v_dual_mov_b32 v10, 0
	v_mov_b32_e32 v9, 0
	v_mov_b32_e32 v11, 0
	s_mov_b32 s2, 0
.LBB33_15:                              ; =>This Inner Loop Header: Depth=1
	v_ashrrev_i32_e32 v3, 31, v2
	v_dual_mov_b32 v22, v7 :: v_dual_add_nc_u32 v13, -15, v4
	v_dual_mov_b32 v14, v7 :: v_dual_add_nc_u32 v15, -7, v4
	s_delay_alu instid0(VALU_DEP_3) | instskip(SKIP_1) | instid1(VALU_DEP_3)
	v_lshlrev_b64 v[5:6], 2, v[2:3]
	v_add_nc_u32_e32 v2, 32, v2
	v_lshlrev_b64 v[13:14], 2, v[13:14]
	s_delay_alu instid0(VALU_DEP_3) | instskip(NEXT) | instid1(VALU_DEP_4)
	v_add_co_u32 v5, vcc_lo, s6, v5
	v_add_co_ci_u32_e32 v6, vcc_lo, s7, v6, vcc_lo
	global_load_b32 v3, v[5:6], off
	v_subrev_nc_u32_e32 v6, 23, v4
	v_mov_b32_e32 v5, v7
	s_delay_alu instid0(VALU_DEP_2) | instskip(SKIP_1) | instid1(VALU_DEP_3)
	v_lshlrev_b64 v[17:18], 2, v[6:7]
	v_add_nc_u32_e32 v6, -14, v4
	v_lshlrev_b64 v[19:20], 2, v[4:5]
	s_delay_alu instid0(VALU_DEP_2) | instskip(NEXT) | instid1(VALU_DEP_4)
	v_lshlrev_b64 v[23:24], 2, v[6:7]
	v_add_co_u32 v17, vcc_lo, s8, v17
	v_add_co_ci_u32_e32 v18, vcc_lo, s9, v18, vcc_lo
	v_add_co_u32 v25, vcc_lo, s8, v13
	v_add_co_ci_u32_e32 v26, vcc_lo, s9, v14, vcc_lo
	s_waitcnt vmcnt(0)
	v_subrev_nc_u32_e32 v3, s18, v3
	s_delay_alu instid0(VALU_DEP_1) | instskip(NEXT) | instid1(VALU_DEP_1)
	v_dual_mov_b32 v16, v7 :: v_dual_lshlrev_b32 v21, 3, v3
	v_lshlrev_b64 v[15:16], 2, v[15:16]
	s_delay_alu instid0(VALU_DEP_2) | instskip(NEXT) | instid1(VALU_DEP_2)
	v_lshlrev_b64 v[21:22], 2, v[21:22]
	v_add_co_u32 v27, vcc_lo, s8, v15
	s_delay_alu instid0(VALU_DEP_3)
	v_add_co_ci_u32_e32 v28, vcc_lo, s9, v16, vcc_lo
	v_add_co_u32 v29, vcc_lo, s8, v19
	v_add_co_ci_u32_e32 v30, vcc_lo, s9, v20, vcc_lo
	s_clause 0x1
	global_load_b128 v[13:16], v[17:18], off offset:16
	global_load_b128 v[17:20], v[17:18], off
	v_add_nc_u32_e32 v6, -6, v4
	s_clause 0x1
	global_load_b32 v8, v[25:26], off
	global_load_b32 v37, v[27:28], off
	v_add_co_u32 v23, vcc_lo, s8, v23
	v_add_co_ci_u32_e32 v24, vcc_lo, s9, v24, vcc_lo
	v_lshlrev_b64 v[31:32], 2, v[6:7]
	v_add_nc_u32_e32 v6, -13, v4
	global_load_b32 v38, v[23:24], off
	v_lshlrev_b64 v[25:26], 2, v[6:7]
	v_add_nc_u32_e32 v6, -5, v4
	v_add_co_u32 v23, vcc_lo, s8, v31
	v_add_co_ci_u32_e32 v24, vcc_lo, s9, v32, vcc_lo
	s_delay_alu instid0(VALU_DEP_4) | instskip(NEXT) | instid1(VALU_DEP_4)
	v_add_co_u32 v25, vcc_lo, s8, v25
	v_lshlrev_b64 v[27:28], 2, v[6:7]
	v_add_nc_u32_e32 v6, -12, v4
	v_add_co_ci_u32_e32 v26, vcc_lo, s9, v26, vcc_lo
	s_clause 0x1
	global_load_b32 v39, v[23:24], off
	global_load_b32 v40, v[25:26], off
	v_lshlrev_b64 v[23:24], 2, v[6:7]
	v_add_nc_u32_e32 v6, -4, v4
	v_add_co_u32 v25, vcc_lo, s8, v27
	v_add_co_ci_u32_e32 v26, vcc_lo, s9, v28, vcc_lo
	s_delay_alu instid0(VALU_DEP_4) | instskip(NEXT) | instid1(VALU_DEP_4)
	v_add_co_u32 v23, vcc_lo, s8, v23
	v_lshlrev_b64 v[27:28], 2, v[6:7]
	v_add_nc_u32_e32 v6, -11, v4
	v_add_co_ci_u32_e32 v24, vcc_lo, s9, v24, vcc_lo
	s_clause 0x1
	global_load_b32 v41, v[25:26], off
	global_load_b32 v42, v[23:24], off
	v_lshlrev_b64 v[25:26], 2, v[6:7]
	v_add_nc_u32_e32 v6, -3, v4
	v_add_co_u32 v23, vcc_lo, s8, v27
	v_add_co_ci_u32_e32 v24, vcc_lo, s9, v28, vcc_lo
	s_delay_alu instid0(VALU_DEP_3)
	v_lshlrev_b64 v[27:28], 2, v[6:7]
	v_add_co_u32 v25, vcc_lo, s8, v25
	v_add_co_ci_u32_e32 v26, vcc_lo, s9, v26, vcc_lo
	global_load_b32 v43, v[23:24], off
	v_add_co_u32 v33, vcc_lo, s8, v27
	global_load_b32 v44, v[25:26], off
	v_add_co_ci_u32_e32 v34, vcc_lo, s9, v28, vcc_lo
	v_add_co_u32 v25, vcc_lo, s10, v21
	v_add_co_ci_u32_e32 v26, vcc_lo, s11, v22, vcc_lo
	s_clause 0x1
	global_load_b128 v[21:24], v[25:26], off
	global_load_b128 v[25:28], v[25:26], off offset:16
	global_load_b32 v3, v[33:34], off
	s_waitcnt vmcnt(2)
	v_fmac_f32_e32 v9, v17, v21
	v_fmac_f32_e32 v11, v8, v21
	s_delay_alu instid0(VALU_DEP_2) | instskip(NEXT) | instid1(VALU_DEP_2)
	v_fmac_f32_e32 v9, v18, v22
	v_fmac_f32_e32 v11, v38, v22
	s_delay_alu instid0(VALU_DEP_2) | instskip(NEXT) | instid1(VALU_DEP_2)
	v_dual_fmac_f32 v9, v19, v23 :: v_dual_fmac_f32 v10, v37, v21
	v_fmac_f32_e32 v11, v40, v23
	s_delay_alu instid0(VALU_DEP_2) | instskip(NEXT) | instid1(VALU_DEP_2)
	v_dual_fmac_f32 v9, v20, v24 :: v_dual_fmac_f32 v10, v39, v22
	v_fmac_f32_e32 v11, v42, v24
	s_waitcnt vmcnt(1)
	s_delay_alu instid0(VALU_DEP_2) | instskip(NEXT) | instid1(VALU_DEP_2)
	v_dual_fmac_f32 v9, v13, v25 :: v_dual_add_nc_u32 v6, -10, v4
	v_fmac_f32_e32 v11, v44, v25
	s_delay_alu instid0(VALU_DEP_2) | instskip(NEXT) | instid1(VALU_DEP_3)
	v_lshlrev_b64 v[31:32], 2, v[6:7]
	v_dual_fmac_f32 v9, v14, v26 :: v_dual_add_nc_u32 v6, -2, v4
	s_delay_alu instid0(VALU_DEP_2) | instskip(NEXT) | instid1(VALU_DEP_3)
	v_add_co_u32 v31, vcc_lo, s8, v31
	v_add_co_ci_u32_e32 v32, vcc_lo, s9, v32, vcc_lo
	s_delay_alu instid0(VALU_DEP_3) | instskip(NEXT) | instid1(VALU_DEP_4)
	v_lshlrev_b64 v[35:36], 2, v[6:7]
	v_fmac_f32_e32 v9, v15, v27
	v_fmac_f32_e32 v10, v41, v23
	global_load_b32 v45, v[31:32], off
	v_add_nc_u32_e32 v6, -9, v4
	v_add_co_u32 v31, vcc_lo, s8, v35
	v_add_co_ci_u32_e32 v32, vcc_lo, s9, v36, vcc_lo
	v_fmac_f32_e32 v9, v16, v28
	v_fmac_f32_e32 v10, v43, v24
	global_load_b32 v46, v[31:32], off
	s_waitcnt vmcnt(1)
	v_fmac_f32_e32 v11, v45, v26
	v_lshlrev_b64 v[33:34], 2, v[6:7]
	v_add_nc_u32_e32 v6, -1, v4
	s_delay_alu instid0(VALU_DEP_2) | instskip(NEXT) | instid1(VALU_DEP_3)
	v_add_co_u32 v33, vcc_lo, s8, v33
	v_add_co_ci_u32_e32 v34, vcc_lo, s9, v34, vcc_lo
	s_delay_alu instid0(VALU_DEP_3)
	v_lshlrev_b64 v[35:36], 2, v[6:7]
	global_load_b32 v33, v[33:34], off
	v_add_nc_u32_e32 v6, -8, v4
	v_add_nc_u32_e32 v4, 0x300, v4
	v_add_co_u32 v31, vcc_lo, s8, v35
	v_add_co_ci_u32_e32 v32, vcc_lo, s9, v36, vcc_lo
	s_waitcnt vmcnt(0)
	v_fmac_f32_e32 v11, v33, v27
	v_lshlrev_b64 v[5:6], 2, v[6:7]
	s_delay_alu instid0(VALU_DEP_1) | instskip(NEXT) | instid1(VALU_DEP_2)
	v_add_co_u32 v5, vcc_lo, s8, v5
	v_add_co_ci_u32_e32 v6, vcc_lo, s9, v6, vcc_lo
	s_clause 0x2
	global_load_b32 v31, v[31:32], off
	global_load_b32 v5, v[5:6], off
	;; [unrolled: 1-line block ×3, first 2 shown]
	v_fmac_f32_e32 v10, v3, v25
	v_cmp_ge_i32_e32 vcc_lo, v2, v12
	s_or_b32 s2, vcc_lo, s2
	s_waitcnt vmcnt(1)
	s_delay_alu instid0(VALU_DEP_2) | instskip(NEXT) | instid1(VALU_DEP_1)
	v_dual_fmac_f32 v11, v5, v28 :: v_dual_fmac_f32 v10, v46, v26
	v_fmac_f32_e32 v10, v31, v27
	s_waitcnt vmcnt(0)
	s_delay_alu instid0(VALU_DEP_1)
	v_fmac_f32_e32 v10, v6, v28
	s_and_not1_b32 exec_lo, exec_lo, s2
	s_cbranch_execnz .LBB33_15
; %bb.16:
	s_or_b32 exec_lo, exec_lo, s2
.LBB33_17:
	s_delay_alu instid0(SALU_CYCLE_1)
	s_or_b32 exec_lo, exec_lo, s3
.LBB33_18:
	v_mbcnt_lo_u32_b32 v2, -1, 0
	s_mov_b32 s2, -1
	s_delay_alu instid0(VALU_DEP_1) | instskip(SKIP_1) | instid1(VALU_DEP_2)
	v_xor_b32_e32 v3, 16, v2
	v_xor_b32_e32 v6, 8, v2
	v_cmp_gt_i32_e32 vcc_lo, 32, v3
	v_cndmask_b32_e32 v3, v2, v3, vcc_lo
	s_delay_alu instid0(VALU_DEP_3) | instskip(SKIP_1) | instid1(VALU_DEP_1)
	v_cmp_gt_i32_e32 vcc_lo, 32, v6
	v_cndmask_b32_e32 v6, v2, v6, vcc_lo
	v_lshlrev_b32_e32 v6, 2, v6
	s_delay_alu instid0(VALU_DEP_4)
	v_lshlrev_b32_e32 v3, 2, v3
	ds_bpermute_b32 v4, v3, v9
	s_waitcnt lgkmcnt(0)
	v_add_f32_e32 v4, v9, v4
	ds_bpermute_b32 v5, v3, v11
	ds_bpermute_b32 v3, v3, v10
	v_xor_b32_e32 v9, 4, v2
	ds_bpermute_b32 v7, v6, v4
	v_cmp_gt_i32_e32 vcc_lo, 32, v9
	v_cndmask_b32_e32 v9, v2, v9, vcc_lo
	s_waitcnt lgkmcnt(0)
	v_dual_add_f32 v5, v11, v5 :: v_dual_add_f32 v4, v4, v7
	v_add_f32_e32 v3, v10, v3
	ds_bpermute_b32 v8, v6, v5
	ds_bpermute_b32 v6, v6, v3
	s_waitcnt lgkmcnt(1)
	v_add_f32_e32 v5, v5, v8
	s_waitcnt lgkmcnt(0)
	v_add_f32_e32 v3, v3, v6
	v_lshlrev_b32_e32 v9, 2, v9
	ds_bpermute_b32 v6, v9, v4
	ds_bpermute_b32 v8, v9, v3
	s_waitcnt lgkmcnt(1)
	v_add_f32_e32 v4, v4, v6
	s_waitcnt lgkmcnt(0)
	v_add_f32_e32 v6, v3, v8
	ds_bpermute_b32 v7, v9, v5
	v_xor_b32_e32 v9, 2, v2
	s_delay_alu instid0(VALU_DEP_1) | instskip(SKIP_1) | instid1(VALU_DEP_1)
	v_cmp_gt_i32_e32 vcc_lo, 32, v9
	v_cndmask_b32_e32 v9, v2, v9, vcc_lo
	v_lshlrev_b32_e32 v9, 2, v9
	s_waitcnt lgkmcnt(0)
	v_add_f32_e32 v5, v5, v7
	ds_bpermute_b32 v3, v9, v4
	ds_bpermute_b32 v8, v9, v6
	;; [unrolled: 1-line block ×3, first 2 shown]
	v_xor_b32_e32 v9, 1, v2
	s_delay_alu instid0(VALU_DEP_1) | instskip(SKIP_3) | instid1(VALU_DEP_2)
	v_cmp_gt_i32_e32 vcc_lo, 32, v9
	v_cndmask_b32_e32 v2, v2, v9, vcc_lo
	v_cmp_eq_u32_e32 vcc_lo, 31, v0
	s_waitcnt lgkmcnt(2)
	v_dual_add_f32 v2, v4, v3 :: v_dual_lshlrev_b32 v9, 2, v2
	s_waitcnt lgkmcnt(0)
	v_dual_add_f32 v4, v6, v8 :: v_dual_add_f32 v3, v5, v7
	ds_bpermute_b32 v5, v9, v2
	ds_bpermute_b32 v7, v9, v4
	;; [unrolled: 1-line block ×3, first 2 shown]
	s_and_b32 exec_lo, exec_lo, vcc_lo
	s_cbranch_execz .LBB33_23
; %bb.19:
	s_load_b64 s[0:1], s[0:1], 0x38
	s_waitcnt lgkmcnt(0)
	v_add_f32_e32 v0, v2, v5
	v_add_f32_e32 v2, v3, v6
	;; [unrolled: 1-line block ×3, first 2 shown]
	v_lshl_add_u32 v3, v1, 1, v1
	v_cmp_eq_f32_e64 s3, s12, 0
	s_delay_alu instid0(VALU_DEP_4) | instskip(NEXT) | instid1(VALU_DEP_4)
	v_dual_mul_f32 v1, s16, v2 :: v_dual_mul_f32 v0, s16, v0
	v_mul_f32_e32 v2, s16, v4
	s_delay_alu instid0(VALU_DEP_4) | instskip(NEXT) | instid1(VALU_DEP_4)
	v_ashrrev_i32_e32 v4, 31, v3
	s_and_b32 vcc_lo, exec_lo, s3
	s_cbranch_vccz .LBB33_21
; %bb.20:
	s_delay_alu instid0(VALU_DEP_1) | instskip(SKIP_1) | instid1(VALU_DEP_1)
	v_lshlrev_b64 v[5:6], 2, v[3:4]
	s_mov_b32 s2, 0
	v_add_co_u32 v5, vcc_lo, s0, v5
	s_delay_alu instid0(VALU_DEP_2)
	v_add_co_ci_u32_e32 v6, vcc_lo, s1, v6, vcc_lo
	global_store_b96 v[5:6], v[0:2], off
.LBB33_21:
	s_and_not1_b32 vcc_lo, exec_lo, s2
	s_cbranch_vccnz .LBB33_23
; %bb.22:
	v_lshlrev_b64 v[3:4], 2, v[3:4]
	s_delay_alu instid0(VALU_DEP_1) | instskip(NEXT) | instid1(VALU_DEP_2)
	v_add_co_u32 v6, vcc_lo, s0, v3
	v_add_co_ci_u32_e32 v7, vcc_lo, s1, v4, vcc_lo
	global_load_b96 v[3:5], v[6:7], off
	s_waitcnt vmcnt(0)
	v_dual_fmac_f32 v0, s12, v3 :: v_dual_fmac_f32 v1, s12, v4
	v_fmac_f32_e32 v2, s12, v5
	global_store_b96 v[6:7], v[0:2], off
.LBB33_23:
	s_nop 0
	s_sendmsg sendmsg(MSG_DEALLOC_VGPRS)
	s_endpgm
	.section	.rodata,"a",@progbits
	.p2align	6, 0x0
	.amdhsa_kernel _ZN9rocsparseL19gebsrmvn_3xn_kernelILj128ELj8ELj32EfEEvi20rocsparse_direction_NS_24const_host_device_scalarIT2_EEPKiS6_PKS3_S8_S4_PS3_21rocsparse_index_base_b
		.amdhsa_group_segment_fixed_size 0
		.amdhsa_private_segment_fixed_size 0
		.amdhsa_kernarg_size 72
		.amdhsa_user_sgpr_count 15
		.amdhsa_user_sgpr_dispatch_ptr 0
		.amdhsa_user_sgpr_queue_ptr 0
		.amdhsa_user_sgpr_kernarg_segment_ptr 1
		.amdhsa_user_sgpr_dispatch_id 0
		.amdhsa_user_sgpr_private_segment_size 0
		.amdhsa_wavefront_size32 1
		.amdhsa_uses_dynamic_stack 0
		.amdhsa_enable_private_segment 0
		.amdhsa_system_sgpr_workgroup_id_x 1
		.amdhsa_system_sgpr_workgroup_id_y 0
		.amdhsa_system_sgpr_workgroup_id_z 0
		.amdhsa_system_sgpr_workgroup_info 0
		.amdhsa_system_vgpr_workitem_id 0
		.amdhsa_next_free_vgpr 48
		.amdhsa_next_free_sgpr 20
		.amdhsa_reserve_vcc 1
		.amdhsa_float_round_mode_32 0
		.amdhsa_float_round_mode_16_64 0
		.amdhsa_float_denorm_mode_32 3
		.amdhsa_float_denorm_mode_16_64 3
		.amdhsa_dx10_clamp 1
		.amdhsa_ieee_mode 1
		.amdhsa_fp16_overflow 0
		.amdhsa_workgroup_processor_mode 1
		.amdhsa_memory_ordered 1
		.amdhsa_forward_progress 0
		.amdhsa_shared_vgpr_count 0
		.amdhsa_exception_fp_ieee_invalid_op 0
		.amdhsa_exception_fp_denorm_src 0
		.amdhsa_exception_fp_ieee_div_zero 0
		.amdhsa_exception_fp_ieee_overflow 0
		.amdhsa_exception_fp_ieee_underflow 0
		.amdhsa_exception_fp_ieee_inexact 0
		.amdhsa_exception_int_div_zero 0
	.end_amdhsa_kernel
	.section	.text._ZN9rocsparseL19gebsrmvn_3xn_kernelILj128ELj8ELj32EfEEvi20rocsparse_direction_NS_24const_host_device_scalarIT2_EEPKiS6_PKS3_S8_S4_PS3_21rocsparse_index_base_b,"axG",@progbits,_ZN9rocsparseL19gebsrmvn_3xn_kernelILj128ELj8ELj32EfEEvi20rocsparse_direction_NS_24const_host_device_scalarIT2_EEPKiS6_PKS3_S8_S4_PS3_21rocsparse_index_base_b,comdat
.Lfunc_end33:
	.size	_ZN9rocsparseL19gebsrmvn_3xn_kernelILj128ELj8ELj32EfEEvi20rocsparse_direction_NS_24const_host_device_scalarIT2_EEPKiS6_PKS3_S8_S4_PS3_21rocsparse_index_base_b, .Lfunc_end33-_ZN9rocsparseL19gebsrmvn_3xn_kernelILj128ELj8ELj32EfEEvi20rocsparse_direction_NS_24const_host_device_scalarIT2_EEPKiS6_PKS3_S8_S4_PS3_21rocsparse_index_base_b
                                        ; -- End function
	.section	.AMDGPU.csdata,"",@progbits
; Kernel info:
; codeLenInByte = 2712
; NumSgprs: 22
; NumVgprs: 48
; ScratchSize: 0
; MemoryBound: 0
; FloatMode: 240
; IeeeMode: 1
; LDSByteSize: 0 bytes/workgroup (compile time only)
; SGPRBlocks: 2
; VGPRBlocks: 5
; NumSGPRsForWavesPerEU: 22
; NumVGPRsForWavesPerEU: 48
; Occupancy: 16
; WaveLimiterHint : 1
; COMPUTE_PGM_RSRC2:SCRATCH_EN: 0
; COMPUTE_PGM_RSRC2:USER_SGPR: 15
; COMPUTE_PGM_RSRC2:TRAP_HANDLER: 0
; COMPUTE_PGM_RSRC2:TGID_X_EN: 1
; COMPUTE_PGM_RSRC2:TGID_Y_EN: 0
; COMPUTE_PGM_RSRC2:TGID_Z_EN: 0
; COMPUTE_PGM_RSRC2:TIDIG_COMP_CNT: 0
	.section	.text._ZN9rocsparseL19gebsrmvn_3xn_kernelILj128ELj8ELj64EfEEvi20rocsparse_direction_NS_24const_host_device_scalarIT2_EEPKiS6_PKS3_S8_S4_PS3_21rocsparse_index_base_b,"axG",@progbits,_ZN9rocsparseL19gebsrmvn_3xn_kernelILj128ELj8ELj64EfEEvi20rocsparse_direction_NS_24const_host_device_scalarIT2_EEPKiS6_PKS3_S8_S4_PS3_21rocsparse_index_base_b,comdat
	.globl	_ZN9rocsparseL19gebsrmvn_3xn_kernelILj128ELj8ELj64EfEEvi20rocsparse_direction_NS_24const_host_device_scalarIT2_EEPKiS6_PKS3_S8_S4_PS3_21rocsparse_index_base_b ; -- Begin function _ZN9rocsparseL19gebsrmvn_3xn_kernelILj128ELj8ELj64EfEEvi20rocsparse_direction_NS_24const_host_device_scalarIT2_EEPKiS6_PKS3_S8_S4_PS3_21rocsparse_index_base_b
	.p2align	8
	.type	_ZN9rocsparseL19gebsrmvn_3xn_kernelILj128ELj8ELj64EfEEvi20rocsparse_direction_NS_24const_host_device_scalarIT2_EEPKiS6_PKS3_S8_S4_PS3_21rocsparse_index_base_b,@function
_ZN9rocsparseL19gebsrmvn_3xn_kernelILj128ELj8ELj64EfEEvi20rocsparse_direction_NS_24const_host_device_scalarIT2_EEPKiS6_PKS3_S8_S4_PS3_21rocsparse_index_base_b: ; @_ZN9rocsparseL19gebsrmvn_3xn_kernelILj128ELj8ELj64EfEEvi20rocsparse_direction_NS_24const_host_device_scalarIT2_EEPKiS6_PKS3_S8_S4_PS3_21rocsparse_index_base_b
; %bb.0:
	s_clause 0x2
	s_load_b64 s[18:19], s[0:1], 0x40
	s_load_b64 s[16:17], s[0:1], 0x8
	;; [unrolled: 1-line block ×3, first 2 shown]
	s_waitcnt lgkmcnt(0)
	s_bitcmp1_b32 s19, 0
	s_cselect_b32 s2, -1, 0
	s_delay_alu instid0(SALU_CYCLE_1)
	s_and_b32 vcc_lo, exec_lo, s2
	s_xor_b32 s2, s2, -1
	s_cbranch_vccnz .LBB34_2
; %bb.1:
	s_load_b32 s16, s[16:17], 0x0
.LBB34_2:
	s_and_not1_b32 vcc_lo, exec_lo, s2
	s_cbranch_vccnz .LBB34_4
; %bb.3:
	s_load_b32 s12, s[12:13], 0x0
.LBB34_4:
	s_waitcnt lgkmcnt(0)
	v_cmp_eq_f32_e64 s2, s16, 0
	v_cmp_eq_f32_e64 s3, s12, 1.0
	s_delay_alu instid0(VALU_DEP_1) | instskip(NEXT) | instid1(SALU_CYCLE_1)
	s_and_b32 s2, s2, s3
	s_and_b32 vcc_lo, exec_lo, s2
	s_cbranch_vccnz .LBB34_23
; %bb.5:
	s_load_b64 s[2:3], s[0:1], 0x0
	v_lshrrev_b32_e32 v1, 6, v0
	s_delay_alu instid0(VALU_DEP_1) | instskip(SKIP_1) | instid1(VALU_DEP_1)
	v_lshl_or_b32 v1, s15, 1, v1
	s_waitcnt lgkmcnt(0)
	v_cmp_gt_i32_e32 vcc_lo, s2, v1
	s_and_saveexec_b32 s2, vcc_lo
	s_cbranch_execz .LBB34_23
; %bb.6:
	s_load_b256 s[4:11], s[0:1], 0x10
	v_ashrrev_i32_e32 v2, 31, v1
	v_and_b32_e32 v0, 63, v0
	s_cmp_lg_u32 s3, 0
	s_delay_alu instid0(VALU_DEP_2) | instskip(SKIP_1) | instid1(VALU_DEP_1)
	v_lshlrev_b64 v[2:3], 2, v[1:2]
	s_waitcnt lgkmcnt(0)
	v_add_co_u32 v2, vcc_lo, s4, v2
	s_delay_alu instid0(VALU_DEP_2) | instskip(SKIP_4) | instid1(VALU_DEP_2)
	v_add_co_ci_u32_e32 v3, vcc_lo, s5, v3, vcc_lo
	global_load_b64 v[2:3], v[2:3], off
	s_waitcnt vmcnt(0)
	v_subrev_nc_u32_e32 v2, s18, v2
	v_subrev_nc_u32_e32 v12, s18, v3
	v_add_nc_u32_e32 v2, v2, v0
	s_delay_alu instid0(VALU_DEP_1)
	v_cmp_lt_i32_e64 s2, v2, v12
	s_cbranch_scc0 .LBB34_12
; %bb.7:
	v_dual_mov_b32 v9, 0 :: v_dual_mov_b32 v10, 0
	v_mov_b32_e32 v11, 0
	s_mov_b32 s3, 0
	s_and_saveexec_b32 s4, s2
	s_cbranch_execz .LBB34_11
; %bb.8:
	v_mad_u64_u32 v[3:4], null, v2, 24, 23
	v_dual_mov_b32 v6, 0 :: v_dual_mov_b32 v7, v2
	v_dual_mov_b32 v9, 0 :: v_dual_mov_b32 v10, 0
	v_mov_b32_e32 v11, 0
	s_mov_b32 s5, 0
.LBB34_9:                               ; =>This Inner Loop Header: Depth=1
	s_delay_alu instid0(VALU_DEP_3) | instskip(SKIP_1) | instid1(VALU_DEP_2)
	v_ashrrev_i32_e32 v8, 31, v7
	v_mov_b32_e32 v22, v6
	v_lshlrev_b64 v[4:5], 2, v[7:8]
	v_add_nc_u32_e32 v7, 64, v7
	s_delay_alu instid0(VALU_DEP_2) | instskip(NEXT) | instid1(VALU_DEP_3)
	v_add_co_u32 v4, vcc_lo, s6, v4
	v_add_co_ci_u32_e32 v5, vcc_lo, s7, v5, vcc_lo
	global_load_b32 v8, v[4:5], off
	v_subrev_nc_u32_e32 v5, 23, v3
	v_mov_b32_e32 v4, v6
	s_delay_alu instid0(VALU_DEP_2) | instskip(SKIP_1) | instid1(VALU_DEP_1)
	v_lshlrev_b64 v[13:14], 2, v[5:6]
	v_add_nc_u32_e32 v5, -15, v3
	v_lshlrev_b64 v[17:18], 2, v[5:6]
	v_add_nc_u32_e32 v5, -14, v3
	v_lshlrev_b64 v[15:16], 2, v[3:4]
	v_add_co_u32 v19, vcc_lo, s8, v13
	v_add_co_ci_u32_e32 v20, vcc_lo, s9, v14, vcc_lo
	s_delay_alu instid0(VALU_DEP_4) | instskip(NEXT) | instid1(VALU_DEP_4)
	v_lshlrev_b64 v[23:24], 2, v[5:6]
	v_add_co_u32 v29, vcc_lo, s8, v15
	v_add_co_ci_u32_e32 v30, vcc_lo, s9, v16, vcc_lo
	v_add_co_u32 v25, vcc_lo, s8, v17
	v_add_co_ci_u32_e32 v26, vcc_lo, s9, v18, vcc_lo
	s_clause 0x1
	global_load_b128 v[13:16], v[19:20], off offset:16
	global_load_b128 v[17:20], v[19:20], off
	v_add_nc_u32_e32 v5, -13, v3
	v_add_co_u32 v23, vcc_lo, s8, v23
	v_add_co_ci_u32_e32 v24, vcc_lo, s9, v24, vcc_lo
	s_delay_alu instid0(VALU_DEP_3)
	v_lshlrev_b64 v[27:28], 2, v[5:6]
	v_add_nc_u32_e32 v5, -12, v3
	global_load_b32 v37, v[25:26], off
	v_add_co_u32 v27, vcc_lo, s8, v27
	v_add_co_ci_u32_e32 v28, vcc_lo, s9, v28, vcc_lo
	s_clause 0x1
	global_load_b32 v39, v[27:28], off
	global_load_b32 v38, v[23:24], off
	v_lshlrev_b64 v[25:26], 2, v[5:6]
	s_delay_alu instid0(VALU_DEP_1) | instskip(NEXT) | instid1(VALU_DEP_2)
	v_add_co_u32 v25, vcc_lo, s8, v25
	v_add_co_ci_u32_e32 v26, vcc_lo, s9, v26, vcc_lo
	global_load_b32 v40, v[25:26], off
	v_add_nc_u32_e32 v5, -11, v3
	s_delay_alu instid0(VALU_DEP_1) | instskip(SKIP_1) | instid1(VALU_DEP_2)
	v_lshlrev_b64 v[23:24], 2, v[5:6]
	v_add_nc_u32_e32 v5, -10, v3
	v_add_co_u32 v23, vcc_lo, s8, v23
	s_delay_alu instid0(VALU_DEP_2)
	v_lshlrev_b64 v[27:28], 2, v[5:6]
	v_add_nc_u32_e32 v5, -9, v3
	v_add_co_ci_u32_e32 v24, vcc_lo, s9, v24, vcc_lo
	global_load_b32 v41, v[23:24], off
	v_lshlrev_b64 v[25:26], 2, v[5:6]
	v_add_nc_u32_e32 v5, -8, v3
	v_add_co_u32 v23, vcc_lo, s8, v27
	v_add_co_ci_u32_e32 v24, vcc_lo, s9, v28, vcc_lo
	s_delay_alu instid0(VALU_DEP_4) | instskip(NEXT) | instid1(VALU_DEP_4)
	v_add_co_u32 v25, vcc_lo, s8, v25
	v_lshlrev_b64 v[27:28], 2, v[5:6]
	v_add_nc_u32_e32 v5, -7, v3
	v_add_co_ci_u32_e32 v26, vcc_lo, s9, v26, vcc_lo
	s_clause 0x1
	global_load_b32 v42, v[23:24], off
	global_load_b32 v43, v[25:26], off
	v_lshlrev_b64 v[23:24], 2, v[5:6]
	v_add_nc_u32_e32 v5, -6, v3
	v_add_co_u32 v25, vcc_lo, s8, v27
	v_add_co_ci_u32_e32 v26, vcc_lo, s9, v28, vcc_lo
	s_delay_alu instid0(VALU_DEP_3)
	v_lshlrev_b64 v[27:28], 2, v[5:6]
	v_add_co_u32 v23, vcc_lo, s8, v23
	v_add_co_ci_u32_e32 v24, vcc_lo, s9, v24, vcc_lo
	global_load_b32 v44, v[25:26], off
	v_add_co_u32 v33, vcc_lo, s8, v27
	global_load_b32 v45, v[23:24], off
	v_add_co_ci_u32_e32 v34, vcc_lo, s9, v28, vcc_lo
	v_add_nc_u32_e32 v5, -5, v3
	s_delay_alu instid0(VALU_DEP_1) | instskip(SKIP_1) | instid1(VALU_DEP_1)
	v_lshlrev_b64 v[31:32], 2, v[5:6]
	v_add_nc_u32_e32 v5, -4, v3
	v_lshlrev_b64 v[35:36], 2, v[5:6]
	v_add_nc_u32_e32 v5, -3, v3
	s_waitcnt vmcnt(11)
	v_subrev_nc_u32_e32 v4, s18, v8
	s_delay_alu instid0(VALU_DEP_1) | instskip(NEXT) | instid1(VALU_DEP_1)
	v_lshlrev_b32_e32 v21, 3, v4
	v_lshlrev_b64 v[21:22], 2, v[21:22]
	s_delay_alu instid0(VALU_DEP_1) | instskip(NEXT) | instid1(VALU_DEP_2)
	v_add_co_u32 v25, vcc_lo, s10, v21
	v_add_co_ci_u32_e32 v26, vcc_lo, s11, v22, vcc_lo
	v_add_co_u32 v31, vcc_lo, s8, v31
	v_add_co_ci_u32_e32 v32, vcc_lo, s9, v32, vcc_lo
	s_clause 0x1
	global_load_b128 v[21:24], v[25:26], off
	global_load_b128 v[25:28], v[25:26], off offset:16
	s_clause 0x1
	global_load_b32 v8, v[33:34], off
	global_load_b32 v46, v[31:32], off
	v_lshlrev_b64 v[33:34], 2, v[5:6]
	v_add_nc_u32_e32 v5, -2, v3
	v_add_co_u32 v31, vcc_lo, s8, v35
	v_add_co_ci_u32_e32 v32, vcc_lo, s9, v36, vcc_lo
	s_delay_alu instid0(VALU_DEP_3) | instskip(SKIP_3) | instid1(VALU_DEP_3)
	v_lshlrev_b64 v[35:36], 2, v[5:6]
	v_add_nc_u32_e32 v5, -1, v3
	v_add_co_u32 v33, vcc_lo, s8, v33
	v_add_co_ci_u32_e32 v34, vcc_lo, s9, v34, vcc_lo
	v_lshlrev_b64 v[4:5], 2, v[5:6]
	global_load_b32 v47, v[31:32], off
	v_add_nc_u32_e32 v3, 0x600, v3
	global_load_b32 v33, v[33:34], off
	v_add_co_u32 v31, vcc_lo, s8, v35
	v_add_co_ci_u32_e32 v32, vcc_lo, s9, v36, vcc_lo
	v_add_co_u32 v4, vcc_lo, s8, v4
	v_add_co_ci_u32_e32 v5, vcc_lo, s9, v5, vcc_lo
	s_clause 0x2
	global_load_b32 v31, v[31:32], off
	global_load_b32 v4, v[4:5], off
	;; [unrolled: 1-line block ×3, first 2 shown]
	v_cmp_ge_i32_e32 vcc_lo, v7, v12
	s_or_b32 s5, vcc_lo, s5
	s_waitcnt vmcnt(8)
	v_fmac_f32_e32 v10, v19, v21
	s_delay_alu instid0(VALU_DEP_1) | instskip(NEXT) | instid1(VALU_DEP_1)
	v_dual_fmac_f32 v9, v17, v21 :: v_dual_fmac_f32 v10, v14, v22
	v_fmac_f32_e32 v10, v37, v23
	s_delay_alu instid0(VALU_DEP_1) | instskip(SKIP_1) | instid1(VALU_DEP_1)
	v_fmac_f32_e32 v10, v40, v24
	s_waitcnt vmcnt(7)
	v_fmac_f32_e32 v10, v43, v25
	s_waitcnt vmcnt(6)
	s_delay_alu instid0(VALU_DEP_1) | instskip(SKIP_1) | instid1(VALU_DEP_1)
	v_dual_fmac_f32 v10, v8, v26 :: v_dual_fmac_f32 v11, v18, v21
	s_waitcnt vmcnt(3)
	v_dual_fmac_f32 v10, v33, v27 :: v_dual_fmac_f32 v9, v20, v22
	s_delay_alu instid0(VALU_DEP_2) | instskip(SKIP_1) | instid1(VALU_DEP_2)
	v_fmac_f32_e32 v11, v13, v22
	s_waitcnt vmcnt(0)
	v_dual_fmac_f32 v10, v5, v28 :: v_dual_fmac_f32 v9, v15, v23
	s_delay_alu instid0(VALU_DEP_2) | instskip(NEXT) | instid1(VALU_DEP_2)
	v_fmac_f32_e32 v11, v16, v23
	v_fmac_f32_e32 v9, v38, v24
	s_delay_alu instid0(VALU_DEP_2) | instskip(NEXT) | instid1(VALU_DEP_2)
	v_fmac_f32_e32 v11, v39, v24
	v_fmac_f32_e32 v9, v41, v25
	;; [unrolled: 3-line block ×5, first 2 shown]
	s_delay_alu instid0(VALU_DEP_2)
	v_fmac_f32_e32 v11, v4, v28
	s_and_not1_b32 exec_lo, exec_lo, s5
	s_cbranch_execnz .LBB34_9
; %bb.10:
	s_or_b32 exec_lo, exec_lo, s5
.LBB34_11:
	s_delay_alu instid0(SALU_CYCLE_1) | instskip(NEXT) | instid1(SALU_CYCLE_1)
	s_or_b32 exec_lo, exec_lo, s4
	s_and_not1_b32 vcc_lo, exec_lo, s3
	s_cbranch_vccz .LBB34_13
	s_branch .LBB34_18
.LBB34_12:
                                        ; implicit-def: $vgpr9
                                        ; implicit-def: $vgpr10
                                        ; implicit-def: $vgpr11
.LBB34_13:
	v_dual_mov_b32 v9, 0 :: v_dual_mov_b32 v10, 0
	v_mov_b32_e32 v11, 0
	s_delay_alu instid0(VALU_DEP_3)
	s_and_saveexec_b32 s3, s2
	s_cbranch_execz .LBB34_17
; %bb.14:
	v_mad_u64_u32 v[4:5], null, v2, 24, 23
	v_dual_mov_b32 v7, 0 :: v_dual_mov_b32 v10, 0
	v_mov_b32_e32 v9, 0
	v_mov_b32_e32 v11, 0
	s_mov_b32 s2, 0
.LBB34_15:                              ; =>This Inner Loop Header: Depth=1
	v_ashrrev_i32_e32 v3, 31, v2
	v_dual_mov_b32 v22, v7 :: v_dual_add_nc_u32 v13, -15, v4
	v_dual_mov_b32 v14, v7 :: v_dual_add_nc_u32 v15, -7, v4
	s_delay_alu instid0(VALU_DEP_3) | instskip(SKIP_1) | instid1(VALU_DEP_3)
	v_lshlrev_b64 v[5:6], 2, v[2:3]
	v_add_nc_u32_e32 v2, 64, v2
	v_lshlrev_b64 v[13:14], 2, v[13:14]
	s_delay_alu instid0(VALU_DEP_3) | instskip(NEXT) | instid1(VALU_DEP_4)
	v_add_co_u32 v5, vcc_lo, s6, v5
	v_add_co_ci_u32_e32 v6, vcc_lo, s7, v6, vcc_lo
	global_load_b32 v3, v[5:6], off
	v_subrev_nc_u32_e32 v6, 23, v4
	v_mov_b32_e32 v5, v7
	s_delay_alu instid0(VALU_DEP_2) | instskip(SKIP_1) | instid1(VALU_DEP_3)
	v_lshlrev_b64 v[17:18], 2, v[6:7]
	v_add_nc_u32_e32 v6, -14, v4
	v_lshlrev_b64 v[19:20], 2, v[4:5]
	s_delay_alu instid0(VALU_DEP_2) | instskip(NEXT) | instid1(VALU_DEP_4)
	v_lshlrev_b64 v[23:24], 2, v[6:7]
	v_add_co_u32 v17, vcc_lo, s8, v17
	v_add_co_ci_u32_e32 v18, vcc_lo, s9, v18, vcc_lo
	v_add_co_u32 v25, vcc_lo, s8, v13
	v_add_co_ci_u32_e32 v26, vcc_lo, s9, v14, vcc_lo
	s_waitcnt vmcnt(0)
	v_subrev_nc_u32_e32 v3, s18, v3
	s_delay_alu instid0(VALU_DEP_1) | instskip(NEXT) | instid1(VALU_DEP_1)
	v_dual_mov_b32 v16, v7 :: v_dual_lshlrev_b32 v21, 3, v3
	v_lshlrev_b64 v[15:16], 2, v[15:16]
	s_delay_alu instid0(VALU_DEP_2) | instskip(NEXT) | instid1(VALU_DEP_2)
	v_lshlrev_b64 v[21:22], 2, v[21:22]
	v_add_co_u32 v27, vcc_lo, s8, v15
	s_delay_alu instid0(VALU_DEP_3)
	v_add_co_ci_u32_e32 v28, vcc_lo, s9, v16, vcc_lo
	v_add_co_u32 v29, vcc_lo, s8, v19
	v_add_co_ci_u32_e32 v30, vcc_lo, s9, v20, vcc_lo
	s_clause 0x1
	global_load_b128 v[13:16], v[17:18], off offset:16
	global_load_b128 v[17:20], v[17:18], off
	v_add_nc_u32_e32 v6, -6, v4
	s_clause 0x1
	global_load_b32 v8, v[25:26], off
	global_load_b32 v37, v[27:28], off
	v_add_co_u32 v23, vcc_lo, s8, v23
	v_add_co_ci_u32_e32 v24, vcc_lo, s9, v24, vcc_lo
	v_lshlrev_b64 v[31:32], 2, v[6:7]
	v_add_nc_u32_e32 v6, -13, v4
	global_load_b32 v38, v[23:24], off
	v_lshlrev_b64 v[25:26], 2, v[6:7]
	v_add_nc_u32_e32 v6, -5, v4
	v_add_co_u32 v23, vcc_lo, s8, v31
	v_add_co_ci_u32_e32 v24, vcc_lo, s9, v32, vcc_lo
	s_delay_alu instid0(VALU_DEP_4) | instskip(NEXT) | instid1(VALU_DEP_4)
	v_add_co_u32 v25, vcc_lo, s8, v25
	v_lshlrev_b64 v[27:28], 2, v[6:7]
	v_add_nc_u32_e32 v6, -12, v4
	v_add_co_ci_u32_e32 v26, vcc_lo, s9, v26, vcc_lo
	s_clause 0x1
	global_load_b32 v39, v[23:24], off
	global_load_b32 v40, v[25:26], off
	v_lshlrev_b64 v[23:24], 2, v[6:7]
	v_add_nc_u32_e32 v6, -4, v4
	v_add_co_u32 v25, vcc_lo, s8, v27
	v_add_co_ci_u32_e32 v26, vcc_lo, s9, v28, vcc_lo
	s_delay_alu instid0(VALU_DEP_4) | instskip(NEXT) | instid1(VALU_DEP_4)
	v_add_co_u32 v23, vcc_lo, s8, v23
	v_lshlrev_b64 v[27:28], 2, v[6:7]
	v_add_nc_u32_e32 v6, -11, v4
	v_add_co_ci_u32_e32 v24, vcc_lo, s9, v24, vcc_lo
	s_clause 0x1
	global_load_b32 v41, v[25:26], off
	global_load_b32 v42, v[23:24], off
	v_lshlrev_b64 v[25:26], 2, v[6:7]
	v_add_nc_u32_e32 v6, -3, v4
	v_add_co_u32 v23, vcc_lo, s8, v27
	v_add_co_ci_u32_e32 v24, vcc_lo, s9, v28, vcc_lo
	s_delay_alu instid0(VALU_DEP_3)
	v_lshlrev_b64 v[27:28], 2, v[6:7]
	v_add_co_u32 v25, vcc_lo, s8, v25
	v_add_co_ci_u32_e32 v26, vcc_lo, s9, v26, vcc_lo
	global_load_b32 v43, v[23:24], off
	v_add_co_u32 v33, vcc_lo, s8, v27
	global_load_b32 v44, v[25:26], off
	v_add_co_ci_u32_e32 v34, vcc_lo, s9, v28, vcc_lo
	v_add_co_u32 v25, vcc_lo, s10, v21
	v_add_co_ci_u32_e32 v26, vcc_lo, s11, v22, vcc_lo
	s_clause 0x1
	global_load_b128 v[21:24], v[25:26], off
	global_load_b128 v[25:28], v[25:26], off offset:16
	global_load_b32 v3, v[33:34], off
	s_waitcnt vmcnt(2)
	v_fmac_f32_e32 v9, v17, v21
	v_fmac_f32_e32 v11, v8, v21
	s_delay_alu instid0(VALU_DEP_2) | instskip(NEXT) | instid1(VALU_DEP_2)
	v_fmac_f32_e32 v9, v18, v22
	v_fmac_f32_e32 v11, v38, v22
	s_delay_alu instid0(VALU_DEP_2) | instskip(NEXT) | instid1(VALU_DEP_2)
	v_dual_fmac_f32 v9, v19, v23 :: v_dual_fmac_f32 v10, v37, v21
	v_fmac_f32_e32 v11, v40, v23
	s_delay_alu instid0(VALU_DEP_2) | instskip(NEXT) | instid1(VALU_DEP_2)
	v_dual_fmac_f32 v9, v20, v24 :: v_dual_fmac_f32 v10, v39, v22
	v_fmac_f32_e32 v11, v42, v24
	s_waitcnt vmcnt(1)
	s_delay_alu instid0(VALU_DEP_2) | instskip(NEXT) | instid1(VALU_DEP_2)
	v_dual_fmac_f32 v9, v13, v25 :: v_dual_add_nc_u32 v6, -10, v4
	v_fmac_f32_e32 v11, v44, v25
	s_delay_alu instid0(VALU_DEP_2) | instskip(NEXT) | instid1(VALU_DEP_3)
	v_lshlrev_b64 v[31:32], 2, v[6:7]
	v_dual_fmac_f32 v9, v14, v26 :: v_dual_add_nc_u32 v6, -2, v4
	s_delay_alu instid0(VALU_DEP_2) | instskip(NEXT) | instid1(VALU_DEP_3)
	v_add_co_u32 v31, vcc_lo, s8, v31
	v_add_co_ci_u32_e32 v32, vcc_lo, s9, v32, vcc_lo
	s_delay_alu instid0(VALU_DEP_3) | instskip(NEXT) | instid1(VALU_DEP_4)
	v_lshlrev_b64 v[35:36], 2, v[6:7]
	v_fmac_f32_e32 v9, v15, v27
	v_fmac_f32_e32 v10, v41, v23
	global_load_b32 v45, v[31:32], off
	v_add_nc_u32_e32 v6, -9, v4
	v_add_co_u32 v31, vcc_lo, s8, v35
	v_add_co_ci_u32_e32 v32, vcc_lo, s9, v36, vcc_lo
	v_fmac_f32_e32 v9, v16, v28
	v_fmac_f32_e32 v10, v43, v24
	global_load_b32 v46, v[31:32], off
	s_waitcnt vmcnt(1)
	v_fmac_f32_e32 v11, v45, v26
	v_lshlrev_b64 v[33:34], 2, v[6:7]
	v_add_nc_u32_e32 v6, -1, v4
	s_delay_alu instid0(VALU_DEP_2) | instskip(NEXT) | instid1(VALU_DEP_3)
	v_add_co_u32 v33, vcc_lo, s8, v33
	v_add_co_ci_u32_e32 v34, vcc_lo, s9, v34, vcc_lo
	s_delay_alu instid0(VALU_DEP_3)
	v_lshlrev_b64 v[35:36], 2, v[6:7]
	global_load_b32 v33, v[33:34], off
	v_add_nc_u32_e32 v6, -8, v4
	v_add_nc_u32_e32 v4, 0x600, v4
	v_add_co_u32 v31, vcc_lo, s8, v35
	v_add_co_ci_u32_e32 v32, vcc_lo, s9, v36, vcc_lo
	s_waitcnt vmcnt(0)
	v_fmac_f32_e32 v11, v33, v27
	v_lshlrev_b64 v[5:6], 2, v[6:7]
	s_delay_alu instid0(VALU_DEP_1) | instskip(NEXT) | instid1(VALU_DEP_2)
	v_add_co_u32 v5, vcc_lo, s8, v5
	v_add_co_ci_u32_e32 v6, vcc_lo, s9, v6, vcc_lo
	s_clause 0x2
	global_load_b32 v31, v[31:32], off
	global_load_b32 v5, v[5:6], off
	;; [unrolled: 1-line block ×3, first 2 shown]
	v_fmac_f32_e32 v10, v3, v25
	v_cmp_ge_i32_e32 vcc_lo, v2, v12
	s_or_b32 s2, vcc_lo, s2
	s_waitcnt vmcnt(1)
	s_delay_alu instid0(VALU_DEP_2) | instskip(NEXT) | instid1(VALU_DEP_1)
	v_dual_fmac_f32 v11, v5, v28 :: v_dual_fmac_f32 v10, v46, v26
	v_fmac_f32_e32 v10, v31, v27
	s_waitcnt vmcnt(0)
	s_delay_alu instid0(VALU_DEP_1)
	v_fmac_f32_e32 v10, v6, v28
	s_and_not1_b32 exec_lo, exec_lo, s2
	s_cbranch_execnz .LBB34_15
; %bb.16:
	s_or_b32 exec_lo, exec_lo, s2
.LBB34_17:
	s_delay_alu instid0(SALU_CYCLE_1)
	s_or_b32 exec_lo, exec_lo, s3
.LBB34_18:
	v_mbcnt_lo_u32_b32 v2, -1, 0
	s_mov_b32 s2, -1
	s_delay_alu instid0(VALU_DEP_1) | instskip(SKIP_1) | instid1(VALU_DEP_2)
	v_or_b32_e32 v3, 32, v2
	v_xor_b32_e32 v6, 16, v2
	v_cmp_gt_i32_e32 vcc_lo, 32, v3
	v_cndmask_b32_e32 v3, v2, v3, vcc_lo
	s_delay_alu instid0(VALU_DEP_3) | instskip(SKIP_1) | instid1(VALU_DEP_1)
	v_cmp_gt_i32_e32 vcc_lo, 32, v6
	v_cndmask_b32_e32 v6, v2, v6, vcc_lo
	v_lshlrev_b32_e32 v6, 2, v6
	s_delay_alu instid0(VALU_DEP_4)
	v_lshlrev_b32_e32 v3, 2, v3
	ds_bpermute_b32 v4, v3, v9
	s_waitcnt lgkmcnt(0)
	v_add_f32_e32 v4, v9, v4
	ds_bpermute_b32 v5, v3, v11
	ds_bpermute_b32 v3, v3, v10
	v_xor_b32_e32 v9, 8, v2
	ds_bpermute_b32 v7, v6, v4
	v_cmp_gt_i32_e32 vcc_lo, 32, v9
	v_cndmask_b32_e32 v9, v2, v9, vcc_lo
	s_waitcnt lgkmcnt(0)
	v_dual_add_f32 v5, v11, v5 :: v_dual_add_f32 v4, v4, v7
	v_add_f32_e32 v3, v10, v3
	ds_bpermute_b32 v8, v6, v5
	v_lshlrev_b32_e32 v9, 2, v9
	ds_bpermute_b32 v6, v6, v3
	s_waitcnt lgkmcnt(1)
	v_add_f32_e32 v5, v5, v8
	s_waitcnt lgkmcnt(0)
	v_add_f32_e32 v3, v3, v6
	ds_bpermute_b32 v6, v9, v4
	ds_bpermute_b32 v7, v9, v5
	;; [unrolled: 1-line block ×3, first 2 shown]
	v_xor_b32_e32 v9, 4, v2
	s_delay_alu instid0(VALU_DEP_1)
	v_cmp_gt_i32_e32 vcc_lo, 32, v9
	s_waitcnt lgkmcnt(1)
	v_dual_add_f32 v4, v4, v6 :: v_dual_add_f32 v5, v5, v7
	s_waitcnt lgkmcnt(0)
	v_add_f32_e32 v3, v3, v8
	v_cndmask_b32_e32 v9, v2, v9, vcc_lo
	s_delay_alu instid0(VALU_DEP_1) | instskip(SKIP_4) | instid1(VALU_DEP_1)
	v_lshlrev_b32_e32 v9, 2, v9
	ds_bpermute_b32 v6, v9, v4
	ds_bpermute_b32 v7, v9, v5
	;; [unrolled: 1-line block ×3, first 2 shown]
	v_xor_b32_e32 v9, 2, v2
	v_cmp_gt_i32_e32 vcc_lo, 32, v9
	v_cndmask_b32_e32 v9, v2, v9, vcc_lo
	s_waitcnt lgkmcnt(2)
	s_delay_alu instid0(VALU_DEP_1)
	v_dual_add_f32 v4, v4, v6 :: v_dual_lshlrev_b32 v9, 2, v9
	s_waitcnt lgkmcnt(0)
	v_dual_add_f32 v5, v5, v7 :: v_dual_add_f32 v6, v3, v8
	ds_bpermute_b32 v3, v9, v4
	ds_bpermute_b32 v7, v9, v5
	;; [unrolled: 1-line block ×3, first 2 shown]
	v_xor_b32_e32 v9, 1, v2
	s_delay_alu instid0(VALU_DEP_1) | instskip(SKIP_3) | instid1(VALU_DEP_2)
	v_cmp_gt_i32_e32 vcc_lo, 32, v9
	v_cndmask_b32_e32 v2, v2, v9, vcc_lo
	v_cmp_eq_u32_e32 vcc_lo, 63, v0
	s_waitcnt lgkmcnt(2)
	v_dual_add_f32 v2, v4, v3 :: v_dual_lshlrev_b32 v9, 2, v2
	s_waitcnt lgkmcnt(0)
	v_dual_add_f32 v3, v5, v7 :: v_dual_add_f32 v4, v6, v8
	ds_bpermute_b32 v5, v9, v2
	ds_bpermute_b32 v6, v9, v3
	;; [unrolled: 1-line block ×3, first 2 shown]
	s_and_b32 exec_lo, exec_lo, vcc_lo
	s_cbranch_execz .LBB34_23
; %bb.19:
	s_load_b64 s[0:1], s[0:1], 0x38
	s_waitcnt lgkmcnt(0)
	v_add_f32_e32 v0, v2, v5
	v_add_f32_e32 v2, v3, v6
	;; [unrolled: 1-line block ×3, first 2 shown]
	v_lshl_add_u32 v3, v1, 1, v1
	v_cmp_eq_f32_e64 s3, s12, 0
	s_delay_alu instid0(VALU_DEP_4) | instskip(NEXT) | instid1(VALU_DEP_4)
	v_dual_mul_f32 v1, s16, v2 :: v_dual_mul_f32 v0, s16, v0
	v_mul_f32_e32 v2, s16, v4
	s_delay_alu instid0(VALU_DEP_4) | instskip(NEXT) | instid1(VALU_DEP_4)
	v_ashrrev_i32_e32 v4, 31, v3
	s_and_b32 vcc_lo, exec_lo, s3
	s_cbranch_vccz .LBB34_21
; %bb.20:
	s_delay_alu instid0(VALU_DEP_1) | instskip(SKIP_1) | instid1(VALU_DEP_1)
	v_lshlrev_b64 v[5:6], 2, v[3:4]
	s_mov_b32 s2, 0
	v_add_co_u32 v5, vcc_lo, s0, v5
	s_delay_alu instid0(VALU_DEP_2)
	v_add_co_ci_u32_e32 v6, vcc_lo, s1, v6, vcc_lo
	global_store_b96 v[5:6], v[0:2], off
.LBB34_21:
	s_and_not1_b32 vcc_lo, exec_lo, s2
	s_cbranch_vccnz .LBB34_23
; %bb.22:
	v_lshlrev_b64 v[3:4], 2, v[3:4]
	s_delay_alu instid0(VALU_DEP_1) | instskip(NEXT) | instid1(VALU_DEP_2)
	v_add_co_u32 v6, vcc_lo, s0, v3
	v_add_co_ci_u32_e32 v7, vcc_lo, s1, v4, vcc_lo
	global_load_b96 v[3:5], v[6:7], off
	s_waitcnt vmcnt(0)
	v_dual_fmac_f32 v0, s12, v3 :: v_dual_fmac_f32 v1, s12, v4
	v_fmac_f32_e32 v2, s12, v5
	global_store_b96 v[6:7], v[0:2], off
.LBB34_23:
	s_nop 0
	s_sendmsg sendmsg(MSG_DEALLOC_VGPRS)
	s_endpgm
	.section	.rodata,"a",@progbits
	.p2align	6, 0x0
	.amdhsa_kernel _ZN9rocsparseL19gebsrmvn_3xn_kernelILj128ELj8ELj64EfEEvi20rocsparse_direction_NS_24const_host_device_scalarIT2_EEPKiS6_PKS3_S8_S4_PS3_21rocsparse_index_base_b
		.amdhsa_group_segment_fixed_size 0
		.amdhsa_private_segment_fixed_size 0
		.amdhsa_kernarg_size 72
		.amdhsa_user_sgpr_count 15
		.amdhsa_user_sgpr_dispatch_ptr 0
		.amdhsa_user_sgpr_queue_ptr 0
		.amdhsa_user_sgpr_kernarg_segment_ptr 1
		.amdhsa_user_sgpr_dispatch_id 0
		.amdhsa_user_sgpr_private_segment_size 0
		.amdhsa_wavefront_size32 1
		.amdhsa_uses_dynamic_stack 0
		.amdhsa_enable_private_segment 0
		.amdhsa_system_sgpr_workgroup_id_x 1
		.amdhsa_system_sgpr_workgroup_id_y 0
		.amdhsa_system_sgpr_workgroup_id_z 0
		.amdhsa_system_sgpr_workgroup_info 0
		.amdhsa_system_vgpr_workitem_id 0
		.amdhsa_next_free_vgpr 48
		.amdhsa_next_free_sgpr 20
		.amdhsa_reserve_vcc 1
		.amdhsa_float_round_mode_32 0
		.amdhsa_float_round_mode_16_64 0
		.amdhsa_float_denorm_mode_32 3
		.amdhsa_float_denorm_mode_16_64 3
		.amdhsa_dx10_clamp 1
		.amdhsa_ieee_mode 1
		.amdhsa_fp16_overflow 0
		.amdhsa_workgroup_processor_mode 1
		.amdhsa_memory_ordered 1
		.amdhsa_forward_progress 0
		.amdhsa_shared_vgpr_count 0
		.amdhsa_exception_fp_ieee_invalid_op 0
		.amdhsa_exception_fp_denorm_src 0
		.amdhsa_exception_fp_ieee_div_zero 0
		.amdhsa_exception_fp_ieee_overflow 0
		.amdhsa_exception_fp_ieee_underflow 0
		.amdhsa_exception_fp_ieee_inexact 0
		.amdhsa_exception_int_div_zero 0
	.end_amdhsa_kernel
	.section	.text._ZN9rocsparseL19gebsrmvn_3xn_kernelILj128ELj8ELj64EfEEvi20rocsparse_direction_NS_24const_host_device_scalarIT2_EEPKiS6_PKS3_S8_S4_PS3_21rocsparse_index_base_b,"axG",@progbits,_ZN9rocsparseL19gebsrmvn_3xn_kernelILj128ELj8ELj64EfEEvi20rocsparse_direction_NS_24const_host_device_scalarIT2_EEPKiS6_PKS3_S8_S4_PS3_21rocsparse_index_base_b,comdat
.Lfunc_end34:
	.size	_ZN9rocsparseL19gebsrmvn_3xn_kernelILj128ELj8ELj64EfEEvi20rocsparse_direction_NS_24const_host_device_scalarIT2_EEPKiS6_PKS3_S8_S4_PS3_21rocsparse_index_base_b, .Lfunc_end34-_ZN9rocsparseL19gebsrmvn_3xn_kernelILj128ELj8ELj64EfEEvi20rocsparse_direction_NS_24const_host_device_scalarIT2_EEPKiS6_PKS3_S8_S4_PS3_21rocsparse_index_base_b
                                        ; -- End function
	.section	.AMDGPU.csdata,"",@progbits
; Kernel info:
; codeLenInByte = 2776
; NumSgprs: 22
; NumVgprs: 48
; ScratchSize: 0
; MemoryBound: 0
; FloatMode: 240
; IeeeMode: 1
; LDSByteSize: 0 bytes/workgroup (compile time only)
; SGPRBlocks: 2
; VGPRBlocks: 5
; NumSGPRsForWavesPerEU: 22
; NumVGPRsForWavesPerEU: 48
; Occupancy: 16
; WaveLimiterHint : 1
; COMPUTE_PGM_RSRC2:SCRATCH_EN: 0
; COMPUTE_PGM_RSRC2:USER_SGPR: 15
; COMPUTE_PGM_RSRC2:TRAP_HANDLER: 0
; COMPUTE_PGM_RSRC2:TGID_X_EN: 1
; COMPUTE_PGM_RSRC2:TGID_Y_EN: 0
; COMPUTE_PGM_RSRC2:TGID_Z_EN: 0
; COMPUTE_PGM_RSRC2:TIDIG_COMP_CNT: 0
	.section	.text._ZN9rocsparseL23gebsrmvn_general_kernelILj48ELj16EfEEvi20rocsparse_direction_NS_24const_host_device_scalarIT1_EEPKiS6_PKS3_iiS8_S4_PS3_21rocsparse_index_base_b,"axG",@progbits,_ZN9rocsparseL23gebsrmvn_general_kernelILj48ELj16EfEEvi20rocsparse_direction_NS_24const_host_device_scalarIT1_EEPKiS6_PKS3_iiS8_S4_PS3_21rocsparse_index_base_b,comdat
	.globl	_ZN9rocsparseL23gebsrmvn_general_kernelILj48ELj16EfEEvi20rocsparse_direction_NS_24const_host_device_scalarIT1_EEPKiS6_PKS3_iiS8_S4_PS3_21rocsparse_index_base_b ; -- Begin function _ZN9rocsparseL23gebsrmvn_general_kernelILj48ELj16EfEEvi20rocsparse_direction_NS_24const_host_device_scalarIT1_EEPKiS6_PKS3_iiS8_S4_PS3_21rocsparse_index_base_b
	.p2align	8
	.type	_ZN9rocsparseL23gebsrmvn_general_kernelILj48ELj16EfEEvi20rocsparse_direction_NS_24const_host_device_scalarIT1_EEPKiS6_PKS3_iiS8_S4_PS3_21rocsparse_index_base_b,@function
_ZN9rocsparseL23gebsrmvn_general_kernelILj48ELj16EfEEvi20rocsparse_direction_NS_24const_host_device_scalarIT1_EEPKiS6_PKS3_iiS8_S4_PS3_21rocsparse_index_base_b: ; @_ZN9rocsparseL23gebsrmvn_general_kernelILj48ELj16EfEEvi20rocsparse_direction_NS_24const_host_device_scalarIT1_EEPKiS6_PKS3_iiS8_S4_PS3_21rocsparse_index_base_b
; %bb.0:
	s_clause 0x2
	s_load_b64 s[2:3], s[0:1], 0x48
	s_load_b64 s[8:9], s[0:1], 0x8
	;; [unrolled: 1-line block ×3, first 2 shown]
	s_mov_b32 s18, s15
	s_waitcnt lgkmcnt(0)
	s_bitcmp1_b32 s3, 0
	s_cselect_b32 s3, -1, 0
	s_delay_alu instid0(SALU_CYCLE_1)
	s_and_b32 vcc_lo, exec_lo, s3
	s_xor_b32 s3, s3, -1
	s_cbranch_vccnz .LBB35_2
; %bb.1:
	s_load_b32 s8, s[8:9], 0x0
.LBB35_2:
	s_and_not1_b32 vcc_lo, exec_lo, s3
	s_cbranch_vccnz .LBB35_4
; %bb.3:
	s_load_b32 s10, s[10:11], 0x0
.LBB35_4:
	s_waitcnt lgkmcnt(0)
	v_cmp_eq_f32_e64 s3, s8, 0
	v_cmp_eq_f32_e64 s4, s10, 1.0
	s_delay_alu instid0(VALU_DEP_1) | instskip(NEXT) | instid1(SALU_CYCLE_1)
	s_and_b32 s3, s3, s4
	s_and_b32 vcc_lo, exec_lo, s3
	s_cbranch_vccnz .LBB35_24
; %bb.5:
	s_load_b64 s[12:13], s[0:1], 0x28
	v_lshrrev_b32_e32 v1, 4, v0
	s_mov_b32 s3, exec_lo
	s_waitcnt lgkmcnt(0)
	s_delay_alu instid0(VALU_DEP_1)
	v_cmpx_gt_i32_e64 s12, v1
	s_cbranch_execz .LBB35_24
; %bb.6:
	s_load_b128 s[4:7], s[0:1], 0x10
	s_ashr_i32 s19, s18, 31
	v_mbcnt_lo_u32_b32 v4, -1, 0
	s_lshl_b64 s[14:15], s[18:19], 2
	s_load_b32 s19, s[0:1], 0x4
	v_cmp_eq_f32_e64 s22, s10, 0
	s_mov_b32 s3, 0
	v_xor_b32_e32 v2, 8, v4
	v_xor_b32_e32 v3, 4, v4
	;; [unrolled: 1-line block ×4, first 2 shown]
	s_mul_i32 s23, s18, s12
	v_cmp_gt_i32_e32 vcc_lo, 32, v2
	v_and_b32_e32 v0, 15, v0
	s_mul_i32 s24, s13, 3
	s_mul_i32 s25, s13, s12
	v_cndmask_b32_e32 v7, v4, v2, vcc_lo
	v_cmp_gt_i32_e32 vcc_lo, 32, v3
	s_waitcnt lgkmcnt(0)
	s_add_u32 s4, s4, s14
	s_addc_u32 s5, s5, s15
	v_cndmask_b32_e32 v8, v4, v3, vcc_lo
	s_load_b64 s[20:21], s[4:5], 0x0
	s_clause 0x2
	s_load_b64 s[4:5], s[0:1], 0x20
	s_load_b64 s[14:15], s[0:1], 0x30
	;; [unrolled: 1-line block ×3, first 2 shown]
	v_cmp_gt_i32_e32 vcc_lo, 32, v5
	v_cmp_gt_i32_e64 s0, s13, v0
	v_cmp_eq_u32_e64 s1, 15, v0
	v_cndmask_b32_e32 v9, v4, v5, vcc_lo
	v_cmp_gt_i32_e32 vcc_lo, 32, v6
	v_lshlrev_b32_e32 v5, 2, v8
	s_waitcnt lgkmcnt(0)
	s_sub_i32 s9, s20, s2
	s_sub_i32 s11, s21, s2
	v_mad_u64_u32 v[2:3], null, s12, s9, v[1:2]
	v_cndmask_b32_e32 v3, v4, v6, vcc_lo
	s_cmp_lt_i32 s20, s21
	v_lshlrev_b32_e32 v4, 2, v7
	v_lshlrev_b32_e32 v6, 2, v9
	s_cselect_b32 s20, -1, 0
	v_lshlrev_b32_e32 v7, 2, v3
	v_mul_lo_u32 v8, s13, v2
	s_cmp_lg_u32 s19, 0
	s_cselect_b32 s21, -1, 0
	s_branch .LBB35_8
.LBB35_7:                               ;   in Loop: Header=BB35_8 Depth=1
	s_or_b32 exec_lo, exec_lo, s18
	v_add_nc_u32_e32 v1, 3, v1
	v_add_nc_u32_e32 v8, s24, v8
	s_delay_alu instid0(VALU_DEP_2) | instskip(SKIP_1) | instid1(SALU_CYCLE_1)
	v_cmp_le_i32_e32 vcc_lo, s12, v1
	s_or_b32 s3, vcc_lo, s3
	s_and_not1_b32 exec_lo, exec_lo, s3
	s_cbranch_execz .LBB35_24
.LBB35_8:                               ; =>This Loop Header: Depth=1
                                        ;     Child Loop BB35_12 Depth 2
                                        ;       Child Loop BB35_15 Depth 3
	v_mov_b32_e32 v9, 0
	s_and_not1_b32 vcc_lo, exec_lo, s20
	s_cbranch_vccnz .LBB35_19
; %bb.9:                                ;   in Loop: Header=BB35_8 Depth=1
	s_delay_alu instid0(VALU_DEP_2)
	v_dual_mov_b32 v9, 0 :: v_dual_mov_b32 v10, v8
	s_mov_b32 s18, s9
	s_branch .LBB35_12
.LBB35_10:                              ;   in Loop: Header=BB35_12 Depth=2
	s_set_inst_prefetch_distance 0x2
	s_or_b32 exec_lo, exec_lo, s27
.LBB35_11:                              ;   in Loop: Header=BB35_12 Depth=2
	s_delay_alu instid0(SALU_CYCLE_1) | instskip(SKIP_2) | instid1(SALU_CYCLE_1)
	s_or_b32 exec_lo, exec_lo, s26
	v_add_nc_u32_e32 v10, s25, v10
	s_add_i32 s18, s18, 1
	s_cmp_ge_i32 s18, s11
	s_cbranch_scc1 .LBB35_19
.LBB35_12:                              ;   Parent Loop BB35_8 Depth=1
                                        ; =>  This Loop Header: Depth=2
                                        ;       Child Loop BB35_15 Depth 3
	s_and_saveexec_b32 s26, s0
	s_cbranch_execz .LBB35_11
; %bb.13:                               ;   in Loop: Header=BB35_12 Depth=2
	s_ashr_i32 s19, s18, 31
	v_mov_b32_e32 v11, v0
	s_lshl_b64 s[28:29], s[18:19], 2
	s_mov_b32 s27, 0
	s_add_u32 s28, s6, s28
	s_addc_u32 s29, s7, s29
	s_load_b32 s19, s[28:29], 0x0
	s_waitcnt lgkmcnt(0)
	s_sub_i32 s28, s19, s2
	s_mul_i32 s19, s18, s13
	s_mul_i32 s28, s28, s13
	s_set_inst_prefetch_distance 0x1
	s_branch .LBB35_15
	.p2align	6
.LBB35_14:                              ;   in Loop: Header=BB35_15 Depth=3
	v_add_nc_u32_e32 v12, s28, v11
	s_delay_alu instid0(VALU_DEP_2) | instskip(SKIP_1) | instid1(VALU_DEP_3)
	v_ashrrev_i32_e32 v3, 31, v2
	v_add_nc_u32_e32 v11, 16, v11
	v_ashrrev_i32_e32 v13, 31, v12
	s_delay_alu instid0(VALU_DEP_3) | instskip(NEXT) | instid1(VALU_DEP_2)
	v_lshlrev_b64 v[2:3], 2, v[2:3]
	v_lshlrev_b64 v[12:13], 2, v[12:13]
	s_delay_alu instid0(VALU_DEP_2) | instskip(NEXT) | instid1(VALU_DEP_3)
	v_add_co_u32 v2, vcc_lo, s4, v2
	v_add_co_ci_u32_e32 v3, vcc_lo, s5, v3, vcc_lo
	s_delay_alu instid0(VALU_DEP_3) | instskip(NEXT) | instid1(VALU_DEP_4)
	v_add_co_u32 v12, vcc_lo, s14, v12
	v_add_co_ci_u32_e32 v13, vcc_lo, s15, v13, vcc_lo
	v_cmp_le_i32_e32 vcc_lo, s13, v11
	global_load_b32 v2, v[2:3], off
	global_load_b32 v3, v[12:13], off
	s_or_b32 s27, vcc_lo, s27
	s_waitcnt vmcnt(0)
	v_fmac_f32_e32 v9, v2, v3
	s_and_not1_b32 exec_lo, exec_lo, s27
	s_cbranch_execz .LBB35_10
.LBB35_15:                              ;   Parent Loop BB35_8 Depth=1
                                        ;     Parent Loop BB35_12 Depth=2
                                        ; =>    This Inner Loop Header: Depth=3
	s_and_b32 vcc_lo, exec_lo, s21
	s_cbranch_vccz .LBB35_17
; %bb.16:                               ;   in Loop: Header=BB35_15 Depth=3
	v_add_nc_u32_e32 v12, s19, v11
	s_delay_alu instid0(VALU_DEP_1)
	v_mad_u64_u32 v[2:3], null, v12, s12, v[1:2]
	s_cbranch_execnz .LBB35_14
	s_branch .LBB35_18
	.p2align	6
.LBB35_17:                              ;   in Loop: Header=BB35_15 Depth=3
                                        ; implicit-def: $vgpr2
.LBB35_18:                              ;   in Loop: Header=BB35_15 Depth=3
	v_add_nc_u32_e32 v2, v10, v11
	s_branch .LBB35_14
.LBB35_19:                              ;   in Loop: Header=BB35_8 Depth=1
	ds_bpermute_b32 v2, v4, v9
	s_waitcnt lgkmcnt(0)
	v_add_f32_e32 v2, v9, v2
	ds_bpermute_b32 v3, v5, v2
	s_waitcnt lgkmcnt(0)
	v_add_f32_e32 v2, v2, v3
	;; [unrolled: 3-line block ×3, first 2 shown]
	ds_bpermute_b32 v3, v7, v2
	s_and_saveexec_b32 s18, s1
	s_cbranch_execz .LBB35_7
; %bb.20:                               ;   in Loop: Header=BB35_8 Depth=1
	s_waitcnt lgkmcnt(0)
	v_dual_add_f32 v3, v2, v3 :: v_dual_add_nc_u32 v2, s23, v1
	s_and_b32 vcc_lo, exec_lo, s22
	s_delay_alu instid0(VALU_DEP_1) | instskip(NEXT) | instid1(VALU_DEP_2)
	v_mul_f32_e32 v9, s8, v3
	v_ashrrev_i32_e32 v3, 31, v2
	s_cbranch_vccz .LBB35_22
; %bb.21:                               ;   in Loop: Header=BB35_8 Depth=1
	s_delay_alu instid0(VALU_DEP_1) | instskip(NEXT) | instid1(VALU_DEP_1)
	v_lshlrev_b64 v[10:11], 2, v[2:3]
	v_add_co_u32 v10, vcc_lo, s16, v10
	s_delay_alu instid0(VALU_DEP_2)
	v_add_co_ci_u32_e32 v11, vcc_lo, s17, v11, vcc_lo
	global_store_b32 v[10:11], v9, off
	s_cbranch_execnz .LBB35_7
	s_branch .LBB35_23
.LBB35_22:                              ;   in Loop: Header=BB35_8 Depth=1
.LBB35_23:                              ;   in Loop: Header=BB35_8 Depth=1
	s_delay_alu instid0(VALU_DEP_1) | instskip(NEXT) | instid1(VALU_DEP_1)
	v_lshlrev_b64 v[2:3], 2, v[2:3]
	v_add_co_u32 v2, vcc_lo, s16, v2
	s_delay_alu instid0(VALU_DEP_2)
	v_add_co_ci_u32_e32 v3, vcc_lo, s17, v3, vcc_lo
	global_load_b32 v10, v[2:3], off
	s_waitcnt vmcnt(0)
	v_fmac_f32_e32 v9, s10, v10
	global_store_b32 v[2:3], v9, off
	s_branch .LBB35_7
.LBB35_24:
	s_nop 0
	s_sendmsg sendmsg(MSG_DEALLOC_VGPRS)
	s_endpgm
	.section	.rodata,"a",@progbits
	.p2align	6, 0x0
	.amdhsa_kernel _ZN9rocsparseL23gebsrmvn_general_kernelILj48ELj16EfEEvi20rocsparse_direction_NS_24const_host_device_scalarIT1_EEPKiS6_PKS3_iiS8_S4_PS3_21rocsparse_index_base_b
		.amdhsa_group_segment_fixed_size 0
		.amdhsa_private_segment_fixed_size 0
		.amdhsa_kernarg_size 80
		.amdhsa_user_sgpr_count 15
		.amdhsa_user_sgpr_dispatch_ptr 0
		.amdhsa_user_sgpr_queue_ptr 0
		.amdhsa_user_sgpr_kernarg_segment_ptr 1
		.amdhsa_user_sgpr_dispatch_id 0
		.amdhsa_user_sgpr_private_segment_size 0
		.amdhsa_wavefront_size32 1
		.amdhsa_uses_dynamic_stack 0
		.amdhsa_enable_private_segment 0
		.amdhsa_system_sgpr_workgroup_id_x 1
		.amdhsa_system_sgpr_workgroup_id_y 0
		.amdhsa_system_sgpr_workgroup_id_z 0
		.amdhsa_system_sgpr_workgroup_info 0
		.amdhsa_system_vgpr_workitem_id 0
		.amdhsa_next_free_vgpr 14
		.amdhsa_next_free_sgpr 30
		.amdhsa_reserve_vcc 1
		.amdhsa_float_round_mode_32 0
		.amdhsa_float_round_mode_16_64 0
		.amdhsa_float_denorm_mode_32 3
		.amdhsa_float_denorm_mode_16_64 3
		.amdhsa_dx10_clamp 1
		.amdhsa_ieee_mode 1
		.amdhsa_fp16_overflow 0
		.amdhsa_workgroup_processor_mode 1
		.amdhsa_memory_ordered 1
		.amdhsa_forward_progress 0
		.amdhsa_shared_vgpr_count 0
		.amdhsa_exception_fp_ieee_invalid_op 0
		.amdhsa_exception_fp_denorm_src 0
		.amdhsa_exception_fp_ieee_div_zero 0
		.amdhsa_exception_fp_ieee_overflow 0
		.amdhsa_exception_fp_ieee_underflow 0
		.amdhsa_exception_fp_ieee_inexact 0
		.amdhsa_exception_int_div_zero 0
	.end_amdhsa_kernel
	.section	.text._ZN9rocsparseL23gebsrmvn_general_kernelILj48ELj16EfEEvi20rocsparse_direction_NS_24const_host_device_scalarIT1_EEPKiS6_PKS3_iiS8_S4_PS3_21rocsparse_index_base_b,"axG",@progbits,_ZN9rocsparseL23gebsrmvn_general_kernelILj48ELj16EfEEvi20rocsparse_direction_NS_24const_host_device_scalarIT1_EEPKiS6_PKS3_iiS8_S4_PS3_21rocsparse_index_base_b,comdat
.Lfunc_end35:
	.size	_ZN9rocsparseL23gebsrmvn_general_kernelILj48ELj16EfEEvi20rocsparse_direction_NS_24const_host_device_scalarIT1_EEPKiS6_PKS3_iiS8_S4_PS3_21rocsparse_index_base_b, .Lfunc_end35-_ZN9rocsparseL23gebsrmvn_general_kernelILj48ELj16EfEEvi20rocsparse_direction_NS_24const_host_device_scalarIT1_EEPKiS6_PKS3_iiS8_S4_PS3_21rocsparse_index_base_b
                                        ; -- End function
	.section	.AMDGPU.csdata,"",@progbits
; Kernel info:
; codeLenInByte = 912
; NumSgprs: 32
; NumVgprs: 14
; ScratchSize: 0
; MemoryBound: 0
; FloatMode: 240
; IeeeMode: 1
; LDSByteSize: 0 bytes/workgroup (compile time only)
; SGPRBlocks: 3
; VGPRBlocks: 1
; NumSGPRsForWavesPerEU: 32
; NumVGPRsForWavesPerEU: 14
; Occupancy: 16
; WaveLimiterHint : 1
; COMPUTE_PGM_RSRC2:SCRATCH_EN: 0
; COMPUTE_PGM_RSRC2:USER_SGPR: 15
; COMPUTE_PGM_RSRC2:TRAP_HANDLER: 0
; COMPUTE_PGM_RSRC2:TGID_X_EN: 1
; COMPUTE_PGM_RSRC2:TGID_Y_EN: 0
; COMPUTE_PGM_RSRC2:TGID_Z_EN: 0
; COMPUTE_PGM_RSRC2:TIDIG_COMP_CNT: 0
	.section	.text._ZN9rocsparseL23gebsrmvn_general_kernelILj96ELj32EfEEvi20rocsparse_direction_NS_24const_host_device_scalarIT1_EEPKiS6_PKS3_iiS8_S4_PS3_21rocsparse_index_base_b,"axG",@progbits,_ZN9rocsparseL23gebsrmvn_general_kernelILj96ELj32EfEEvi20rocsparse_direction_NS_24const_host_device_scalarIT1_EEPKiS6_PKS3_iiS8_S4_PS3_21rocsparse_index_base_b,comdat
	.globl	_ZN9rocsparseL23gebsrmvn_general_kernelILj96ELj32EfEEvi20rocsparse_direction_NS_24const_host_device_scalarIT1_EEPKiS6_PKS3_iiS8_S4_PS3_21rocsparse_index_base_b ; -- Begin function _ZN9rocsparseL23gebsrmvn_general_kernelILj96ELj32EfEEvi20rocsparse_direction_NS_24const_host_device_scalarIT1_EEPKiS6_PKS3_iiS8_S4_PS3_21rocsparse_index_base_b
	.p2align	8
	.type	_ZN9rocsparseL23gebsrmvn_general_kernelILj96ELj32EfEEvi20rocsparse_direction_NS_24const_host_device_scalarIT1_EEPKiS6_PKS3_iiS8_S4_PS3_21rocsparse_index_base_b,@function
_ZN9rocsparseL23gebsrmvn_general_kernelILj96ELj32EfEEvi20rocsparse_direction_NS_24const_host_device_scalarIT1_EEPKiS6_PKS3_iiS8_S4_PS3_21rocsparse_index_base_b: ; @_ZN9rocsparseL23gebsrmvn_general_kernelILj96ELj32EfEEvi20rocsparse_direction_NS_24const_host_device_scalarIT1_EEPKiS6_PKS3_iiS8_S4_PS3_21rocsparse_index_base_b
; %bb.0:
	s_clause 0x2
	s_load_b64 s[2:3], s[0:1], 0x48
	s_load_b64 s[8:9], s[0:1], 0x8
	;; [unrolled: 1-line block ×3, first 2 shown]
	s_mov_b32 s18, s15
	s_waitcnt lgkmcnt(0)
	s_bitcmp1_b32 s3, 0
	s_cselect_b32 s3, -1, 0
	s_delay_alu instid0(SALU_CYCLE_1)
	s_and_b32 vcc_lo, exec_lo, s3
	s_xor_b32 s3, s3, -1
	s_cbranch_vccnz .LBB36_2
; %bb.1:
	s_load_b32 s8, s[8:9], 0x0
.LBB36_2:
	s_and_not1_b32 vcc_lo, exec_lo, s3
	s_cbranch_vccnz .LBB36_4
; %bb.3:
	s_load_b32 s10, s[10:11], 0x0
.LBB36_4:
	s_waitcnt lgkmcnt(0)
	v_cmp_eq_f32_e64 s3, s8, 0
	v_cmp_eq_f32_e64 s4, s10, 1.0
	s_delay_alu instid0(VALU_DEP_1) | instskip(NEXT) | instid1(SALU_CYCLE_1)
	s_and_b32 s3, s3, s4
	s_and_b32 vcc_lo, exec_lo, s3
	s_cbranch_vccnz .LBB36_24
; %bb.5:
	s_load_b64 s[12:13], s[0:1], 0x28
	v_lshrrev_b32_e32 v1, 5, v0
	s_mov_b32 s3, exec_lo
	s_waitcnt lgkmcnt(0)
	s_delay_alu instid0(VALU_DEP_1)
	v_cmpx_gt_i32_e64 s12, v1
	s_cbranch_execz .LBB36_24
; %bb.6:
	s_load_b128 s[4:7], s[0:1], 0x10
	s_ashr_i32 s19, s18, 31
	v_mbcnt_lo_u32_b32 v4, -1, 0
	s_lshl_b64 s[14:15], s[18:19], 2
	s_load_b32 s19, s[0:1], 0x4
	v_cmp_eq_f32_e64 s22, s10, 0
	s_mov_b32 s3, 0
	v_xor_b32_e32 v2, 16, v4
	v_xor_b32_e32 v3, 8, v4
	;; [unrolled: 1-line block ×5, first 2 shown]
	v_cmp_gt_i32_e32 vcc_lo, 32, v2
	s_mul_i32 s23, s18, s12
	s_mul_i32 s24, s13, 3
	;; [unrolled: 1-line block ×3, first 2 shown]
	v_cndmask_b32_e32 v8, v4, v2, vcc_lo
	v_cmp_gt_i32_e32 vcc_lo, 32, v3
	v_and_b32_e32 v0, 31, v0
	s_waitcnt lgkmcnt(0)
	s_add_u32 s4, s4, s14
	s_addc_u32 s5, s5, s15
	v_cndmask_b32_e32 v9, v4, v3, vcc_lo
	s_load_b64 s[20:21], s[4:5], 0x0
	v_cmp_gt_i32_e32 vcc_lo, 32, v5
	s_clause 0x2
	s_load_b64 s[4:5], s[0:1], 0x20
	s_load_b64 s[14:15], s[0:1], 0x30
	;; [unrolled: 1-line block ×3, first 2 shown]
	v_cmp_gt_i32_e64 s0, s13, v0
	v_cmp_eq_u32_e64 s1, 31, v0
	v_cndmask_b32_e32 v10, v4, v5, vcc_lo
	v_cmp_gt_i32_e32 vcc_lo, 32, v6
	v_lshlrev_b32_e32 v5, 2, v9
	v_cndmask_b32_e32 v11, v4, v6, vcc_lo
	v_cmp_gt_i32_e32 vcc_lo, 32, v7
	s_waitcnt lgkmcnt(0)
	s_sub_i32 s9, s20, s2
	s_sub_i32 s11, s21, s2
	v_mad_u64_u32 v[2:3], null, s12, s9, v[1:2]
	v_cndmask_b32_e32 v3, v4, v7, vcc_lo
	s_cmp_lt_i32 s20, s21
	v_lshlrev_b32_e32 v4, 2, v8
	v_lshlrev_b32_e32 v7, 2, v11
	;; [unrolled: 1-line block ×4, first 2 shown]
	v_mul_lo_u32 v9, s13, v2
	s_cselect_b32 s20, -1, 0
	s_cmp_lg_u32 s19, 0
	s_cselect_b32 s21, -1, 0
	s_branch .LBB36_8
.LBB36_7:                               ;   in Loop: Header=BB36_8 Depth=1
	s_or_b32 exec_lo, exec_lo, s18
	v_add_nc_u32_e32 v1, 3, v1
	v_add_nc_u32_e32 v9, s24, v9
	s_delay_alu instid0(VALU_DEP_2) | instskip(SKIP_1) | instid1(SALU_CYCLE_1)
	v_cmp_le_i32_e32 vcc_lo, s12, v1
	s_or_b32 s3, vcc_lo, s3
	s_and_not1_b32 exec_lo, exec_lo, s3
	s_cbranch_execz .LBB36_24
.LBB36_8:                               ; =>This Loop Header: Depth=1
                                        ;     Child Loop BB36_12 Depth 2
                                        ;       Child Loop BB36_15 Depth 3
	v_mov_b32_e32 v10, 0
	s_and_not1_b32 vcc_lo, exec_lo, s20
	s_cbranch_vccnz .LBB36_19
; %bb.9:                                ;   in Loop: Header=BB36_8 Depth=1
	v_dual_mov_b32 v10, 0 :: v_dual_mov_b32 v11, v9
	s_mov_b32 s18, s9
	s_branch .LBB36_12
.LBB36_10:                              ;   in Loop: Header=BB36_12 Depth=2
	s_set_inst_prefetch_distance 0x2
	s_or_b32 exec_lo, exec_lo, s27
.LBB36_11:                              ;   in Loop: Header=BB36_12 Depth=2
	s_delay_alu instid0(SALU_CYCLE_1) | instskip(SKIP_2) | instid1(SALU_CYCLE_1)
	s_or_b32 exec_lo, exec_lo, s26
	v_add_nc_u32_e32 v11, s25, v11
	s_add_i32 s18, s18, 1
	s_cmp_ge_i32 s18, s11
	s_cbranch_scc1 .LBB36_19
.LBB36_12:                              ;   Parent Loop BB36_8 Depth=1
                                        ; =>  This Loop Header: Depth=2
                                        ;       Child Loop BB36_15 Depth 3
	s_and_saveexec_b32 s26, s0
	s_cbranch_execz .LBB36_11
; %bb.13:                               ;   in Loop: Header=BB36_12 Depth=2
	s_ashr_i32 s19, s18, 31
	v_mov_b32_e32 v12, v0
	s_lshl_b64 s[28:29], s[18:19], 2
	s_mov_b32 s27, 0
	s_add_u32 s28, s6, s28
	s_addc_u32 s29, s7, s29
	s_load_b32 s19, s[28:29], 0x0
	s_waitcnt lgkmcnt(0)
	s_sub_i32 s28, s19, s2
	s_mul_i32 s19, s18, s13
	s_mul_i32 s28, s28, s13
	s_set_inst_prefetch_distance 0x1
	s_branch .LBB36_15
	.p2align	6
.LBB36_14:                              ;   in Loop: Header=BB36_15 Depth=3
	v_add_nc_u32_e32 v13, s28, v12
	s_delay_alu instid0(VALU_DEP_2) | instskip(SKIP_1) | instid1(VALU_DEP_3)
	v_ashrrev_i32_e32 v3, 31, v2
	v_add_nc_u32_e32 v12, 32, v12
	v_ashrrev_i32_e32 v14, 31, v13
	s_delay_alu instid0(VALU_DEP_3) | instskip(NEXT) | instid1(VALU_DEP_2)
	v_lshlrev_b64 v[2:3], 2, v[2:3]
	v_lshlrev_b64 v[13:14], 2, v[13:14]
	s_delay_alu instid0(VALU_DEP_2) | instskip(NEXT) | instid1(VALU_DEP_3)
	v_add_co_u32 v2, vcc_lo, s4, v2
	v_add_co_ci_u32_e32 v3, vcc_lo, s5, v3, vcc_lo
	s_delay_alu instid0(VALU_DEP_3) | instskip(NEXT) | instid1(VALU_DEP_4)
	v_add_co_u32 v13, vcc_lo, s14, v13
	v_add_co_ci_u32_e32 v14, vcc_lo, s15, v14, vcc_lo
	v_cmp_le_i32_e32 vcc_lo, s13, v12
	global_load_b32 v2, v[2:3], off
	global_load_b32 v3, v[13:14], off
	s_or_b32 s27, vcc_lo, s27
	s_waitcnt vmcnt(0)
	v_fmac_f32_e32 v10, v2, v3
	s_and_not1_b32 exec_lo, exec_lo, s27
	s_cbranch_execz .LBB36_10
.LBB36_15:                              ;   Parent Loop BB36_8 Depth=1
                                        ;     Parent Loop BB36_12 Depth=2
                                        ; =>    This Inner Loop Header: Depth=3
	s_and_b32 vcc_lo, exec_lo, s21
	s_cbranch_vccz .LBB36_17
; %bb.16:                               ;   in Loop: Header=BB36_15 Depth=3
	v_add_nc_u32_e32 v13, s19, v12
	s_delay_alu instid0(VALU_DEP_1)
	v_mad_u64_u32 v[2:3], null, v13, s12, v[1:2]
	s_cbranch_execnz .LBB36_14
	s_branch .LBB36_18
	.p2align	6
.LBB36_17:                              ;   in Loop: Header=BB36_15 Depth=3
                                        ; implicit-def: $vgpr2
.LBB36_18:                              ;   in Loop: Header=BB36_15 Depth=3
	v_add_nc_u32_e32 v2, v11, v12
	s_branch .LBB36_14
.LBB36_19:                              ;   in Loop: Header=BB36_8 Depth=1
	ds_bpermute_b32 v2, v4, v10
	s_waitcnt lgkmcnt(0)
	v_add_f32_e32 v2, v10, v2
	ds_bpermute_b32 v3, v5, v2
	s_waitcnt lgkmcnt(0)
	v_add_f32_e32 v2, v2, v3
	;; [unrolled: 3-line block ×4, first 2 shown]
	ds_bpermute_b32 v3, v8, v2
	s_and_saveexec_b32 s18, s1
	s_cbranch_execz .LBB36_7
; %bb.20:                               ;   in Loop: Header=BB36_8 Depth=1
	s_waitcnt lgkmcnt(0)
	v_dual_add_f32 v3, v2, v3 :: v_dual_add_nc_u32 v2, s23, v1
	s_and_b32 vcc_lo, exec_lo, s22
	s_delay_alu instid0(VALU_DEP_1) | instskip(NEXT) | instid1(VALU_DEP_2)
	v_mul_f32_e32 v10, s8, v3
	v_ashrrev_i32_e32 v3, 31, v2
	s_cbranch_vccz .LBB36_22
; %bb.21:                               ;   in Loop: Header=BB36_8 Depth=1
	s_delay_alu instid0(VALU_DEP_1) | instskip(NEXT) | instid1(VALU_DEP_1)
	v_lshlrev_b64 v[11:12], 2, v[2:3]
	v_add_co_u32 v11, vcc_lo, s16, v11
	s_delay_alu instid0(VALU_DEP_2)
	v_add_co_ci_u32_e32 v12, vcc_lo, s17, v12, vcc_lo
	global_store_b32 v[11:12], v10, off
	s_cbranch_execnz .LBB36_7
	s_branch .LBB36_23
.LBB36_22:                              ;   in Loop: Header=BB36_8 Depth=1
.LBB36_23:                              ;   in Loop: Header=BB36_8 Depth=1
	s_delay_alu instid0(VALU_DEP_1) | instskip(NEXT) | instid1(VALU_DEP_1)
	v_lshlrev_b64 v[2:3], 2, v[2:3]
	v_add_co_u32 v2, vcc_lo, s16, v2
	s_delay_alu instid0(VALU_DEP_2)
	v_add_co_ci_u32_e32 v3, vcc_lo, s17, v3, vcc_lo
	global_load_b32 v11, v[2:3], off
	s_waitcnt vmcnt(0)
	v_fmac_f32_e32 v10, s10, v11
	global_store_b32 v[2:3], v10, off
	s_branch .LBB36_7
.LBB36_24:
	s_nop 0
	s_sendmsg sendmsg(MSG_DEALLOC_VGPRS)
	s_endpgm
	.section	.rodata,"a",@progbits
	.p2align	6, 0x0
	.amdhsa_kernel _ZN9rocsparseL23gebsrmvn_general_kernelILj96ELj32EfEEvi20rocsparse_direction_NS_24const_host_device_scalarIT1_EEPKiS6_PKS3_iiS8_S4_PS3_21rocsparse_index_base_b
		.amdhsa_group_segment_fixed_size 0
		.amdhsa_private_segment_fixed_size 0
		.amdhsa_kernarg_size 80
		.amdhsa_user_sgpr_count 15
		.amdhsa_user_sgpr_dispatch_ptr 0
		.amdhsa_user_sgpr_queue_ptr 0
		.amdhsa_user_sgpr_kernarg_segment_ptr 1
		.amdhsa_user_sgpr_dispatch_id 0
		.amdhsa_user_sgpr_private_segment_size 0
		.amdhsa_wavefront_size32 1
		.amdhsa_uses_dynamic_stack 0
		.amdhsa_enable_private_segment 0
		.amdhsa_system_sgpr_workgroup_id_x 1
		.amdhsa_system_sgpr_workgroup_id_y 0
		.amdhsa_system_sgpr_workgroup_id_z 0
		.amdhsa_system_sgpr_workgroup_info 0
		.amdhsa_system_vgpr_workitem_id 0
		.amdhsa_next_free_vgpr 15
		.amdhsa_next_free_sgpr 30
		.amdhsa_reserve_vcc 1
		.amdhsa_float_round_mode_32 0
		.amdhsa_float_round_mode_16_64 0
		.amdhsa_float_denorm_mode_32 3
		.amdhsa_float_denorm_mode_16_64 3
		.amdhsa_dx10_clamp 1
		.amdhsa_ieee_mode 1
		.amdhsa_fp16_overflow 0
		.amdhsa_workgroup_processor_mode 1
		.amdhsa_memory_ordered 1
		.amdhsa_forward_progress 0
		.amdhsa_shared_vgpr_count 0
		.amdhsa_exception_fp_ieee_invalid_op 0
		.amdhsa_exception_fp_denorm_src 0
		.amdhsa_exception_fp_ieee_div_zero 0
		.amdhsa_exception_fp_ieee_overflow 0
		.amdhsa_exception_fp_ieee_underflow 0
		.amdhsa_exception_fp_ieee_inexact 0
		.amdhsa_exception_int_div_zero 0
	.end_amdhsa_kernel
	.section	.text._ZN9rocsparseL23gebsrmvn_general_kernelILj96ELj32EfEEvi20rocsparse_direction_NS_24const_host_device_scalarIT1_EEPKiS6_PKS3_iiS8_S4_PS3_21rocsparse_index_base_b,"axG",@progbits,_ZN9rocsparseL23gebsrmvn_general_kernelILj96ELj32EfEEvi20rocsparse_direction_NS_24const_host_device_scalarIT1_EEPKiS6_PKS3_iiS8_S4_PS3_21rocsparse_index_base_b,comdat
.Lfunc_end36:
	.size	_ZN9rocsparseL23gebsrmvn_general_kernelILj96ELj32EfEEvi20rocsparse_direction_NS_24const_host_device_scalarIT1_EEPKiS6_PKS3_iiS8_S4_PS3_21rocsparse_index_base_b, .Lfunc_end36-_ZN9rocsparseL23gebsrmvn_general_kernelILj96ELj32EfEEvi20rocsparse_direction_NS_24const_host_device_scalarIT1_EEPKiS6_PKS3_iiS8_S4_PS3_21rocsparse_index_base_b
                                        ; -- End function
	.section	.AMDGPU.csdata,"",@progbits
; Kernel info:
; codeLenInByte = 940
; NumSgprs: 32
; NumVgprs: 15
; ScratchSize: 0
; MemoryBound: 0
; FloatMode: 240
; IeeeMode: 1
; LDSByteSize: 0 bytes/workgroup (compile time only)
; SGPRBlocks: 3
; VGPRBlocks: 1
; NumSGPRsForWavesPerEU: 32
; NumVGPRsForWavesPerEU: 15
; Occupancy: 16
; WaveLimiterHint : 1
; COMPUTE_PGM_RSRC2:SCRATCH_EN: 0
; COMPUTE_PGM_RSRC2:USER_SGPR: 15
; COMPUTE_PGM_RSRC2:TRAP_HANDLER: 0
; COMPUTE_PGM_RSRC2:TGID_X_EN: 1
; COMPUTE_PGM_RSRC2:TGID_Y_EN: 0
; COMPUTE_PGM_RSRC2:TGID_Z_EN: 0
; COMPUTE_PGM_RSRC2:TIDIG_COMP_CNT: 0
	.section	.text._ZN9rocsparseL19gebsrmvn_3xn_kernelILj128ELj1ELj4EdEEvi20rocsparse_direction_NS_24const_host_device_scalarIT2_EEPKiS6_PKS3_S8_S4_PS3_21rocsparse_index_base_b,"axG",@progbits,_ZN9rocsparseL19gebsrmvn_3xn_kernelILj128ELj1ELj4EdEEvi20rocsparse_direction_NS_24const_host_device_scalarIT2_EEPKiS6_PKS3_S8_S4_PS3_21rocsparse_index_base_b,comdat
	.globl	_ZN9rocsparseL19gebsrmvn_3xn_kernelILj128ELj1ELj4EdEEvi20rocsparse_direction_NS_24const_host_device_scalarIT2_EEPKiS6_PKS3_S8_S4_PS3_21rocsparse_index_base_b ; -- Begin function _ZN9rocsparseL19gebsrmvn_3xn_kernelILj128ELj1ELj4EdEEvi20rocsparse_direction_NS_24const_host_device_scalarIT2_EEPKiS6_PKS3_S8_S4_PS3_21rocsparse_index_base_b
	.p2align	8
	.type	_ZN9rocsparseL19gebsrmvn_3xn_kernelILj128ELj1ELj4EdEEvi20rocsparse_direction_NS_24const_host_device_scalarIT2_EEPKiS6_PKS3_S8_S4_PS3_21rocsparse_index_base_b,@function
_ZN9rocsparseL19gebsrmvn_3xn_kernelILj128ELj1ELj4EdEEvi20rocsparse_direction_NS_24const_host_device_scalarIT2_EEPKiS6_PKS3_S8_S4_PS3_21rocsparse_index_base_b: ; @_ZN9rocsparseL19gebsrmvn_3xn_kernelILj128ELj1ELj4EdEEvi20rocsparse_direction_NS_24const_host_device_scalarIT2_EEPKiS6_PKS3_S8_S4_PS3_21rocsparse_index_base_b
; %bb.0:
	s_clause 0x2
	s_load_b64 s[12:13], s[0:1], 0x40
	s_load_b64 s[4:5], s[0:1], 0x8
	;; [unrolled: 1-line block ×3, first 2 shown]
	s_waitcnt lgkmcnt(0)
	s_bitcmp1_b32 s13, 0
	v_dual_mov_b32 v1, s4 :: v_dual_mov_b32 v2, s5
	s_cselect_b32 s6, -1, 0
	s_delay_alu instid0(SALU_CYCLE_1)
	s_and_b32 vcc_lo, exec_lo, s6
	s_xor_b32 s6, s6, -1
	s_cbranch_vccnz .LBB37_2
; %bb.1:
	v_dual_mov_b32 v1, s4 :: v_dual_mov_b32 v2, s5
	flat_load_b64 v[1:2], v[1:2]
.LBB37_2:
	v_dual_mov_b32 v4, s3 :: v_dual_mov_b32 v3, s2
	s_and_not1_b32 vcc_lo, exec_lo, s6
	s_cbranch_vccnz .LBB37_4
; %bb.3:
	v_dual_mov_b32 v4, s3 :: v_dual_mov_b32 v3, s2
	flat_load_b64 v[3:4], v[3:4]
.LBB37_4:
	s_waitcnt vmcnt(0) lgkmcnt(0)
	v_cmp_neq_f64_e32 vcc_lo, 0, v[1:2]
	v_cmp_neq_f64_e64 s2, 1.0, v[3:4]
	s_delay_alu instid0(VALU_DEP_1) | instskip(NEXT) | instid1(SALU_CYCLE_1)
	s_or_b32 s2, vcc_lo, s2
	s_and_saveexec_b32 s3, s2
	s_cbranch_execz .LBB37_23
; %bb.5:
	s_load_b64 s[2:3], s[0:1], 0x0
	v_lshrrev_b32_e32 v5, 2, v0
	s_delay_alu instid0(VALU_DEP_1) | instskip(SKIP_1) | instid1(VALU_DEP_1)
	v_lshl_or_b32 v5, s15, 5, v5
	s_waitcnt lgkmcnt(0)
	v_cmp_gt_i32_e32 vcc_lo, s2, v5
	s_and_b32 exec_lo, exec_lo, vcc_lo
	s_cbranch_execz .LBB37_23
; %bb.6:
	s_load_b256 s[4:11], s[0:1], 0x10
	v_ashrrev_i32_e32 v6, 31, v5
	v_and_b32_e32 v0, 3, v0
	s_cmp_lg_u32 s3, 0
	s_delay_alu instid0(VALU_DEP_2) | instskip(SKIP_1) | instid1(VALU_DEP_1)
	v_lshlrev_b64 v[6:7], 2, v[5:6]
	s_waitcnt lgkmcnt(0)
	v_add_co_u32 v6, vcc_lo, s4, v6
	s_delay_alu instid0(VALU_DEP_2) | instskip(SKIP_4) | instid1(VALU_DEP_2)
	v_add_co_ci_u32_e32 v7, vcc_lo, s5, v7, vcc_lo
	global_load_b64 v[6:7], v[6:7], off
	s_waitcnt vmcnt(0)
	v_subrev_nc_u32_e32 v6, s12, v6
	v_subrev_nc_u32_e32 v17, s12, v7
	v_add_nc_u32_e32 v12, v6, v0
	s_delay_alu instid0(VALU_DEP_1)
	v_cmp_lt_i32_e64 s2, v12, v17
	s_cbranch_scc0 .LBB37_12
; %bb.7:
	v_mov_b32_e32 v6, 0
	v_mov_b32_e32 v7, 0
	s_delay_alu instid0(VALU_DEP_1)
	v_dual_mov_b32 v9, v7 :: v_dual_mov_b32 v8, v6
	v_dual_mov_b32 v11, v7 :: v_dual_mov_b32 v10, v6
	s_and_saveexec_b32 s3, s2
	s_cbranch_execz .LBB37_11
; %bb.8:
	v_dual_mov_b32 v6, 0 :: v_dual_mov_b32 v15, v12
	v_dual_mov_b32 v7, 0 :: v_dual_mov_b32 v14, 0
	v_lshl_add_u32 v13, v12, 1, v12
	s_mov_b32 s4, 0
	s_delay_alu instid0(VALU_DEP_2)
	v_dual_mov_b32 v9, v7 :: v_dual_mov_b32 v8, v6
	v_dual_mov_b32 v11, v7 :: v_dual_mov_b32 v10, v6
.LBB37_9:                               ; =>This Inner Loop Header: Depth=1
	v_ashrrev_i32_e32 v16, 31, v15
	v_lshlrev_b64 v[22:23], 3, v[13:14]
	v_dual_mov_b32 v21, v14 :: v_dual_add_nc_u32 v20, 2, v13
	v_mov_b32_e32 v24, v14
	s_delay_alu instid0(VALU_DEP_4) | instskip(SKIP_1) | instid1(VALU_DEP_4)
	v_lshlrev_b64 v[18:19], 2, v[15:16]
	v_add_nc_u32_e32 v15, 4, v15
	v_lshlrev_b64 v[20:21], 3, v[20:21]
	s_delay_alu instid0(VALU_DEP_3) | instskip(NEXT) | instid1(VALU_DEP_4)
	v_add_co_u32 v18, vcc_lo, s6, v18
	v_add_co_ci_u32_e32 v19, vcc_lo, s7, v19, vcc_lo
	v_add_co_u32 v22, vcc_lo, s8, v22
	v_add_co_ci_u32_e32 v23, vcc_lo, s9, v23, vcc_lo
	global_load_b32 v16, v[18:19], off
	v_dual_mov_b32 v19, v14 :: v_dual_add_nc_u32 v18, 1, v13
	global_load_b64 v[25:26], v[22:23], off
	v_add_nc_u32_e32 v13, 12, v13
	v_lshlrev_b64 v[18:19], 3, v[18:19]
	s_delay_alu instid0(VALU_DEP_1) | instskip(NEXT) | instid1(VALU_DEP_2)
	v_add_co_u32 v18, vcc_lo, s8, v18
	v_add_co_ci_u32_e32 v19, vcc_lo, s9, v19, vcc_lo
	v_add_co_u32 v20, vcc_lo, s8, v20
	v_add_co_ci_u32_e32 v21, vcc_lo, s9, v21, vcc_lo
	s_waitcnt vmcnt(1)
	v_subrev_nc_u32_e32 v23, s12, v16
	s_delay_alu instid0(VALU_DEP_1) | instskip(NEXT) | instid1(VALU_DEP_1)
	v_lshlrev_b64 v[22:23], 3, v[23:24]
	v_add_co_u32 v22, vcc_lo, s10, v22
	s_delay_alu instid0(VALU_DEP_2)
	v_add_co_ci_u32_e32 v23, vcc_lo, s11, v23, vcc_lo
	s_clause 0x1
	global_load_b64 v[18:19], v[18:19], off
	global_load_b64 v[20:21], v[20:21], off
	;; [unrolled: 1-line block ×3, first 2 shown]
	v_cmp_ge_i32_e32 vcc_lo, v15, v17
	s_or_b32 s4, vcc_lo, s4
	s_waitcnt vmcnt(0)
	v_fma_f64 v[6:7], v[25:26], v[22:23], v[6:7]
	v_fma_f64 v[10:11], v[18:19], v[22:23], v[10:11]
	;; [unrolled: 1-line block ×3, first 2 shown]
	s_and_not1_b32 exec_lo, exec_lo, s4
	s_cbranch_execnz .LBB37_9
; %bb.10:
	s_or_b32 exec_lo, exec_lo, s4
.LBB37_11:
	s_delay_alu instid0(SALU_CYCLE_1)
	s_or_b32 exec_lo, exec_lo, s3
	s_cbranch_execz .LBB37_13
	s_branch .LBB37_18
.LBB37_12:
                                        ; implicit-def: $vgpr6_vgpr7
                                        ; implicit-def: $vgpr8_vgpr9
                                        ; implicit-def: $vgpr10_vgpr11
.LBB37_13:
	v_mov_b32_e32 v6, 0
	v_mov_b32_e32 v7, 0
	s_delay_alu instid0(VALU_DEP_1)
	v_dual_mov_b32 v9, v7 :: v_dual_mov_b32 v8, v6
	v_dual_mov_b32 v11, v7 :: v_dual_mov_b32 v10, v6
	s_and_saveexec_b32 s3, s2
	s_cbranch_execz .LBB37_17
; %bb.14:
	v_dual_mov_b32 v6, 0 :: v_dual_mov_b32 v15, 0
	v_mov_b32_e32 v7, 0
	v_lshl_add_u32 v14, v12, 1, v12
	s_mov_b32 s2, 0
	s_delay_alu instid0(VALU_DEP_2)
	v_dual_mov_b32 v9, v7 :: v_dual_mov_b32 v8, v6
	v_dual_mov_b32 v11, v7 :: v_dual_mov_b32 v10, v6
.LBB37_15:                              ; =>This Inner Loop Header: Depth=1
	v_ashrrev_i32_e32 v13, 31, v12
	v_lshlrev_b64 v[22:23], 3, v[14:15]
	v_dual_mov_b32 v21, v15 :: v_dual_add_nc_u32 v20, 2, v14
	v_mov_b32_e32 v24, v15
	s_delay_alu instid0(VALU_DEP_4) | instskip(SKIP_1) | instid1(VALU_DEP_4)
	v_lshlrev_b64 v[18:19], 2, v[12:13]
	v_add_nc_u32_e32 v12, 4, v12
	v_lshlrev_b64 v[20:21], 3, v[20:21]
	s_delay_alu instid0(VALU_DEP_3) | instskip(NEXT) | instid1(VALU_DEP_4)
	v_add_co_u32 v18, vcc_lo, s6, v18
	v_add_co_ci_u32_e32 v19, vcc_lo, s7, v19, vcc_lo
	v_add_co_u32 v22, vcc_lo, s8, v22
	v_add_co_ci_u32_e32 v23, vcc_lo, s9, v23, vcc_lo
	global_load_b32 v13, v[18:19], off
	v_dual_mov_b32 v19, v15 :: v_dual_add_nc_u32 v18, 1, v14
	global_load_b64 v[25:26], v[22:23], off
	v_add_nc_u32_e32 v14, 12, v14
	v_lshlrev_b64 v[18:19], 3, v[18:19]
	s_delay_alu instid0(VALU_DEP_1) | instskip(NEXT) | instid1(VALU_DEP_2)
	v_add_co_u32 v18, vcc_lo, s8, v18
	v_add_co_ci_u32_e32 v19, vcc_lo, s9, v19, vcc_lo
	v_add_co_u32 v20, vcc_lo, s8, v20
	v_add_co_ci_u32_e32 v21, vcc_lo, s9, v21, vcc_lo
	s_waitcnt vmcnt(1)
	v_subrev_nc_u32_e32 v23, s12, v13
	s_delay_alu instid0(VALU_DEP_1) | instskip(NEXT) | instid1(VALU_DEP_1)
	v_lshlrev_b64 v[22:23], 3, v[23:24]
	v_add_co_u32 v22, vcc_lo, s10, v22
	s_delay_alu instid0(VALU_DEP_2)
	v_add_co_ci_u32_e32 v23, vcc_lo, s11, v23, vcc_lo
	s_clause 0x1
	global_load_b64 v[18:19], v[18:19], off
	global_load_b64 v[20:21], v[20:21], off
	;; [unrolled: 1-line block ×3, first 2 shown]
	v_cmp_ge_i32_e32 vcc_lo, v12, v17
	s_or_b32 s2, vcc_lo, s2
	s_waitcnt vmcnt(0)
	v_fma_f64 v[6:7], v[25:26], v[22:23], v[6:7]
	v_fma_f64 v[10:11], v[18:19], v[22:23], v[10:11]
	;; [unrolled: 1-line block ×3, first 2 shown]
	s_and_not1_b32 exec_lo, exec_lo, s2
	s_cbranch_execnz .LBB37_15
; %bb.16:
	s_or_b32 exec_lo, exec_lo, s2
.LBB37_17:
	s_delay_alu instid0(SALU_CYCLE_1)
	s_or_b32 exec_lo, exec_lo, s3
.LBB37_18:
	v_mbcnt_lo_u32_b32 v20, -1, 0
	s_delay_alu instid0(VALU_DEP_1) | instskip(NEXT) | instid1(VALU_DEP_1)
	v_xor_b32_e32 v12, 2, v20
	v_cmp_gt_i32_e32 vcc_lo, 32, v12
	v_cndmask_b32_e32 v12, v20, v12, vcc_lo
	s_delay_alu instid0(VALU_DEP_1)
	v_lshlrev_b32_e32 v14, 2, v12
	ds_bpermute_b32 v12, v14, v6
	ds_bpermute_b32 v13, v14, v7
	;; [unrolled: 1-line block ×6, first 2 shown]
	s_waitcnt lgkmcnt(4)
	v_add_f64 v[14:15], v[6:7], v[12:13]
	s_waitcnt lgkmcnt(2)
	v_add_f64 v[6:7], v[10:11], v[16:17]
	;; [unrolled: 2-line block ×3, first 2 shown]
	v_xor_b32_e32 v8, 1, v20
	s_delay_alu instid0(VALU_DEP_1) | instskip(SKIP_2) | instid1(VALU_DEP_2)
	v_cmp_gt_i32_e32 vcc_lo, 32, v8
	v_cndmask_b32_e32 v8, v20, v8, vcc_lo
	v_cmp_eq_u32_e32 vcc_lo, 3, v0
	v_lshlrev_b32_e32 v17, 2, v8
	ds_bpermute_b32 v10, v17, v14
	ds_bpermute_b32 v11, v17, v15
	;; [unrolled: 1-line block ×6, first 2 shown]
	s_and_b32 exec_lo, exec_lo, vcc_lo
	s_cbranch_execz .LBB37_23
; %bb.19:
	s_waitcnt lgkmcnt(4)
	v_add_f64 v[10:11], v[14:15], v[10:11]
	s_waitcnt lgkmcnt(2)
	v_add_f64 v[8:9], v[6:7], v[8:9]
	;; [unrolled: 2-line block ×3, first 2 shown]
	s_load_b64 s[0:1], s[0:1], 0x38
	s_mov_b32 s2, exec_lo
	v_cmpx_eq_f64_e32 0, v[3:4]
	s_xor_b32 s2, exec_lo, s2
	s_cbranch_execz .LBB37_21
; %bb.20:
	s_delay_alu instid0(VALU_DEP_4) | instskip(NEXT) | instid1(VALU_DEP_4)
	v_mul_f64 v[10:11], v[1:2], v[10:11]
	v_mul_f64 v[12:13], v[1:2], v[8:9]
	s_delay_alu instid0(VALU_DEP_4) | instskip(SKIP_1) | instid1(VALU_DEP_1)
	v_mul_f64 v[0:1], v[1:2], v[6:7]
	v_lshl_add_u32 v2, v5, 1, v5
                                        ; implicit-def: $vgpr5
                                        ; implicit-def: $vgpr8_vgpr9
                                        ; implicit-def: $vgpr6_vgpr7
	v_ashrrev_i32_e32 v3, 31, v2
	s_delay_alu instid0(VALU_DEP_1) | instskip(SKIP_1) | instid1(VALU_DEP_1)
	v_lshlrev_b64 v[2:3], 3, v[2:3]
	s_waitcnt lgkmcnt(0)
	v_add_co_u32 v2, vcc_lo, s0, v2
	s_delay_alu instid0(VALU_DEP_2)
	v_add_co_ci_u32_e32 v3, vcc_lo, s1, v3, vcc_lo
	s_clause 0x1
	global_store_b128 v[2:3], v[10:13], off
	global_store_b64 v[2:3], v[0:1], off offset:16
                                        ; implicit-def: $vgpr1_vgpr2
                                        ; implicit-def: $vgpr10_vgpr11
                                        ; implicit-def: $vgpr3_vgpr4
.LBB37_21:
	s_and_not1_saveexec_b32 s2, s2
	s_cbranch_execz .LBB37_23
; %bb.22:
	v_lshl_add_u32 v12, v5, 1, v5
	v_mul_f64 v[10:11], v[1:2], v[10:11]
	v_mul_f64 v[8:9], v[1:2], v[8:9]
	;; [unrolled: 1-line block ×3, first 2 shown]
	s_delay_alu instid0(VALU_DEP_4) | instskip(NEXT) | instid1(VALU_DEP_1)
	v_ashrrev_i32_e32 v13, 31, v12
	v_lshlrev_b64 v[12:13], 3, v[12:13]
	s_waitcnt lgkmcnt(0)
	s_delay_alu instid0(VALU_DEP_1) | instskip(NEXT) | instid1(VALU_DEP_2)
	v_add_co_u32 v16, vcc_lo, s0, v12
	v_add_co_ci_u32_e32 v17, vcc_lo, s1, v13, vcc_lo
	s_clause 0x1
	global_load_b128 v[12:15], v[16:17], off
	global_load_b64 v[18:19], v[16:17], off offset:16
	s_waitcnt vmcnt(1)
	v_fma_f64 v[5:6], v[3:4], v[12:13], v[10:11]
	v_fma_f64 v[7:8], v[3:4], v[14:15], v[8:9]
	s_waitcnt vmcnt(0)
	v_fma_f64 v[0:1], v[3:4], v[18:19], v[0:1]
	s_clause 0x1
	global_store_b128 v[16:17], v[5:8], off
	global_store_b64 v[16:17], v[0:1], off offset:16
.LBB37_23:
	s_nop 0
	s_sendmsg sendmsg(MSG_DEALLOC_VGPRS)
	s_endpgm
	.section	.rodata,"a",@progbits
	.p2align	6, 0x0
	.amdhsa_kernel _ZN9rocsparseL19gebsrmvn_3xn_kernelILj128ELj1ELj4EdEEvi20rocsparse_direction_NS_24const_host_device_scalarIT2_EEPKiS6_PKS3_S8_S4_PS3_21rocsparse_index_base_b
		.amdhsa_group_segment_fixed_size 0
		.amdhsa_private_segment_fixed_size 0
		.amdhsa_kernarg_size 72
		.amdhsa_user_sgpr_count 15
		.amdhsa_user_sgpr_dispatch_ptr 0
		.amdhsa_user_sgpr_queue_ptr 0
		.amdhsa_user_sgpr_kernarg_segment_ptr 1
		.amdhsa_user_sgpr_dispatch_id 0
		.amdhsa_user_sgpr_private_segment_size 0
		.amdhsa_wavefront_size32 1
		.amdhsa_uses_dynamic_stack 0
		.amdhsa_enable_private_segment 0
		.amdhsa_system_sgpr_workgroup_id_x 1
		.amdhsa_system_sgpr_workgroup_id_y 0
		.amdhsa_system_sgpr_workgroup_id_z 0
		.amdhsa_system_sgpr_workgroup_info 0
		.amdhsa_system_vgpr_workitem_id 0
		.amdhsa_next_free_vgpr 27
		.amdhsa_next_free_sgpr 16
		.amdhsa_reserve_vcc 1
		.amdhsa_float_round_mode_32 0
		.amdhsa_float_round_mode_16_64 0
		.amdhsa_float_denorm_mode_32 3
		.amdhsa_float_denorm_mode_16_64 3
		.amdhsa_dx10_clamp 1
		.amdhsa_ieee_mode 1
		.amdhsa_fp16_overflow 0
		.amdhsa_workgroup_processor_mode 1
		.amdhsa_memory_ordered 1
		.amdhsa_forward_progress 0
		.amdhsa_shared_vgpr_count 0
		.amdhsa_exception_fp_ieee_invalid_op 0
		.amdhsa_exception_fp_denorm_src 0
		.amdhsa_exception_fp_ieee_div_zero 0
		.amdhsa_exception_fp_ieee_overflow 0
		.amdhsa_exception_fp_ieee_underflow 0
		.amdhsa_exception_fp_ieee_inexact 0
		.amdhsa_exception_int_div_zero 0
	.end_amdhsa_kernel
	.section	.text._ZN9rocsparseL19gebsrmvn_3xn_kernelILj128ELj1ELj4EdEEvi20rocsparse_direction_NS_24const_host_device_scalarIT2_EEPKiS6_PKS3_S8_S4_PS3_21rocsparse_index_base_b,"axG",@progbits,_ZN9rocsparseL19gebsrmvn_3xn_kernelILj128ELj1ELj4EdEEvi20rocsparse_direction_NS_24const_host_device_scalarIT2_EEPKiS6_PKS3_S8_S4_PS3_21rocsparse_index_base_b,comdat
.Lfunc_end37:
	.size	_ZN9rocsparseL19gebsrmvn_3xn_kernelILj128ELj1ELj4EdEEvi20rocsparse_direction_NS_24const_host_device_scalarIT2_EEPKiS6_PKS3_S8_S4_PS3_21rocsparse_index_base_b, .Lfunc_end37-_ZN9rocsparseL19gebsrmvn_3xn_kernelILj128ELj1ELj4EdEEvi20rocsparse_direction_NS_24const_host_device_scalarIT2_EEPKiS6_PKS3_S8_S4_PS3_21rocsparse_index_base_b
                                        ; -- End function
	.section	.AMDGPU.csdata,"",@progbits
; Kernel info:
; codeLenInByte = 1480
; NumSgprs: 18
; NumVgprs: 27
; ScratchSize: 0
; MemoryBound: 0
; FloatMode: 240
; IeeeMode: 1
; LDSByteSize: 0 bytes/workgroup (compile time only)
; SGPRBlocks: 2
; VGPRBlocks: 3
; NumSGPRsForWavesPerEU: 18
; NumVGPRsForWavesPerEU: 27
; Occupancy: 16
; WaveLimiterHint : 1
; COMPUTE_PGM_RSRC2:SCRATCH_EN: 0
; COMPUTE_PGM_RSRC2:USER_SGPR: 15
; COMPUTE_PGM_RSRC2:TRAP_HANDLER: 0
; COMPUTE_PGM_RSRC2:TGID_X_EN: 1
; COMPUTE_PGM_RSRC2:TGID_Y_EN: 0
; COMPUTE_PGM_RSRC2:TGID_Z_EN: 0
; COMPUTE_PGM_RSRC2:TIDIG_COMP_CNT: 0
	.section	.text._ZN9rocsparseL19gebsrmvn_3xn_kernelILj128ELj1ELj8EdEEvi20rocsparse_direction_NS_24const_host_device_scalarIT2_EEPKiS6_PKS3_S8_S4_PS3_21rocsparse_index_base_b,"axG",@progbits,_ZN9rocsparseL19gebsrmvn_3xn_kernelILj128ELj1ELj8EdEEvi20rocsparse_direction_NS_24const_host_device_scalarIT2_EEPKiS6_PKS3_S8_S4_PS3_21rocsparse_index_base_b,comdat
	.globl	_ZN9rocsparseL19gebsrmvn_3xn_kernelILj128ELj1ELj8EdEEvi20rocsparse_direction_NS_24const_host_device_scalarIT2_EEPKiS6_PKS3_S8_S4_PS3_21rocsparse_index_base_b ; -- Begin function _ZN9rocsparseL19gebsrmvn_3xn_kernelILj128ELj1ELj8EdEEvi20rocsparse_direction_NS_24const_host_device_scalarIT2_EEPKiS6_PKS3_S8_S4_PS3_21rocsparse_index_base_b
	.p2align	8
	.type	_ZN9rocsparseL19gebsrmvn_3xn_kernelILj128ELj1ELj8EdEEvi20rocsparse_direction_NS_24const_host_device_scalarIT2_EEPKiS6_PKS3_S8_S4_PS3_21rocsparse_index_base_b,@function
_ZN9rocsparseL19gebsrmvn_3xn_kernelILj128ELj1ELj8EdEEvi20rocsparse_direction_NS_24const_host_device_scalarIT2_EEPKiS6_PKS3_S8_S4_PS3_21rocsparse_index_base_b: ; @_ZN9rocsparseL19gebsrmvn_3xn_kernelILj128ELj1ELj8EdEEvi20rocsparse_direction_NS_24const_host_device_scalarIT2_EEPKiS6_PKS3_S8_S4_PS3_21rocsparse_index_base_b
; %bb.0:
	s_clause 0x2
	s_load_b64 s[12:13], s[0:1], 0x40
	s_load_b64 s[4:5], s[0:1], 0x8
	;; [unrolled: 1-line block ×3, first 2 shown]
	s_waitcnt lgkmcnt(0)
	s_bitcmp1_b32 s13, 0
	v_dual_mov_b32 v1, s4 :: v_dual_mov_b32 v2, s5
	s_cselect_b32 s6, -1, 0
	s_delay_alu instid0(SALU_CYCLE_1)
	s_and_b32 vcc_lo, exec_lo, s6
	s_xor_b32 s6, s6, -1
	s_cbranch_vccnz .LBB38_2
; %bb.1:
	v_dual_mov_b32 v1, s4 :: v_dual_mov_b32 v2, s5
	flat_load_b64 v[1:2], v[1:2]
.LBB38_2:
	v_dual_mov_b32 v4, s3 :: v_dual_mov_b32 v3, s2
	s_and_not1_b32 vcc_lo, exec_lo, s6
	s_cbranch_vccnz .LBB38_4
; %bb.3:
	v_dual_mov_b32 v4, s3 :: v_dual_mov_b32 v3, s2
	flat_load_b64 v[3:4], v[3:4]
.LBB38_4:
	s_waitcnt vmcnt(0) lgkmcnt(0)
	v_cmp_neq_f64_e32 vcc_lo, 0, v[1:2]
	v_cmp_neq_f64_e64 s2, 1.0, v[3:4]
	s_delay_alu instid0(VALU_DEP_1) | instskip(NEXT) | instid1(SALU_CYCLE_1)
	s_or_b32 s2, vcc_lo, s2
	s_and_saveexec_b32 s3, s2
	s_cbranch_execz .LBB38_23
; %bb.5:
	s_load_b64 s[2:3], s[0:1], 0x0
	v_lshrrev_b32_e32 v5, 3, v0
	s_delay_alu instid0(VALU_DEP_1) | instskip(SKIP_1) | instid1(VALU_DEP_1)
	v_lshl_or_b32 v5, s15, 4, v5
	s_waitcnt lgkmcnt(0)
	v_cmp_gt_i32_e32 vcc_lo, s2, v5
	s_and_b32 exec_lo, exec_lo, vcc_lo
	s_cbranch_execz .LBB38_23
; %bb.6:
	s_load_b256 s[4:11], s[0:1], 0x10
	v_ashrrev_i32_e32 v6, 31, v5
	v_and_b32_e32 v0, 7, v0
	s_cmp_lg_u32 s3, 0
	s_delay_alu instid0(VALU_DEP_2) | instskip(SKIP_1) | instid1(VALU_DEP_1)
	v_lshlrev_b64 v[6:7], 2, v[5:6]
	s_waitcnt lgkmcnt(0)
	v_add_co_u32 v6, vcc_lo, s4, v6
	s_delay_alu instid0(VALU_DEP_2) | instskip(SKIP_4) | instid1(VALU_DEP_2)
	v_add_co_ci_u32_e32 v7, vcc_lo, s5, v7, vcc_lo
	global_load_b64 v[6:7], v[6:7], off
	s_waitcnt vmcnt(0)
	v_subrev_nc_u32_e32 v6, s12, v6
	v_subrev_nc_u32_e32 v17, s12, v7
	v_add_nc_u32_e32 v12, v6, v0
	s_delay_alu instid0(VALU_DEP_1)
	v_cmp_lt_i32_e64 s2, v12, v17
	s_cbranch_scc0 .LBB38_12
; %bb.7:
	v_mov_b32_e32 v6, 0
	v_mov_b32_e32 v7, 0
	s_delay_alu instid0(VALU_DEP_1)
	v_dual_mov_b32 v9, v7 :: v_dual_mov_b32 v8, v6
	v_dual_mov_b32 v11, v7 :: v_dual_mov_b32 v10, v6
	s_and_saveexec_b32 s3, s2
	s_cbranch_execz .LBB38_11
; %bb.8:
	v_dual_mov_b32 v6, 0 :: v_dual_mov_b32 v15, v12
	v_dual_mov_b32 v7, 0 :: v_dual_mov_b32 v14, 0
	v_lshl_add_u32 v13, v12, 1, v12
	s_mov_b32 s4, 0
	s_delay_alu instid0(VALU_DEP_2)
	v_dual_mov_b32 v9, v7 :: v_dual_mov_b32 v8, v6
	v_dual_mov_b32 v11, v7 :: v_dual_mov_b32 v10, v6
.LBB38_9:                               ; =>This Inner Loop Header: Depth=1
	v_ashrrev_i32_e32 v16, 31, v15
	v_lshlrev_b64 v[22:23], 3, v[13:14]
	v_dual_mov_b32 v21, v14 :: v_dual_add_nc_u32 v20, 2, v13
	v_mov_b32_e32 v24, v14
	s_delay_alu instid0(VALU_DEP_4) | instskip(SKIP_1) | instid1(VALU_DEP_4)
	v_lshlrev_b64 v[18:19], 2, v[15:16]
	v_add_nc_u32_e32 v15, 8, v15
	v_lshlrev_b64 v[20:21], 3, v[20:21]
	s_delay_alu instid0(VALU_DEP_3) | instskip(NEXT) | instid1(VALU_DEP_4)
	v_add_co_u32 v18, vcc_lo, s6, v18
	v_add_co_ci_u32_e32 v19, vcc_lo, s7, v19, vcc_lo
	v_add_co_u32 v22, vcc_lo, s8, v22
	v_add_co_ci_u32_e32 v23, vcc_lo, s9, v23, vcc_lo
	global_load_b32 v16, v[18:19], off
	v_dual_mov_b32 v19, v14 :: v_dual_add_nc_u32 v18, 1, v13
	global_load_b64 v[25:26], v[22:23], off
	v_add_nc_u32_e32 v13, 24, v13
	v_lshlrev_b64 v[18:19], 3, v[18:19]
	s_delay_alu instid0(VALU_DEP_1) | instskip(NEXT) | instid1(VALU_DEP_2)
	v_add_co_u32 v18, vcc_lo, s8, v18
	v_add_co_ci_u32_e32 v19, vcc_lo, s9, v19, vcc_lo
	v_add_co_u32 v20, vcc_lo, s8, v20
	v_add_co_ci_u32_e32 v21, vcc_lo, s9, v21, vcc_lo
	s_waitcnt vmcnt(1)
	v_subrev_nc_u32_e32 v23, s12, v16
	s_delay_alu instid0(VALU_DEP_1) | instskip(NEXT) | instid1(VALU_DEP_1)
	v_lshlrev_b64 v[22:23], 3, v[23:24]
	v_add_co_u32 v22, vcc_lo, s10, v22
	s_delay_alu instid0(VALU_DEP_2)
	v_add_co_ci_u32_e32 v23, vcc_lo, s11, v23, vcc_lo
	s_clause 0x1
	global_load_b64 v[18:19], v[18:19], off
	global_load_b64 v[20:21], v[20:21], off
	;; [unrolled: 1-line block ×3, first 2 shown]
	v_cmp_ge_i32_e32 vcc_lo, v15, v17
	s_or_b32 s4, vcc_lo, s4
	s_waitcnt vmcnt(0)
	v_fma_f64 v[6:7], v[25:26], v[22:23], v[6:7]
	v_fma_f64 v[10:11], v[18:19], v[22:23], v[10:11]
	v_fma_f64 v[8:9], v[20:21], v[22:23], v[8:9]
	s_and_not1_b32 exec_lo, exec_lo, s4
	s_cbranch_execnz .LBB38_9
; %bb.10:
	s_or_b32 exec_lo, exec_lo, s4
.LBB38_11:
	s_delay_alu instid0(SALU_CYCLE_1)
	s_or_b32 exec_lo, exec_lo, s3
	s_cbranch_execz .LBB38_13
	s_branch .LBB38_18
.LBB38_12:
                                        ; implicit-def: $vgpr6_vgpr7
                                        ; implicit-def: $vgpr8_vgpr9
                                        ; implicit-def: $vgpr10_vgpr11
.LBB38_13:
	v_mov_b32_e32 v6, 0
	v_mov_b32_e32 v7, 0
	s_delay_alu instid0(VALU_DEP_1)
	v_dual_mov_b32 v9, v7 :: v_dual_mov_b32 v8, v6
	v_dual_mov_b32 v11, v7 :: v_dual_mov_b32 v10, v6
	s_and_saveexec_b32 s3, s2
	s_cbranch_execz .LBB38_17
; %bb.14:
	v_dual_mov_b32 v6, 0 :: v_dual_mov_b32 v15, 0
	v_mov_b32_e32 v7, 0
	v_lshl_add_u32 v14, v12, 1, v12
	s_mov_b32 s2, 0
	s_delay_alu instid0(VALU_DEP_2)
	v_dual_mov_b32 v9, v7 :: v_dual_mov_b32 v8, v6
	v_dual_mov_b32 v11, v7 :: v_dual_mov_b32 v10, v6
.LBB38_15:                              ; =>This Inner Loop Header: Depth=1
	v_ashrrev_i32_e32 v13, 31, v12
	v_lshlrev_b64 v[22:23], 3, v[14:15]
	v_dual_mov_b32 v21, v15 :: v_dual_add_nc_u32 v20, 2, v14
	v_mov_b32_e32 v24, v15
	s_delay_alu instid0(VALU_DEP_4) | instskip(SKIP_1) | instid1(VALU_DEP_4)
	v_lshlrev_b64 v[18:19], 2, v[12:13]
	v_add_nc_u32_e32 v12, 8, v12
	v_lshlrev_b64 v[20:21], 3, v[20:21]
	s_delay_alu instid0(VALU_DEP_3) | instskip(NEXT) | instid1(VALU_DEP_4)
	v_add_co_u32 v18, vcc_lo, s6, v18
	v_add_co_ci_u32_e32 v19, vcc_lo, s7, v19, vcc_lo
	v_add_co_u32 v22, vcc_lo, s8, v22
	v_add_co_ci_u32_e32 v23, vcc_lo, s9, v23, vcc_lo
	global_load_b32 v13, v[18:19], off
	v_dual_mov_b32 v19, v15 :: v_dual_add_nc_u32 v18, 1, v14
	global_load_b64 v[25:26], v[22:23], off
	v_add_nc_u32_e32 v14, 24, v14
	v_lshlrev_b64 v[18:19], 3, v[18:19]
	s_delay_alu instid0(VALU_DEP_1) | instskip(NEXT) | instid1(VALU_DEP_2)
	v_add_co_u32 v18, vcc_lo, s8, v18
	v_add_co_ci_u32_e32 v19, vcc_lo, s9, v19, vcc_lo
	v_add_co_u32 v20, vcc_lo, s8, v20
	v_add_co_ci_u32_e32 v21, vcc_lo, s9, v21, vcc_lo
	s_waitcnt vmcnt(1)
	v_subrev_nc_u32_e32 v23, s12, v13
	s_delay_alu instid0(VALU_DEP_1) | instskip(NEXT) | instid1(VALU_DEP_1)
	v_lshlrev_b64 v[22:23], 3, v[23:24]
	v_add_co_u32 v22, vcc_lo, s10, v22
	s_delay_alu instid0(VALU_DEP_2)
	v_add_co_ci_u32_e32 v23, vcc_lo, s11, v23, vcc_lo
	s_clause 0x1
	global_load_b64 v[18:19], v[18:19], off
	global_load_b64 v[20:21], v[20:21], off
	;; [unrolled: 1-line block ×3, first 2 shown]
	v_cmp_ge_i32_e32 vcc_lo, v12, v17
	s_or_b32 s2, vcc_lo, s2
	s_waitcnt vmcnt(0)
	v_fma_f64 v[6:7], v[25:26], v[22:23], v[6:7]
	v_fma_f64 v[10:11], v[18:19], v[22:23], v[10:11]
	;; [unrolled: 1-line block ×3, first 2 shown]
	s_and_not1_b32 exec_lo, exec_lo, s2
	s_cbranch_execnz .LBB38_15
; %bb.16:
	s_or_b32 exec_lo, exec_lo, s2
.LBB38_17:
	s_delay_alu instid0(SALU_CYCLE_1)
	s_or_b32 exec_lo, exec_lo, s3
.LBB38_18:
	v_mbcnt_lo_u32_b32 v18, -1, 0
	s_delay_alu instid0(VALU_DEP_1) | instskip(NEXT) | instid1(VALU_DEP_1)
	v_xor_b32_e32 v12, 4, v18
	v_cmp_gt_i32_e32 vcc_lo, 32, v12
	v_cndmask_b32_e32 v12, v18, v12, vcc_lo
	s_delay_alu instid0(VALU_DEP_1)
	v_lshlrev_b32_e32 v17, 2, v12
	ds_bpermute_b32 v12, v17, v6
	ds_bpermute_b32 v13, v17, v7
	;; [unrolled: 1-line block ×6, first 2 shown]
	s_waitcnt lgkmcnt(4)
	v_add_f64 v[6:7], v[6:7], v[12:13]
	s_waitcnt lgkmcnt(2)
	v_add_f64 v[10:11], v[10:11], v[14:15]
	;; [unrolled: 2-line block ×3, first 2 shown]
	v_xor_b32_e32 v8, 2, v18
	s_delay_alu instid0(VALU_DEP_1) | instskip(SKIP_1) | instid1(VALU_DEP_1)
	v_cmp_gt_i32_e32 vcc_lo, 32, v8
	v_cndmask_b32_e32 v8, v18, v8, vcc_lo
	v_lshlrev_b32_e32 v17, 2, v8
	ds_bpermute_b32 v8, v17, v6
	ds_bpermute_b32 v9, v17, v7
	;; [unrolled: 1-line block ×6, first 2 shown]
	s_waitcnt lgkmcnt(4)
	v_add_f64 v[8:9], v[6:7], v[8:9]
	s_waitcnt lgkmcnt(2)
	v_add_f64 v[6:7], v[10:11], v[14:15]
	v_xor_b32_e32 v10, 1, v18
	s_waitcnt lgkmcnt(0)
	v_add_f64 v[12:13], v[12:13], v[16:17]
	s_delay_alu instid0(VALU_DEP_2) | instskip(SKIP_2) | instid1(VALU_DEP_2)
	v_cmp_gt_i32_e32 vcc_lo, 32, v10
	v_cndmask_b32_e32 v10, v18, v10, vcc_lo
	v_cmp_eq_u32_e32 vcc_lo, 7, v0
	v_lshlrev_b32_e32 v15, 2, v10
	ds_bpermute_b32 v10, v15, v8
	ds_bpermute_b32 v11, v15, v9
	;; [unrolled: 1-line block ×6, first 2 shown]
	s_and_b32 exec_lo, exec_lo, vcc_lo
	s_cbranch_execz .LBB38_23
; %bb.19:
	s_waitcnt lgkmcnt(4)
	v_add_f64 v[10:11], v[8:9], v[10:11]
	s_waitcnt lgkmcnt(2)
	v_add_f64 v[8:9], v[6:7], v[16:17]
	;; [unrolled: 2-line block ×3, first 2 shown]
	s_load_b64 s[0:1], s[0:1], 0x38
	s_mov_b32 s2, exec_lo
	v_cmpx_eq_f64_e32 0, v[3:4]
	s_xor_b32 s2, exec_lo, s2
	s_cbranch_execz .LBB38_21
; %bb.20:
	s_delay_alu instid0(VALU_DEP_4) | instskip(NEXT) | instid1(VALU_DEP_4)
	v_mul_f64 v[10:11], v[1:2], v[10:11]
	v_mul_f64 v[12:13], v[1:2], v[8:9]
	s_delay_alu instid0(VALU_DEP_4) | instskip(SKIP_1) | instid1(VALU_DEP_1)
	v_mul_f64 v[0:1], v[1:2], v[6:7]
	v_lshl_add_u32 v2, v5, 1, v5
                                        ; implicit-def: $vgpr5
                                        ; implicit-def: $vgpr8_vgpr9
                                        ; implicit-def: $vgpr6_vgpr7
	v_ashrrev_i32_e32 v3, 31, v2
	s_delay_alu instid0(VALU_DEP_1) | instskip(SKIP_1) | instid1(VALU_DEP_1)
	v_lshlrev_b64 v[2:3], 3, v[2:3]
	s_waitcnt lgkmcnt(0)
	v_add_co_u32 v2, vcc_lo, s0, v2
	s_delay_alu instid0(VALU_DEP_2)
	v_add_co_ci_u32_e32 v3, vcc_lo, s1, v3, vcc_lo
	s_clause 0x1
	global_store_b128 v[2:3], v[10:13], off
	global_store_b64 v[2:3], v[0:1], off offset:16
                                        ; implicit-def: $vgpr1_vgpr2
                                        ; implicit-def: $vgpr10_vgpr11
                                        ; implicit-def: $vgpr3_vgpr4
.LBB38_21:
	s_and_not1_saveexec_b32 s2, s2
	s_cbranch_execz .LBB38_23
; %bb.22:
	v_lshl_add_u32 v12, v5, 1, v5
	v_mul_f64 v[10:11], v[1:2], v[10:11]
	v_mul_f64 v[8:9], v[1:2], v[8:9]
	;; [unrolled: 1-line block ×3, first 2 shown]
	s_delay_alu instid0(VALU_DEP_4) | instskip(NEXT) | instid1(VALU_DEP_1)
	v_ashrrev_i32_e32 v13, 31, v12
	v_lshlrev_b64 v[12:13], 3, v[12:13]
	s_waitcnt lgkmcnt(0)
	s_delay_alu instid0(VALU_DEP_1) | instskip(NEXT) | instid1(VALU_DEP_2)
	v_add_co_u32 v16, vcc_lo, s0, v12
	v_add_co_ci_u32_e32 v17, vcc_lo, s1, v13, vcc_lo
	s_clause 0x1
	global_load_b128 v[12:15], v[16:17], off
	global_load_b64 v[18:19], v[16:17], off offset:16
	s_waitcnt vmcnt(1)
	v_fma_f64 v[5:6], v[3:4], v[12:13], v[10:11]
	v_fma_f64 v[7:8], v[3:4], v[14:15], v[8:9]
	s_waitcnt vmcnt(0)
	v_fma_f64 v[0:1], v[3:4], v[18:19], v[0:1]
	s_clause 0x1
	global_store_b128 v[16:17], v[5:8], off
	global_store_b64 v[16:17], v[0:1], off offset:16
.LBB38_23:
	s_nop 0
	s_sendmsg sendmsg(MSG_DEALLOC_VGPRS)
	s_endpgm
	.section	.rodata,"a",@progbits
	.p2align	6, 0x0
	.amdhsa_kernel _ZN9rocsparseL19gebsrmvn_3xn_kernelILj128ELj1ELj8EdEEvi20rocsparse_direction_NS_24const_host_device_scalarIT2_EEPKiS6_PKS3_S8_S4_PS3_21rocsparse_index_base_b
		.amdhsa_group_segment_fixed_size 0
		.amdhsa_private_segment_fixed_size 0
		.amdhsa_kernarg_size 72
		.amdhsa_user_sgpr_count 15
		.amdhsa_user_sgpr_dispatch_ptr 0
		.amdhsa_user_sgpr_queue_ptr 0
		.amdhsa_user_sgpr_kernarg_segment_ptr 1
		.amdhsa_user_sgpr_dispatch_id 0
		.amdhsa_user_sgpr_private_segment_size 0
		.amdhsa_wavefront_size32 1
		.amdhsa_uses_dynamic_stack 0
		.amdhsa_enable_private_segment 0
		.amdhsa_system_sgpr_workgroup_id_x 1
		.amdhsa_system_sgpr_workgroup_id_y 0
		.amdhsa_system_sgpr_workgroup_id_z 0
		.amdhsa_system_sgpr_workgroup_info 0
		.amdhsa_system_vgpr_workitem_id 0
		.amdhsa_next_free_vgpr 27
		.amdhsa_next_free_sgpr 16
		.amdhsa_reserve_vcc 1
		.amdhsa_float_round_mode_32 0
		.amdhsa_float_round_mode_16_64 0
		.amdhsa_float_denorm_mode_32 3
		.amdhsa_float_denorm_mode_16_64 3
		.amdhsa_dx10_clamp 1
		.amdhsa_ieee_mode 1
		.amdhsa_fp16_overflow 0
		.amdhsa_workgroup_processor_mode 1
		.amdhsa_memory_ordered 1
		.amdhsa_forward_progress 0
		.amdhsa_shared_vgpr_count 0
		.amdhsa_exception_fp_ieee_invalid_op 0
		.amdhsa_exception_fp_denorm_src 0
		.amdhsa_exception_fp_ieee_div_zero 0
		.amdhsa_exception_fp_ieee_overflow 0
		.amdhsa_exception_fp_ieee_underflow 0
		.amdhsa_exception_fp_ieee_inexact 0
		.amdhsa_exception_int_div_zero 0
	.end_amdhsa_kernel
	.section	.text._ZN9rocsparseL19gebsrmvn_3xn_kernelILj128ELj1ELj8EdEEvi20rocsparse_direction_NS_24const_host_device_scalarIT2_EEPKiS6_PKS3_S8_S4_PS3_21rocsparse_index_base_b,"axG",@progbits,_ZN9rocsparseL19gebsrmvn_3xn_kernelILj128ELj1ELj8EdEEvi20rocsparse_direction_NS_24const_host_device_scalarIT2_EEPKiS6_PKS3_S8_S4_PS3_21rocsparse_index_base_b,comdat
.Lfunc_end38:
	.size	_ZN9rocsparseL19gebsrmvn_3xn_kernelILj128ELj1ELj8EdEEvi20rocsparse_direction_NS_24const_host_device_scalarIT2_EEPKiS6_PKS3_S8_S4_PS3_21rocsparse_index_base_b, .Lfunc_end38-_ZN9rocsparseL19gebsrmvn_3xn_kernelILj128ELj1ELj8EdEEvi20rocsparse_direction_NS_24const_host_device_scalarIT2_EEPKiS6_PKS3_S8_S4_PS3_21rocsparse_index_base_b
                                        ; -- End function
	.section	.AMDGPU.csdata,"",@progbits
; Kernel info:
; codeLenInByte = 1584
; NumSgprs: 18
; NumVgprs: 27
; ScratchSize: 0
; MemoryBound: 0
; FloatMode: 240
; IeeeMode: 1
; LDSByteSize: 0 bytes/workgroup (compile time only)
; SGPRBlocks: 2
; VGPRBlocks: 3
; NumSGPRsForWavesPerEU: 18
; NumVGPRsForWavesPerEU: 27
; Occupancy: 16
; WaveLimiterHint : 1
; COMPUTE_PGM_RSRC2:SCRATCH_EN: 0
; COMPUTE_PGM_RSRC2:USER_SGPR: 15
; COMPUTE_PGM_RSRC2:TRAP_HANDLER: 0
; COMPUTE_PGM_RSRC2:TGID_X_EN: 1
; COMPUTE_PGM_RSRC2:TGID_Y_EN: 0
; COMPUTE_PGM_RSRC2:TGID_Z_EN: 0
; COMPUTE_PGM_RSRC2:TIDIG_COMP_CNT: 0
	.section	.text._ZN9rocsparseL19gebsrmvn_3xn_kernelILj128ELj1ELj16EdEEvi20rocsparse_direction_NS_24const_host_device_scalarIT2_EEPKiS6_PKS3_S8_S4_PS3_21rocsparse_index_base_b,"axG",@progbits,_ZN9rocsparseL19gebsrmvn_3xn_kernelILj128ELj1ELj16EdEEvi20rocsparse_direction_NS_24const_host_device_scalarIT2_EEPKiS6_PKS3_S8_S4_PS3_21rocsparse_index_base_b,comdat
	.globl	_ZN9rocsparseL19gebsrmvn_3xn_kernelILj128ELj1ELj16EdEEvi20rocsparse_direction_NS_24const_host_device_scalarIT2_EEPKiS6_PKS3_S8_S4_PS3_21rocsparse_index_base_b ; -- Begin function _ZN9rocsparseL19gebsrmvn_3xn_kernelILj128ELj1ELj16EdEEvi20rocsparse_direction_NS_24const_host_device_scalarIT2_EEPKiS6_PKS3_S8_S4_PS3_21rocsparse_index_base_b
	.p2align	8
	.type	_ZN9rocsparseL19gebsrmvn_3xn_kernelILj128ELj1ELj16EdEEvi20rocsparse_direction_NS_24const_host_device_scalarIT2_EEPKiS6_PKS3_S8_S4_PS3_21rocsparse_index_base_b,@function
_ZN9rocsparseL19gebsrmvn_3xn_kernelILj128ELj1ELj16EdEEvi20rocsparse_direction_NS_24const_host_device_scalarIT2_EEPKiS6_PKS3_S8_S4_PS3_21rocsparse_index_base_b: ; @_ZN9rocsparseL19gebsrmvn_3xn_kernelILj128ELj1ELj16EdEEvi20rocsparse_direction_NS_24const_host_device_scalarIT2_EEPKiS6_PKS3_S8_S4_PS3_21rocsparse_index_base_b
; %bb.0:
	s_clause 0x2
	s_load_b64 s[12:13], s[0:1], 0x40
	s_load_b64 s[4:5], s[0:1], 0x8
	;; [unrolled: 1-line block ×3, first 2 shown]
	s_waitcnt lgkmcnt(0)
	s_bitcmp1_b32 s13, 0
	v_dual_mov_b32 v1, s4 :: v_dual_mov_b32 v2, s5
	s_cselect_b32 s6, -1, 0
	s_delay_alu instid0(SALU_CYCLE_1)
	s_and_b32 vcc_lo, exec_lo, s6
	s_xor_b32 s6, s6, -1
	s_cbranch_vccnz .LBB39_2
; %bb.1:
	v_dual_mov_b32 v1, s4 :: v_dual_mov_b32 v2, s5
	flat_load_b64 v[1:2], v[1:2]
.LBB39_2:
	v_dual_mov_b32 v4, s3 :: v_dual_mov_b32 v3, s2
	s_and_not1_b32 vcc_lo, exec_lo, s6
	s_cbranch_vccnz .LBB39_4
; %bb.3:
	v_dual_mov_b32 v4, s3 :: v_dual_mov_b32 v3, s2
	flat_load_b64 v[3:4], v[3:4]
.LBB39_4:
	s_waitcnt vmcnt(0) lgkmcnt(0)
	v_cmp_neq_f64_e32 vcc_lo, 0, v[1:2]
	v_cmp_neq_f64_e64 s2, 1.0, v[3:4]
	s_delay_alu instid0(VALU_DEP_1) | instskip(NEXT) | instid1(SALU_CYCLE_1)
	s_or_b32 s2, vcc_lo, s2
	s_and_saveexec_b32 s3, s2
	s_cbranch_execz .LBB39_23
; %bb.5:
	s_load_b64 s[2:3], s[0:1], 0x0
	v_lshrrev_b32_e32 v5, 4, v0
	s_delay_alu instid0(VALU_DEP_1) | instskip(SKIP_1) | instid1(VALU_DEP_1)
	v_lshl_or_b32 v5, s15, 3, v5
	s_waitcnt lgkmcnt(0)
	v_cmp_gt_i32_e32 vcc_lo, s2, v5
	s_and_b32 exec_lo, exec_lo, vcc_lo
	s_cbranch_execz .LBB39_23
; %bb.6:
	s_load_b256 s[4:11], s[0:1], 0x10
	v_ashrrev_i32_e32 v6, 31, v5
	v_and_b32_e32 v0, 15, v0
	s_cmp_lg_u32 s3, 0
	s_delay_alu instid0(VALU_DEP_2) | instskip(SKIP_1) | instid1(VALU_DEP_1)
	v_lshlrev_b64 v[6:7], 2, v[5:6]
	s_waitcnt lgkmcnt(0)
	v_add_co_u32 v6, vcc_lo, s4, v6
	s_delay_alu instid0(VALU_DEP_2) | instskip(SKIP_4) | instid1(VALU_DEP_2)
	v_add_co_ci_u32_e32 v7, vcc_lo, s5, v7, vcc_lo
	global_load_b64 v[6:7], v[6:7], off
	s_waitcnt vmcnt(0)
	v_subrev_nc_u32_e32 v6, s12, v6
	v_subrev_nc_u32_e32 v17, s12, v7
	v_add_nc_u32_e32 v12, v6, v0
	s_delay_alu instid0(VALU_DEP_1)
	v_cmp_lt_i32_e64 s2, v12, v17
	s_cbranch_scc0 .LBB39_12
; %bb.7:
	v_mov_b32_e32 v6, 0
	v_mov_b32_e32 v7, 0
	s_delay_alu instid0(VALU_DEP_1)
	v_dual_mov_b32 v9, v7 :: v_dual_mov_b32 v8, v6
	v_dual_mov_b32 v11, v7 :: v_dual_mov_b32 v10, v6
	s_and_saveexec_b32 s3, s2
	s_cbranch_execz .LBB39_11
; %bb.8:
	v_dual_mov_b32 v6, 0 :: v_dual_mov_b32 v15, v12
	v_dual_mov_b32 v7, 0 :: v_dual_mov_b32 v14, 0
	v_lshl_add_u32 v13, v12, 1, v12
	s_mov_b32 s4, 0
	s_delay_alu instid0(VALU_DEP_2)
	v_dual_mov_b32 v9, v7 :: v_dual_mov_b32 v8, v6
	v_dual_mov_b32 v11, v7 :: v_dual_mov_b32 v10, v6
.LBB39_9:                               ; =>This Inner Loop Header: Depth=1
	v_ashrrev_i32_e32 v16, 31, v15
	v_lshlrev_b64 v[22:23], 3, v[13:14]
	v_dual_mov_b32 v21, v14 :: v_dual_add_nc_u32 v20, 2, v13
	v_mov_b32_e32 v24, v14
	s_delay_alu instid0(VALU_DEP_4) | instskip(SKIP_1) | instid1(VALU_DEP_4)
	v_lshlrev_b64 v[18:19], 2, v[15:16]
	v_add_nc_u32_e32 v15, 16, v15
	v_lshlrev_b64 v[20:21], 3, v[20:21]
	s_delay_alu instid0(VALU_DEP_3) | instskip(NEXT) | instid1(VALU_DEP_4)
	v_add_co_u32 v18, vcc_lo, s6, v18
	v_add_co_ci_u32_e32 v19, vcc_lo, s7, v19, vcc_lo
	v_add_co_u32 v22, vcc_lo, s8, v22
	v_add_co_ci_u32_e32 v23, vcc_lo, s9, v23, vcc_lo
	global_load_b32 v16, v[18:19], off
	v_dual_mov_b32 v19, v14 :: v_dual_add_nc_u32 v18, 1, v13
	global_load_b64 v[25:26], v[22:23], off
	v_add_nc_u32_e32 v13, 48, v13
	v_lshlrev_b64 v[18:19], 3, v[18:19]
	s_delay_alu instid0(VALU_DEP_1) | instskip(NEXT) | instid1(VALU_DEP_2)
	v_add_co_u32 v18, vcc_lo, s8, v18
	v_add_co_ci_u32_e32 v19, vcc_lo, s9, v19, vcc_lo
	v_add_co_u32 v20, vcc_lo, s8, v20
	v_add_co_ci_u32_e32 v21, vcc_lo, s9, v21, vcc_lo
	s_waitcnt vmcnt(1)
	v_subrev_nc_u32_e32 v23, s12, v16
	s_delay_alu instid0(VALU_DEP_1) | instskip(NEXT) | instid1(VALU_DEP_1)
	v_lshlrev_b64 v[22:23], 3, v[23:24]
	v_add_co_u32 v22, vcc_lo, s10, v22
	s_delay_alu instid0(VALU_DEP_2)
	v_add_co_ci_u32_e32 v23, vcc_lo, s11, v23, vcc_lo
	s_clause 0x1
	global_load_b64 v[18:19], v[18:19], off
	global_load_b64 v[20:21], v[20:21], off
	;; [unrolled: 1-line block ×3, first 2 shown]
	v_cmp_ge_i32_e32 vcc_lo, v15, v17
	s_or_b32 s4, vcc_lo, s4
	s_waitcnt vmcnt(0)
	v_fma_f64 v[6:7], v[25:26], v[22:23], v[6:7]
	v_fma_f64 v[10:11], v[18:19], v[22:23], v[10:11]
	;; [unrolled: 1-line block ×3, first 2 shown]
	s_and_not1_b32 exec_lo, exec_lo, s4
	s_cbranch_execnz .LBB39_9
; %bb.10:
	s_or_b32 exec_lo, exec_lo, s4
.LBB39_11:
	s_delay_alu instid0(SALU_CYCLE_1)
	s_or_b32 exec_lo, exec_lo, s3
	s_cbranch_execz .LBB39_13
	s_branch .LBB39_18
.LBB39_12:
                                        ; implicit-def: $vgpr6_vgpr7
                                        ; implicit-def: $vgpr8_vgpr9
                                        ; implicit-def: $vgpr10_vgpr11
.LBB39_13:
	v_mov_b32_e32 v6, 0
	v_mov_b32_e32 v7, 0
	s_delay_alu instid0(VALU_DEP_1)
	v_dual_mov_b32 v9, v7 :: v_dual_mov_b32 v8, v6
	v_dual_mov_b32 v11, v7 :: v_dual_mov_b32 v10, v6
	s_and_saveexec_b32 s3, s2
	s_cbranch_execz .LBB39_17
; %bb.14:
	v_dual_mov_b32 v6, 0 :: v_dual_mov_b32 v15, 0
	v_mov_b32_e32 v7, 0
	v_lshl_add_u32 v14, v12, 1, v12
	s_mov_b32 s2, 0
	s_delay_alu instid0(VALU_DEP_2)
	v_dual_mov_b32 v9, v7 :: v_dual_mov_b32 v8, v6
	v_dual_mov_b32 v11, v7 :: v_dual_mov_b32 v10, v6
.LBB39_15:                              ; =>This Inner Loop Header: Depth=1
	v_ashrrev_i32_e32 v13, 31, v12
	v_lshlrev_b64 v[22:23], 3, v[14:15]
	v_dual_mov_b32 v21, v15 :: v_dual_add_nc_u32 v20, 2, v14
	v_mov_b32_e32 v24, v15
	s_delay_alu instid0(VALU_DEP_4) | instskip(SKIP_1) | instid1(VALU_DEP_4)
	v_lshlrev_b64 v[18:19], 2, v[12:13]
	v_add_nc_u32_e32 v12, 16, v12
	v_lshlrev_b64 v[20:21], 3, v[20:21]
	s_delay_alu instid0(VALU_DEP_3) | instskip(NEXT) | instid1(VALU_DEP_4)
	v_add_co_u32 v18, vcc_lo, s6, v18
	v_add_co_ci_u32_e32 v19, vcc_lo, s7, v19, vcc_lo
	v_add_co_u32 v22, vcc_lo, s8, v22
	v_add_co_ci_u32_e32 v23, vcc_lo, s9, v23, vcc_lo
	global_load_b32 v13, v[18:19], off
	v_dual_mov_b32 v19, v15 :: v_dual_add_nc_u32 v18, 1, v14
	global_load_b64 v[25:26], v[22:23], off
	v_add_nc_u32_e32 v14, 48, v14
	v_lshlrev_b64 v[18:19], 3, v[18:19]
	s_delay_alu instid0(VALU_DEP_1) | instskip(NEXT) | instid1(VALU_DEP_2)
	v_add_co_u32 v18, vcc_lo, s8, v18
	v_add_co_ci_u32_e32 v19, vcc_lo, s9, v19, vcc_lo
	v_add_co_u32 v20, vcc_lo, s8, v20
	v_add_co_ci_u32_e32 v21, vcc_lo, s9, v21, vcc_lo
	s_waitcnt vmcnt(1)
	v_subrev_nc_u32_e32 v23, s12, v13
	s_delay_alu instid0(VALU_DEP_1) | instskip(NEXT) | instid1(VALU_DEP_1)
	v_lshlrev_b64 v[22:23], 3, v[23:24]
	v_add_co_u32 v22, vcc_lo, s10, v22
	s_delay_alu instid0(VALU_DEP_2)
	v_add_co_ci_u32_e32 v23, vcc_lo, s11, v23, vcc_lo
	s_clause 0x1
	global_load_b64 v[18:19], v[18:19], off
	global_load_b64 v[20:21], v[20:21], off
	global_load_b64 v[22:23], v[22:23], off
	v_cmp_ge_i32_e32 vcc_lo, v12, v17
	s_or_b32 s2, vcc_lo, s2
	s_waitcnt vmcnt(0)
	v_fma_f64 v[6:7], v[25:26], v[22:23], v[6:7]
	v_fma_f64 v[10:11], v[18:19], v[22:23], v[10:11]
	;; [unrolled: 1-line block ×3, first 2 shown]
	s_and_not1_b32 exec_lo, exec_lo, s2
	s_cbranch_execnz .LBB39_15
; %bb.16:
	s_or_b32 exec_lo, exec_lo, s2
.LBB39_17:
	s_delay_alu instid0(SALU_CYCLE_1)
	s_or_b32 exec_lo, exec_lo, s3
.LBB39_18:
	v_mbcnt_lo_u32_b32 v18, -1, 0
	s_delay_alu instid0(VALU_DEP_1) | instskip(NEXT) | instid1(VALU_DEP_1)
	v_xor_b32_e32 v12, 8, v18
	v_cmp_gt_i32_e32 vcc_lo, 32, v12
	v_cndmask_b32_e32 v12, v18, v12, vcc_lo
	s_delay_alu instid0(VALU_DEP_1)
	v_lshlrev_b32_e32 v17, 2, v12
	ds_bpermute_b32 v12, v17, v6
	ds_bpermute_b32 v13, v17, v7
	;; [unrolled: 1-line block ×6, first 2 shown]
	s_waitcnt lgkmcnt(4)
	v_add_f64 v[6:7], v[6:7], v[12:13]
	v_xor_b32_e32 v12, 4, v18
	s_waitcnt lgkmcnt(2)
	v_add_f64 v[10:11], v[10:11], v[14:15]
	s_waitcnt lgkmcnt(0)
	v_add_f64 v[8:9], v[8:9], v[16:17]
	v_cmp_gt_i32_e32 vcc_lo, 32, v12
	v_cndmask_b32_e32 v12, v18, v12, vcc_lo
	s_delay_alu instid0(VALU_DEP_1)
	v_lshlrev_b32_e32 v17, 2, v12
	ds_bpermute_b32 v12, v17, v6
	ds_bpermute_b32 v13, v17, v7
	;; [unrolled: 1-line block ×6, first 2 shown]
	s_waitcnt lgkmcnt(4)
	v_add_f64 v[6:7], v[6:7], v[12:13]
	s_waitcnt lgkmcnt(2)
	v_add_f64 v[10:11], v[10:11], v[14:15]
	;; [unrolled: 2-line block ×3, first 2 shown]
	v_xor_b32_e32 v8, 2, v18
	s_delay_alu instid0(VALU_DEP_1) | instskip(SKIP_1) | instid1(VALU_DEP_1)
	v_cmp_gt_i32_e32 vcc_lo, 32, v8
	v_cndmask_b32_e32 v8, v18, v8, vcc_lo
	v_lshlrev_b32_e32 v17, 2, v8
	ds_bpermute_b32 v8, v17, v6
	ds_bpermute_b32 v9, v17, v7
	;; [unrolled: 1-line block ×6, first 2 shown]
	s_waitcnt lgkmcnt(4)
	v_add_f64 v[8:9], v[6:7], v[8:9]
	s_waitcnt lgkmcnt(2)
	v_add_f64 v[6:7], v[10:11], v[14:15]
	v_xor_b32_e32 v10, 1, v18
	s_waitcnt lgkmcnt(0)
	v_add_f64 v[12:13], v[12:13], v[16:17]
	s_delay_alu instid0(VALU_DEP_2) | instskip(SKIP_2) | instid1(VALU_DEP_2)
	v_cmp_gt_i32_e32 vcc_lo, 32, v10
	v_cndmask_b32_e32 v10, v18, v10, vcc_lo
	v_cmp_eq_u32_e32 vcc_lo, 15, v0
	v_lshlrev_b32_e32 v15, 2, v10
	ds_bpermute_b32 v10, v15, v8
	ds_bpermute_b32 v11, v15, v9
	;; [unrolled: 1-line block ×6, first 2 shown]
	s_and_b32 exec_lo, exec_lo, vcc_lo
	s_cbranch_execz .LBB39_23
; %bb.19:
	s_waitcnt lgkmcnt(4)
	v_add_f64 v[10:11], v[8:9], v[10:11]
	s_waitcnt lgkmcnt(2)
	v_add_f64 v[8:9], v[6:7], v[16:17]
	;; [unrolled: 2-line block ×3, first 2 shown]
	s_load_b64 s[0:1], s[0:1], 0x38
	s_mov_b32 s2, exec_lo
	v_cmpx_eq_f64_e32 0, v[3:4]
	s_xor_b32 s2, exec_lo, s2
	s_cbranch_execz .LBB39_21
; %bb.20:
	s_delay_alu instid0(VALU_DEP_4) | instskip(NEXT) | instid1(VALU_DEP_4)
	v_mul_f64 v[10:11], v[1:2], v[10:11]
	v_mul_f64 v[12:13], v[1:2], v[8:9]
	s_delay_alu instid0(VALU_DEP_4) | instskip(SKIP_1) | instid1(VALU_DEP_1)
	v_mul_f64 v[0:1], v[1:2], v[6:7]
	v_lshl_add_u32 v2, v5, 1, v5
                                        ; implicit-def: $vgpr5
                                        ; implicit-def: $vgpr8_vgpr9
                                        ; implicit-def: $vgpr6_vgpr7
	v_ashrrev_i32_e32 v3, 31, v2
	s_delay_alu instid0(VALU_DEP_1) | instskip(SKIP_1) | instid1(VALU_DEP_1)
	v_lshlrev_b64 v[2:3], 3, v[2:3]
	s_waitcnt lgkmcnt(0)
	v_add_co_u32 v2, vcc_lo, s0, v2
	s_delay_alu instid0(VALU_DEP_2)
	v_add_co_ci_u32_e32 v3, vcc_lo, s1, v3, vcc_lo
	s_clause 0x1
	global_store_b128 v[2:3], v[10:13], off
	global_store_b64 v[2:3], v[0:1], off offset:16
                                        ; implicit-def: $vgpr1_vgpr2
                                        ; implicit-def: $vgpr10_vgpr11
                                        ; implicit-def: $vgpr3_vgpr4
.LBB39_21:
	s_and_not1_saveexec_b32 s2, s2
	s_cbranch_execz .LBB39_23
; %bb.22:
	v_lshl_add_u32 v12, v5, 1, v5
	v_mul_f64 v[10:11], v[1:2], v[10:11]
	v_mul_f64 v[8:9], v[1:2], v[8:9]
	;; [unrolled: 1-line block ×3, first 2 shown]
	s_delay_alu instid0(VALU_DEP_4) | instskip(NEXT) | instid1(VALU_DEP_1)
	v_ashrrev_i32_e32 v13, 31, v12
	v_lshlrev_b64 v[12:13], 3, v[12:13]
	s_waitcnt lgkmcnt(0)
	s_delay_alu instid0(VALU_DEP_1) | instskip(NEXT) | instid1(VALU_DEP_2)
	v_add_co_u32 v16, vcc_lo, s0, v12
	v_add_co_ci_u32_e32 v17, vcc_lo, s1, v13, vcc_lo
	s_clause 0x1
	global_load_b128 v[12:15], v[16:17], off
	global_load_b64 v[18:19], v[16:17], off offset:16
	s_waitcnt vmcnt(1)
	v_fma_f64 v[5:6], v[3:4], v[12:13], v[10:11]
	v_fma_f64 v[7:8], v[3:4], v[14:15], v[8:9]
	s_waitcnt vmcnt(0)
	v_fma_f64 v[0:1], v[3:4], v[18:19], v[0:1]
	s_clause 0x1
	global_store_b128 v[16:17], v[5:8], off
	global_store_b64 v[16:17], v[0:1], off offset:16
.LBB39_23:
	s_nop 0
	s_sendmsg sendmsg(MSG_DEALLOC_VGPRS)
	s_endpgm
	.section	.rodata,"a",@progbits
	.p2align	6, 0x0
	.amdhsa_kernel _ZN9rocsparseL19gebsrmvn_3xn_kernelILj128ELj1ELj16EdEEvi20rocsparse_direction_NS_24const_host_device_scalarIT2_EEPKiS6_PKS3_S8_S4_PS3_21rocsparse_index_base_b
		.amdhsa_group_segment_fixed_size 0
		.amdhsa_private_segment_fixed_size 0
		.amdhsa_kernarg_size 72
		.amdhsa_user_sgpr_count 15
		.amdhsa_user_sgpr_dispatch_ptr 0
		.amdhsa_user_sgpr_queue_ptr 0
		.amdhsa_user_sgpr_kernarg_segment_ptr 1
		.amdhsa_user_sgpr_dispatch_id 0
		.amdhsa_user_sgpr_private_segment_size 0
		.amdhsa_wavefront_size32 1
		.amdhsa_uses_dynamic_stack 0
		.amdhsa_enable_private_segment 0
		.amdhsa_system_sgpr_workgroup_id_x 1
		.amdhsa_system_sgpr_workgroup_id_y 0
		.amdhsa_system_sgpr_workgroup_id_z 0
		.amdhsa_system_sgpr_workgroup_info 0
		.amdhsa_system_vgpr_workitem_id 0
		.amdhsa_next_free_vgpr 27
		.amdhsa_next_free_sgpr 16
		.amdhsa_reserve_vcc 1
		.amdhsa_float_round_mode_32 0
		.amdhsa_float_round_mode_16_64 0
		.amdhsa_float_denorm_mode_32 3
		.amdhsa_float_denorm_mode_16_64 3
		.amdhsa_dx10_clamp 1
		.amdhsa_ieee_mode 1
		.amdhsa_fp16_overflow 0
		.amdhsa_workgroup_processor_mode 1
		.amdhsa_memory_ordered 1
		.amdhsa_forward_progress 0
		.amdhsa_shared_vgpr_count 0
		.amdhsa_exception_fp_ieee_invalid_op 0
		.amdhsa_exception_fp_denorm_src 0
		.amdhsa_exception_fp_ieee_div_zero 0
		.amdhsa_exception_fp_ieee_overflow 0
		.amdhsa_exception_fp_ieee_underflow 0
		.amdhsa_exception_fp_ieee_inexact 0
		.amdhsa_exception_int_div_zero 0
	.end_amdhsa_kernel
	.section	.text._ZN9rocsparseL19gebsrmvn_3xn_kernelILj128ELj1ELj16EdEEvi20rocsparse_direction_NS_24const_host_device_scalarIT2_EEPKiS6_PKS3_S8_S4_PS3_21rocsparse_index_base_b,"axG",@progbits,_ZN9rocsparseL19gebsrmvn_3xn_kernelILj128ELj1ELj16EdEEvi20rocsparse_direction_NS_24const_host_device_scalarIT2_EEPKiS6_PKS3_S8_S4_PS3_21rocsparse_index_base_b,comdat
.Lfunc_end39:
	.size	_ZN9rocsparseL19gebsrmvn_3xn_kernelILj128ELj1ELj16EdEEvi20rocsparse_direction_NS_24const_host_device_scalarIT2_EEPKiS6_PKS3_S8_S4_PS3_21rocsparse_index_base_b, .Lfunc_end39-_ZN9rocsparseL19gebsrmvn_3xn_kernelILj128ELj1ELj16EdEEvi20rocsparse_direction_NS_24const_host_device_scalarIT2_EEPKiS6_PKS3_S8_S4_PS3_21rocsparse_index_base_b
                                        ; -- End function
	.section	.AMDGPU.csdata,"",@progbits
; Kernel info:
; codeLenInByte = 1688
; NumSgprs: 18
; NumVgprs: 27
; ScratchSize: 0
; MemoryBound: 0
; FloatMode: 240
; IeeeMode: 1
; LDSByteSize: 0 bytes/workgroup (compile time only)
; SGPRBlocks: 2
; VGPRBlocks: 3
; NumSGPRsForWavesPerEU: 18
; NumVGPRsForWavesPerEU: 27
; Occupancy: 16
; WaveLimiterHint : 1
; COMPUTE_PGM_RSRC2:SCRATCH_EN: 0
; COMPUTE_PGM_RSRC2:USER_SGPR: 15
; COMPUTE_PGM_RSRC2:TRAP_HANDLER: 0
; COMPUTE_PGM_RSRC2:TGID_X_EN: 1
; COMPUTE_PGM_RSRC2:TGID_Y_EN: 0
; COMPUTE_PGM_RSRC2:TGID_Z_EN: 0
; COMPUTE_PGM_RSRC2:TIDIG_COMP_CNT: 0
	.section	.text._ZN9rocsparseL19gebsrmvn_3xn_kernelILj128ELj1ELj32EdEEvi20rocsparse_direction_NS_24const_host_device_scalarIT2_EEPKiS6_PKS3_S8_S4_PS3_21rocsparse_index_base_b,"axG",@progbits,_ZN9rocsparseL19gebsrmvn_3xn_kernelILj128ELj1ELj32EdEEvi20rocsparse_direction_NS_24const_host_device_scalarIT2_EEPKiS6_PKS3_S8_S4_PS3_21rocsparse_index_base_b,comdat
	.globl	_ZN9rocsparseL19gebsrmvn_3xn_kernelILj128ELj1ELj32EdEEvi20rocsparse_direction_NS_24const_host_device_scalarIT2_EEPKiS6_PKS3_S8_S4_PS3_21rocsparse_index_base_b ; -- Begin function _ZN9rocsparseL19gebsrmvn_3xn_kernelILj128ELj1ELj32EdEEvi20rocsparse_direction_NS_24const_host_device_scalarIT2_EEPKiS6_PKS3_S8_S4_PS3_21rocsparse_index_base_b
	.p2align	8
	.type	_ZN9rocsparseL19gebsrmvn_3xn_kernelILj128ELj1ELj32EdEEvi20rocsparse_direction_NS_24const_host_device_scalarIT2_EEPKiS6_PKS3_S8_S4_PS3_21rocsparse_index_base_b,@function
_ZN9rocsparseL19gebsrmvn_3xn_kernelILj128ELj1ELj32EdEEvi20rocsparse_direction_NS_24const_host_device_scalarIT2_EEPKiS6_PKS3_S8_S4_PS3_21rocsparse_index_base_b: ; @_ZN9rocsparseL19gebsrmvn_3xn_kernelILj128ELj1ELj32EdEEvi20rocsparse_direction_NS_24const_host_device_scalarIT2_EEPKiS6_PKS3_S8_S4_PS3_21rocsparse_index_base_b
; %bb.0:
	s_clause 0x2
	s_load_b64 s[12:13], s[0:1], 0x40
	s_load_b64 s[4:5], s[0:1], 0x8
	s_load_b64 s[2:3], s[0:1], 0x30
	s_waitcnt lgkmcnt(0)
	s_bitcmp1_b32 s13, 0
	v_dual_mov_b32 v1, s4 :: v_dual_mov_b32 v2, s5
	s_cselect_b32 s6, -1, 0
	s_delay_alu instid0(SALU_CYCLE_1)
	s_and_b32 vcc_lo, exec_lo, s6
	s_xor_b32 s6, s6, -1
	s_cbranch_vccnz .LBB40_2
; %bb.1:
	v_dual_mov_b32 v1, s4 :: v_dual_mov_b32 v2, s5
	flat_load_b64 v[1:2], v[1:2]
.LBB40_2:
	v_dual_mov_b32 v4, s3 :: v_dual_mov_b32 v3, s2
	s_and_not1_b32 vcc_lo, exec_lo, s6
	s_cbranch_vccnz .LBB40_4
; %bb.3:
	v_dual_mov_b32 v4, s3 :: v_dual_mov_b32 v3, s2
	flat_load_b64 v[3:4], v[3:4]
.LBB40_4:
	s_waitcnt vmcnt(0) lgkmcnt(0)
	v_cmp_neq_f64_e32 vcc_lo, 0, v[1:2]
	v_cmp_neq_f64_e64 s2, 1.0, v[3:4]
	s_delay_alu instid0(VALU_DEP_1) | instskip(NEXT) | instid1(SALU_CYCLE_1)
	s_or_b32 s2, vcc_lo, s2
	s_and_saveexec_b32 s3, s2
	s_cbranch_execz .LBB40_23
; %bb.5:
	s_load_b64 s[2:3], s[0:1], 0x0
	v_lshrrev_b32_e32 v5, 5, v0
	s_delay_alu instid0(VALU_DEP_1) | instskip(SKIP_1) | instid1(VALU_DEP_1)
	v_lshl_or_b32 v5, s15, 2, v5
	s_waitcnt lgkmcnt(0)
	v_cmp_gt_i32_e32 vcc_lo, s2, v5
	s_and_b32 exec_lo, exec_lo, vcc_lo
	s_cbranch_execz .LBB40_23
; %bb.6:
	s_load_b256 s[4:11], s[0:1], 0x10
	v_ashrrev_i32_e32 v6, 31, v5
	v_and_b32_e32 v0, 31, v0
	s_cmp_lg_u32 s3, 0
	s_delay_alu instid0(VALU_DEP_2) | instskip(SKIP_1) | instid1(VALU_DEP_1)
	v_lshlrev_b64 v[6:7], 2, v[5:6]
	s_waitcnt lgkmcnt(0)
	v_add_co_u32 v6, vcc_lo, s4, v6
	s_delay_alu instid0(VALU_DEP_2) | instskip(SKIP_4) | instid1(VALU_DEP_2)
	v_add_co_ci_u32_e32 v7, vcc_lo, s5, v7, vcc_lo
	global_load_b64 v[6:7], v[6:7], off
	s_waitcnt vmcnt(0)
	v_subrev_nc_u32_e32 v6, s12, v6
	v_subrev_nc_u32_e32 v17, s12, v7
	v_add_nc_u32_e32 v12, v6, v0
	s_delay_alu instid0(VALU_DEP_1)
	v_cmp_lt_i32_e64 s2, v12, v17
	s_cbranch_scc0 .LBB40_12
; %bb.7:
	v_mov_b32_e32 v6, 0
	v_mov_b32_e32 v7, 0
	s_delay_alu instid0(VALU_DEP_1)
	v_dual_mov_b32 v9, v7 :: v_dual_mov_b32 v8, v6
	v_dual_mov_b32 v11, v7 :: v_dual_mov_b32 v10, v6
	s_and_saveexec_b32 s3, s2
	s_cbranch_execz .LBB40_11
; %bb.8:
	v_dual_mov_b32 v6, 0 :: v_dual_mov_b32 v15, v12
	v_dual_mov_b32 v7, 0 :: v_dual_mov_b32 v14, 0
	v_lshl_add_u32 v13, v12, 1, v12
	s_mov_b32 s4, 0
	s_delay_alu instid0(VALU_DEP_2)
	v_dual_mov_b32 v9, v7 :: v_dual_mov_b32 v8, v6
	v_dual_mov_b32 v11, v7 :: v_dual_mov_b32 v10, v6
.LBB40_9:                               ; =>This Inner Loop Header: Depth=1
	v_ashrrev_i32_e32 v16, 31, v15
	v_lshlrev_b64 v[22:23], 3, v[13:14]
	v_dual_mov_b32 v21, v14 :: v_dual_add_nc_u32 v20, 2, v13
	v_mov_b32_e32 v24, v14
	s_delay_alu instid0(VALU_DEP_4) | instskip(SKIP_1) | instid1(VALU_DEP_4)
	v_lshlrev_b64 v[18:19], 2, v[15:16]
	v_add_nc_u32_e32 v15, 32, v15
	v_lshlrev_b64 v[20:21], 3, v[20:21]
	s_delay_alu instid0(VALU_DEP_3) | instskip(NEXT) | instid1(VALU_DEP_4)
	v_add_co_u32 v18, vcc_lo, s6, v18
	v_add_co_ci_u32_e32 v19, vcc_lo, s7, v19, vcc_lo
	v_add_co_u32 v22, vcc_lo, s8, v22
	v_add_co_ci_u32_e32 v23, vcc_lo, s9, v23, vcc_lo
	global_load_b32 v16, v[18:19], off
	v_dual_mov_b32 v19, v14 :: v_dual_add_nc_u32 v18, 1, v13
	global_load_b64 v[25:26], v[22:23], off
	v_add_nc_u32_e32 v13, 0x60, v13
	v_lshlrev_b64 v[18:19], 3, v[18:19]
	s_delay_alu instid0(VALU_DEP_1) | instskip(NEXT) | instid1(VALU_DEP_2)
	v_add_co_u32 v18, vcc_lo, s8, v18
	v_add_co_ci_u32_e32 v19, vcc_lo, s9, v19, vcc_lo
	v_add_co_u32 v20, vcc_lo, s8, v20
	v_add_co_ci_u32_e32 v21, vcc_lo, s9, v21, vcc_lo
	s_waitcnt vmcnt(1)
	v_subrev_nc_u32_e32 v23, s12, v16
	s_delay_alu instid0(VALU_DEP_1) | instskip(NEXT) | instid1(VALU_DEP_1)
	v_lshlrev_b64 v[22:23], 3, v[23:24]
	v_add_co_u32 v22, vcc_lo, s10, v22
	s_delay_alu instid0(VALU_DEP_2)
	v_add_co_ci_u32_e32 v23, vcc_lo, s11, v23, vcc_lo
	s_clause 0x1
	global_load_b64 v[18:19], v[18:19], off
	global_load_b64 v[20:21], v[20:21], off
	global_load_b64 v[22:23], v[22:23], off
	v_cmp_ge_i32_e32 vcc_lo, v15, v17
	s_or_b32 s4, vcc_lo, s4
	s_waitcnt vmcnt(0)
	v_fma_f64 v[6:7], v[25:26], v[22:23], v[6:7]
	v_fma_f64 v[10:11], v[18:19], v[22:23], v[10:11]
	;; [unrolled: 1-line block ×3, first 2 shown]
	s_and_not1_b32 exec_lo, exec_lo, s4
	s_cbranch_execnz .LBB40_9
; %bb.10:
	s_or_b32 exec_lo, exec_lo, s4
.LBB40_11:
	s_delay_alu instid0(SALU_CYCLE_1)
	s_or_b32 exec_lo, exec_lo, s3
	s_cbranch_execz .LBB40_13
	s_branch .LBB40_18
.LBB40_12:
                                        ; implicit-def: $vgpr6_vgpr7
                                        ; implicit-def: $vgpr8_vgpr9
                                        ; implicit-def: $vgpr10_vgpr11
.LBB40_13:
	v_mov_b32_e32 v6, 0
	v_mov_b32_e32 v7, 0
	s_delay_alu instid0(VALU_DEP_1)
	v_dual_mov_b32 v9, v7 :: v_dual_mov_b32 v8, v6
	v_dual_mov_b32 v11, v7 :: v_dual_mov_b32 v10, v6
	s_and_saveexec_b32 s3, s2
	s_cbranch_execz .LBB40_17
; %bb.14:
	v_dual_mov_b32 v6, 0 :: v_dual_mov_b32 v15, 0
	v_mov_b32_e32 v7, 0
	v_lshl_add_u32 v14, v12, 1, v12
	s_mov_b32 s2, 0
	s_delay_alu instid0(VALU_DEP_2)
	v_dual_mov_b32 v9, v7 :: v_dual_mov_b32 v8, v6
	v_dual_mov_b32 v11, v7 :: v_dual_mov_b32 v10, v6
.LBB40_15:                              ; =>This Inner Loop Header: Depth=1
	v_ashrrev_i32_e32 v13, 31, v12
	v_lshlrev_b64 v[22:23], 3, v[14:15]
	v_dual_mov_b32 v21, v15 :: v_dual_add_nc_u32 v20, 2, v14
	v_mov_b32_e32 v24, v15
	s_delay_alu instid0(VALU_DEP_4) | instskip(SKIP_1) | instid1(VALU_DEP_4)
	v_lshlrev_b64 v[18:19], 2, v[12:13]
	v_add_nc_u32_e32 v12, 32, v12
	v_lshlrev_b64 v[20:21], 3, v[20:21]
	s_delay_alu instid0(VALU_DEP_3) | instskip(NEXT) | instid1(VALU_DEP_4)
	v_add_co_u32 v18, vcc_lo, s6, v18
	v_add_co_ci_u32_e32 v19, vcc_lo, s7, v19, vcc_lo
	v_add_co_u32 v22, vcc_lo, s8, v22
	v_add_co_ci_u32_e32 v23, vcc_lo, s9, v23, vcc_lo
	global_load_b32 v13, v[18:19], off
	v_dual_mov_b32 v19, v15 :: v_dual_add_nc_u32 v18, 1, v14
	global_load_b64 v[25:26], v[22:23], off
	v_add_nc_u32_e32 v14, 0x60, v14
	v_lshlrev_b64 v[18:19], 3, v[18:19]
	s_delay_alu instid0(VALU_DEP_1) | instskip(NEXT) | instid1(VALU_DEP_2)
	v_add_co_u32 v18, vcc_lo, s8, v18
	v_add_co_ci_u32_e32 v19, vcc_lo, s9, v19, vcc_lo
	v_add_co_u32 v20, vcc_lo, s8, v20
	v_add_co_ci_u32_e32 v21, vcc_lo, s9, v21, vcc_lo
	s_waitcnt vmcnt(1)
	v_subrev_nc_u32_e32 v23, s12, v13
	s_delay_alu instid0(VALU_DEP_1) | instskip(NEXT) | instid1(VALU_DEP_1)
	v_lshlrev_b64 v[22:23], 3, v[23:24]
	v_add_co_u32 v22, vcc_lo, s10, v22
	s_delay_alu instid0(VALU_DEP_2)
	v_add_co_ci_u32_e32 v23, vcc_lo, s11, v23, vcc_lo
	s_clause 0x1
	global_load_b64 v[18:19], v[18:19], off
	global_load_b64 v[20:21], v[20:21], off
	;; [unrolled: 1-line block ×3, first 2 shown]
	v_cmp_ge_i32_e32 vcc_lo, v12, v17
	s_or_b32 s2, vcc_lo, s2
	s_waitcnt vmcnt(0)
	v_fma_f64 v[6:7], v[25:26], v[22:23], v[6:7]
	v_fma_f64 v[10:11], v[18:19], v[22:23], v[10:11]
	;; [unrolled: 1-line block ×3, first 2 shown]
	s_and_not1_b32 exec_lo, exec_lo, s2
	s_cbranch_execnz .LBB40_15
; %bb.16:
	s_or_b32 exec_lo, exec_lo, s2
.LBB40_17:
	s_delay_alu instid0(SALU_CYCLE_1)
	s_or_b32 exec_lo, exec_lo, s3
.LBB40_18:
	v_mbcnt_lo_u32_b32 v18, -1, 0
	s_delay_alu instid0(VALU_DEP_1) | instskip(NEXT) | instid1(VALU_DEP_1)
	v_xor_b32_e32 v12, 16, v18
	v_cmp_gt_i32_e32 vcc_lo, 32, v12
	v_cndmask_b32_e32 v12, v18, v12, vcc_lo
	s_delay_alu instid0(VALU_DEP_1)
	v_lshlrev_b32_e32 v17, 2, v12
	ds_bpermute_b32 v12, v17, v6
	ds_bpermute_b32 v13, v17, v7
	;; [unrolled: 1-line block ×6, first 2 shown]
	s_waitcnt lgkmcnt(4)
	v_add_f64 v[6:7], v[6:7], v[12:13]
	v_xor_b32_e32 v12, 8, v18
	s_waitcnt lgkmcnt(2)
	v_add_f64 v[10:11], v[10:11], v[14:15]
	s_waitcnt lgkmcnt(0)
	v_add_f64 v[8:9], v[8:9], v[16:17]
	v_cmp_gt_i32_e32 vcc_lo, 32, v12
	v_cndmask_b32_e32 v12, v18, v12, vcc_lo
	s_delay_alu instid0(VALU_DEP_1)
	v_lshlrev_b32_e32 v17, 2, v12
	ds_bpermute_b32 v12, v17, v6
	ds_bpermute_b32 v13, v17, v7
	;; [unrolled: 1-line block ×6, first 2 shown]
	s_waitcnt lgkmcnt(4)
	v_add_f64 v[6:7], v[6:7], v[12:13]
	v_xor_b32_e32 v12, 4, v18
	s_waitcnt lgkmcnt(2)
	v_add_f64 v[10:11], v[10:11], v[14:15]
	s_waitcnt lgkmcnt(0)
	v_add_f64 v[8:9], v[8:9], v[16:17]
	v_cmp_gt_i32_e32 vcc_lo, 32, v12
	v_cndmask_b32_e32 v12, v18, v12, vcc_lo
	s_delay_alu instid0(VALU_DEP_1)
	v_lshlrev_b32_e32 v17, 2, v12
	ds_bpermute_b32 v12, v17, v6
	ds_bpermute_b32 v13, v17, v7
	;; [unrolled: 1-line block ×6, first 2 shown]
	s_waitcnt lgkmcnt(4)
	v_add_f64 v[6:7], v[6:7], v[12:13]
	s_waitcnt lgkmcnt(2)
	v_add_f64 v[10:11], v[10:11], v[14:15]
	;; [unrolled: 2-line block ×3, first 2 shown]
	v_xor_b32_e32 v8, 2, v18
	s_delay_alu instid0(VALU_DEP_1) | instskip(SKIP_1) | instid1(VALU_DEP_1)
	v_cmp_gt_i32_e32 vcc_lo, 32, v8
	v_cndmask_b32_e32 v8, v18, v8, vcc_lo
	v_lshlrev_b32_e32 v17, 2, v8
	ds_bpermute_b32 v8, v17, v6
	ds_bpermute_b32 v9, v17, v7
	;; [unrolled: 1-line block ×6, first 2 shown]
	s_waitcnt lgkmcnt(4)
	v_add_f64 v[8:9], v[6:7], v[8:9]
	s_waitcnt lgkmcnt(2)
	v_add_f64 v[6:7], v[10:11], v[14:15]
	v_xor_b32_e32 v10, 1, v18
	s_waitcnt lgkmcnt(0)
	v_add_f64 v[12:13], v[12:13], v[16:17]
	s_delay_alu instid0(VALU_DEP_2) | instskip(SKIP_2) | instid1(VALU_DEP_2)
	v_cmp_gt_i32_e32 vcc_lo, 32, v10
	v_cndmask_b32_e32 v10, v18, v10, vcc_lo
	v_cmp_eq_u32_e32 vcc_lo, 31, v0
	v_lshlrev_b32_e32 v15, 2, v10
	ds_bpermute_b32 v10, v15, v8
	ds_bpermute_b32 v11, v15, v9
	;; [unrolled: 1-line block ×6, first 2 shown]
	s_and_b32 exec_lo, exec_lo, vcc_lo
	s_cbranch_execz .LBB40_23
; %bb.19:
	s_waitcnt lgkmcnt(4)
	v_add_f64 v[10:11], v[8:9], v[10:11]
	s_waitcnt lgkmcnt(2)
	v_add_f64 v[8:9], v[6:7], v[16:17]
	;; [unrolled: 2-line block ×3, first 2 shown]
	s_load_b64 s[0:1], s[0:1], 0x38
	s_mov_b32 s2, exec_lo
	v_cmpx_eq_f64_e32 0, v[3:4]
	s_xor_b32 s2, exec_lo, s2
	s_cbranch_execz .LBB40_21
; %bb.20:
	s_delay_alu instid0(VALU_DEP_4) | instskip(NEXT) | instid1(VALU_DEP_4)
	v_mul_f64 v[10:11], v[1:2], v[10:11]
	v_mul_f64 v[12:13], v[1:2], v[8:9]
	s_delay_alu instid0(VALU_DEP_4) | instskip(SKIP_1) | instid1(VALU_DEP_1)
	v_mul_f64 v[0:1], v[1:2], v[6:7]
	v_lshl_add_u32 v2, v5, 1, v5
                                        ; implicit-def: $vgpr5
                                        ; implicit-def: $vgpr8_vgpr9
                                        ; implicit-def: $vgpr6_vgpr7
	v_ashrrev_i32_e32 v3, 31, v2
	s_delay_alu instid0(VALU_DEP_1) | instskip(SKIP_1) | instid1(VALU_DEP_1)
	v_lshlrev_b64 v[2:3], 3, v[2:3]
	s_waitcnt lgkmcnt(0)
	v_add_co_u32 v2, vcc_lo, s0, v2
	s_delay_alu instid0(VALU_DEP_2)
	v_add_co_ci_u32_e32 v3, vcc_lo, s1, v3, vcc_lo
	s_clause 0x1
	global_store_b128 v[2:3], v[10:13], off
	global_store_b64 v[2:3], v[0:1], off offset:16
                                        ; implicit-def: $vgpr1_vgpr2
                                        ; implicit-def: $vgpr10_vgpr11
                                        ; implicit-def: $vgpr3_vgpr4
.LBB40_21:
	s_and_not1_saveexec_b32 s2, s2
	s_cbranch_execz .LBB40_23
; %bb.22:
	v_lshl_add_u32 v12, v5, 1, v5
	v_mul_f64 v[10:11], v[1:2], v[10:11]
	v_mul_f64 v[8:9], v[1:2], v[8:9]
	;; [unrolled: 1-line block ×3, first 2 shown]
	s_delay_alu instid0(VALU_DEP_4) | instskip(NEXT) | instid1(VALU_DEP_1)
	v_ashrrev_i32_e32 v13, 31, v12
	v_lshlrev_b64 v[12:13], 3, v[12:13]
	s_waitcnt lgkmcnt(0)
	s_delay_alu instid0(VALU_DEP_1) | instskip(NEXT) | instid1(VALU_DEP_2)
	v_add_co_u32 v16, vcc_lo, s0, v12
	v_add_co_ci_u32_e32 v17, vcc_lo, s1, v13, vcc_lo
	s_clause 0x1
	global_load_b128 v[12:15], v[16:17], off
	global_load_b64 v[18:19], v[16:17], off offset:16
	s_waitcnt vmcnt(1)
	v_fma_f64 v[5:6], v[3:4], v[12:13], v[10:11]
	v_fma_f64 v[7:8], v[3:4], v[14:15], v[8:9]
	s_waitcnt vmcnt(0)
	v_fma_f64 v[0:1], v[3:4], v[18:19], v[0:1]
	s_clause 0x1
	global_store_b128 v[16:17], v[5:8], off
	global_store_b64 v[16:17], v[0:1], off offset:16
.LBB40_23:
	s_nop 0
	s_sendmsg sendmsg(MSG_DEALLOC_VGPRS)
	s_endpgm
	.section	.rodata,"a",@progbits
	.p2align	6, 0x0
	.amdhsa_kernel _ZN9rocsparseL19gebsrmvn_3xn_kernelILj128ELj1ELj32EdEEvi20rocsparse_direction_NS_24const_host_device_scalarIT2_EEPKiS6_PKS3_S8_S4_PS3_21rocsparse_index_base_b
		.amdhsa_group_segment_fixed_size 0
		.amdhsa_private_segment_fixed_size 0
		.amdhsa_kernarg_size 72
		.amdhsa_user_sgpr_count 15
		.amdhsa_user_sgpr_dispatch_ptr 0
		.amdhsa_user_sgpr_queue_ptr 0
		.amdhsa_user_sgpr_kernarg_segment_ptr 1
		.amdhsa_user_sgpr_dispatch_id 0
		.amdhsa_user_sgpr_private_segment_size 0
		.amdhsa_wavefront_size32 1
		.amdhsa_uses_dynamic_stack 0
		.amdhsa_enable_private_segment 0
		.amdhsa_system_sgpr_workgroup_id_x 1
		.amdhsa_system_sgpr_workgroup_id_y 0
		.amdhsa_system_sgpr_workgroup_id_z 0
		.amdhsa_system_sgpr_workgroup_info 0
		.amdhsa_system_vgpr_workitem_id 0
		.amdhsa_next_free_vgpr 27
		.amdhsa_next_free_sgpr 16
		.amdhsa_reserve_vcc 1
		.amdhsa_float_round_mode_32 0
		.amdhsa_float_round_mode_16_64 0
		.amdhsa_float_denorm_mode_32 3
		.amdhsa_float_denorm_mode_16_64 3
		.amdhsa_dx10_clamp 1
		.amdhsa_ieee_mode 1
		.amdhsa_fp16_overflow 0
		.amdhsa_workgroup_processor_mode 1
		.amdhsa_memory_ordered 1
		.amdhsa_forward_progress 0
		.amdhsa_shared_vgpr_count 0
		.amdhsa_exception_fp_ieee_invalid_op 0
		.amdhsa_exception_fp_denorm_src 0
		.amdhsa_exception_fp_ieee_div_zero 0
		.amdhsa_exception_fp_ieee_overflow 0
		.amdhsa_exception_fp_ieee_underflow 0
		.amdhsa_exception_fp_ieee_inexact 0
		.amdhsa_exception_int_div_zero 0
	.end_amdhsa_kernel
	.section	.text._ZN9rocsparseL19gebsrmvn_3xn_kernelILj128ELj1ELj32EdEEvi20rocsparse_direction_NS_24const_host_device_scalarIT2_EEPKiS6_PKS3_S8_S4_PS3_21rocsparse_index_base_b,"axG",@progbits,_ZN9rocsparseL19gebsrmvn_3xn_kernelILj128ELj1ELj32EdEEvi20rocsparse_direction_NS_24const_host_device_scalarIT2_EEPKiS6_PKS3_S8_S4_PS3_21rocsparse_index_base_b,comdat
.Lfunc_end40:
	.size	_ZN9rocsparseL19gebsrmvn_3xn_kernelILj128ELj1ELj32EdEEvi20rocsparse_direction_NS_24const_host_device_scalarIT2_EEPKiS6_PKS3_S8_S4_PS3_21rocsparse_index_base_b, .Lfunc_end40-_ZN9rocsparseL19gebsrmvn_3xn_kernelILj128ELj1ELj32EdEEvi20rocsparse_direction_NS_24const_host_device_scalarIT2_EEPKiS6_PKS3_S8_S4_PS3_21rocsparse_index_base_b
                                        ; -- End function
	.section	.AMDGPU.csdata,"",@progbits
; Kernel info:
; codeLenInByte = 1800
; NumSgprs: 18
; NumVgprs: 27
; ScratchSize: 0
; MemoryBound: 0
; FloatMode: 240
; IeeeMode: 1
; LDSByteSize: 0 bytes/workgroup (compile time only)
; SGPRBlocks: 2
; VGPRBlocks: 3
; NumSGPRsForWavesPerEU: 18
; NumVGPRsForWavesPerEU: 27
; Occupancy: 16
; WaveLimiterHint : 1
; COMPUTE_PGM_RSRC2:SCRATCH_EN: 0
; COMPUTE_PGM_RSRC2:USER_SGPR: 15
; COMPUTE_PGM_RSRC2:TRAP_HANDLER: 0
; COMPUTE_PGM_RSRC2:TGID_X_EN: 1
; COMPUTE_PGM_RSRC2:TGID_Y_EN: 0
; COMPUTE_PGM_RSRC2:TGID_Z_EN: 0
; COMPUTE_PGM_RSRC2:TIDIG_COMP_CNT: 0
	.section	.text._ZN9rocsparseL19gebsrmvn_3xn_kernelILj128ELj1ELj64EdEEvi20rocsparse_direction_NS_24const_host_device_scalarIT2_EEPKiS6_PKS3_S8_S4_PS3_21rocsparse_index_base_b,"axG",@progbits,_ZN9rocsparseL19gebsrmvn_3xn_kernelILj128ELj1ELj64EdEEvi20rocsparse_direction_NS_24const_host_device_scalarIT2_EEPKiS6_PKS3_S8_S4_PS3_21rocsparse_index_base_b,comdat
	.globl	_ZN9rocsparseL19gebsrmvn_3xn_kernelILj128ELj1ELj64EdEEvi20rocsparse_direction_NS_24const_host_device_scalarIT2_EEPKiS6_PKS3_S8_S4_PS3_21rocsparse_index_base_b ; -- Begin function _ZN9rocsparseL19gebsrmvn_3xn_kernelILj128ELj1ELj64EdEEvi20rocsparse_direction_NS_24const_host_device_scalarIT2_EEPKiS6_PKS3_S8_S4_PS3_21rocsparse_index_base_b
	.p2align	8
	.type	_ZN9rocsparseL19gebsrmvn_3xn_kernelILj128ELj1ELj64EdEEvi20rocsparse_direction_NS_24const_host_device_scalarIT2_EEPKiS6_PKS3_S8_S4_PS3_21rocsparse_index_base_b,@function
_ZN9rocsparseL19gebsrmvn_3xn_kernelILj128ELj1ELj64EdEEvi20rocsparse_direction_NS_24const_host_device_scalarIT2_EEPKiS6_PKS3_S8_S4_PS3_21rocsparse_index_base_b: ; @_ZN9rocsparseL19gebsrmvn_3xn_kernelILj128ELj1ELj64EdEEvi20rocsparse_direction_NS_24const_host_device_scalarIT2_EEPKiS6_PKS3_S8_S4_PS3_21rocsparse_index_base_b
; %bb.0:
	s_clause 0x2
	s_load_b64 s[12:13], s[0:1], 0x40
	s_load_b64 s[4:5], s[0:1], 0x8
	;; [unrolled: 1-line block ×3, first 2 shown]
	s_waitcnt lgkmcnt(0)
	s_bitcmp1_b32 s13, 0
	v_dual_mov_b32 v1, s4 :: v_dual_mov_b32 v2, s5
	s_cselect_b32 s6, -1, 0
	s_delay_alu instid0(SALU_CYCLE_1)
	s_and_b32 vcc_lo, exec_lo, s6
	s_xor_b32 s6, s6, -1
	s_cbranch_vccnz .LBB41_2
; %bb.1:
	v_dual_mov_b32 v1, s4 :: v_dual_mov_b32 v2, s5
	flat_load_b64 v[1:2], v[1:2]
.LBB41_2:
	v_dual_mov_b32 v4, s3 :: v_dual_mov_b32 v3, s2
	s_and_not1_b32 vcc_lo, exec_lo, s6
	s_cbranch_vccnz .LBB41_4
; %bb.3:
	v_dual_mov_b32 v4, s3 :: v_dual_mov_b32 v3, s2
	flat_load_b64 v[3:4], v[3:4]
.LBB41_4:
	s_waitcnt vmcnt(0) lgkmcnt(0)
	v_cmp_neq_f64_e32 vcc_lo, 0, v[1:2]
	v_cmp_neq_f64_e64 s2, 1.0, v[3:4]
	s_delay_alu instid0(VALU_DEP_1) | instskip(NEXT) | instid1(SALU_CYCLE_1)
	s_or_b32 s2, vcc_lo, s2
	s_and_saveexec_b32 s3, s2
	s_cbranch_execz .LBB41_23
; %bb.5:
	s_load_b64 s[2:3], s[0:1], 0x0
	v_lshrrev_b32_e32 v5, 6, v0
	s_delay_alu instid0(VALU_DEP_1) | instskip(SKIP_1) | instid1(VALU_DEP_1)
	v_lshl_or_b32 v5, s15, 1, v5
	s_waitcnt lgkmcnt(0)
	v_cmp_gt_i32_e32 vcc_lo, s2, v5
	s_and_b32 exec_lo, exec_lo, vcc_lo
	s_cbranch_execz .LBB41_23
; %bb.6:
	s_load_b256 s[4:11], s[0:1], 0x10
	v_ashrrev_i32_e32 v6, 31, v5
	v_and_b32_e32 v0, 63, v0
	s_cmp_lg_u32 s3, 0
	s_delay_alu instid0(VALU_DEP_2) | instskip(SKIP_1) | instid1(VALU_DEP_1)
	v_lshlrev_b64 v[6:7], 2, v[5:6]
	s_waitcnt lgkmcnt(0)
	v_add_co_u32 v6, vcc_lo, s4, v6
	s_delay_alu instid0(VALU_DEP_2) | instskip(SKIP_4) | instid1(VALU_DEP_2)
	v_add_co_ci_u32_e32 v7, vcc_lo, s5, v7, vcc_lo
	global_load_b64 v[6:7], v[6:7], off
	s_waitcnt vmcnt(0)
	v_subrev_nc_u32_e32 v6, s12, v6
	v_subrev_nc_u32_e32 v17, s12, v7
	v_add_nc_u32_e32 v12, v6, v0
	s_delay_alu instid0(VALU_DEP_1)
	v_cmp_lt_i32_e64 s2, v12, v17
	s_cbranch_scc0 .LBB41_12
; %bb.7:
	v_mov_b32_e32 v6, 0
	v_mov_b32_e32 v7, 0
	s_delay_alu instid0(VALU_DEP_1)
	v_dual_mov_b32 v9, v7 :: v_dual_mov_b32 v8, v6
	v_dual_mov_b32 v11, v7 :: v_dual_mov_b32 v10, v6
	s_and_saveexec_b32 s3, s2
	s_cbranch_execz .LBB41_11
; %bb.8:
	v_dual_mov_b32 v6, 0 :: v_dual_mov_b32 v15, v12
	v_dual_mov_b32 v7, 0 :: v_dual_mov_b32 v14, 0
	v_lshl_add_u32 v13, v12, 1, v12
	s_mov_b32 s4, 0
	s_delay_alu instid0(VALU_DEP_2)
	v_dual_mov_b32 v9, v7 :: v_dual_mov_b32 v8, v6
	v_dual_mov_b32 v11, v7 :: v_dual_mov_b32 v10, v6
.LBB41_9:                               ; =>This Inner Loop Header: Depth=1
	v_ashrrev_i32_e32 v16, 31, v15
	v_lshlrev_b64 v[22:23], 3, v[13:14]
	v_dual_mov_b32 v21, v14 :: v_dual_add_nc_u32 v20, 2, v13
	v_mov_b32_e32 v24, v14
	s_delay_alu instid0(VALU_DEP_4) | instskip(SKIP_1) | instid1(VALU_DEP_4)
	v_lshlrev_b64 v[18:19], 2, v[15:16]
	v_add_nc_u32_e32 v15, 64, v15
	v_lshlrev_b64 v[20:21], 3, v[20:21]
	s_delay_alu instid0(VALU_DEP_3) | instskip(NEXT) | instid1(VALU_DEP_4)
	v_add_co_u32 v18, vcc_lo, s6, v18
	v_add_co_ci_u32_e32 v19, vcc_lo, s7, v19, vcc_lo
	v_add_co_u32 v22, vcc_lo, s8, v22
	v_add_co_ci_u32_e32 v23, vcc_lo, s9, v23, vcc_lo
	global_load_b32 v16, v[18:19], off
	v_dual_mov_b32 v19, v14 :: v_dual_add_nc_u32 v18, 1, v13
	global_load_b64 v[25:26], v[22:23], off
	v_add_nc_u32_e32 v13, 0xc0, v13
	v_lshlrev_b64 v[18:19], 3, v[18:19]
	s_delay_alu instid0(VALU_DEP_1) | instskip(NEXT) | instid1(VALU_DEP_2)
	v_add_co_u32 v18, vcc_lo, s8, v18
	v_add_co_ci_u32_e32 v19, vcc_lo, s9, v19, vcc_lo
	v_add_co_u32 v20, vcc_lo, s8, v20
	v_add_co_ci_u32_e32 v21, vcc_lo, s9, v21, vcc_lo
	s_waitcnt vmcnt(1)
	v_subrev_nc_u32_e32 v23, s12, v16
	s_delay_alu instid0(VALU_DEP_1) | instskip(NEXT) | instid1(VALU_DEP_1)
	v_lshlrev_b64 v[22:23], 3, v[23:24]
	v_add_co_u32 v22, vcc_lo, s10, v22
	s_delay_alu instid0(VALU_DEP_2)
	v_add_co_ci_u32_e32 v23, vcc_lo, s11, v23, vcc_lo
	s_clause 0x1
	global_load_b64 v[18:19], v[18:19], off
	global_load_b64 v[20:21], v[20:21], off
	;; [unrolled: 1-line block ×3, first 2 shown]
	v_cmp_ge_i32_e32 vcc_lo, v15, v17
	s_or_b32 s4, vcc_lo, s4
	s_waitcnt vmcnt(0)
	v_fma_f64 v[6:7], v[25:26], v[22:23], v[6:7]
	v_fma_f64 v[10:11], v[18:19], v[22:23], v[10:11]
	;; [unrolled: 1-line block ×3, first 2 shown]
	s_and_not1_b32 exec_lo, exec_lo, s4
	s_cbranch_execnz .LBB41_9
; %bb.10:
	s_or_b32 exec_lo, exec_lo, s4
.LBB41_11:
	s_delay_alu instid0(SALU_CYCLE_1)
	s_or_b32 exec_lo, exec_lo, s3
	s_cbranch_execz .LBB41_13
	s_branch .LBB41_18
.LBB41_12:
                                        ; implicit-def: $vgpr6_vgpr7
                                        ; implicit-def: $vgpr8_vgpr9
                                        ; implicit-def: $vgpr10_vgpr11
.LBB41_13:
	v_mov_b32_e32 v6, 0
	v_mov_b32_e32 v7, 0
	s_delay_alu instid0(VALU_DEP_1)
	v_dual_mov_b32 v9, v7 :: v_dual_mov_b32 v8, v6
	v_dual_mov_b32 v11, v7 :: v_dual_mov_b32 v10, v6
	s_and_saveexec_b32 s3, s2
	s_cbranch_execz .LBB41_17
; %bb.14:
	v_dual_mov_b32 v6, 0 :: v_dual_mov_b32 v15, 0
	v_mov_b32_e32 v7, 0
	v_lshl_add_u32 v14, v12, 1, v12
	s_mov_b32 s2, 0
	s_delay_alu instid0(VALU_DEP_2)
	v_dual_mov_b32 v9, v7 :: v_dual_mov_b32 v8, v6
	v_dual_mov_b32 v11, v7 :: v_dual_mov_b32 v10, v6
.LBB41_15:                              ; =>This Inner Loop Header: Depth=1
	v_ashrrev_i32_e32 v13, 31, v12
	v_lshlrev_b64 v[22:23], 3, v[14:15]
	v_dual_mov_b32 v21, v15 :: v_dual_add_nc_u32 v20, 2, v14
	v_mov_b32_e32 v24, v15
	s_delay_alu instid0(VALU_DEP_4) | instskip(SKIP_1) | instid1(VALU_DEP_4)
	v_lshlrev_b64 v[18:19], 2, v[12:13]
	v_add_nc_u32_e32 v12, 64, v12
	v_lshlrev_b64 v[20:21], 3, v[20:21]
	s_delay_alu instid0(VALU_DEP_3) | instskip(NEXT) | instid1(VALU_DEP_4)
	v_add_co_u32 v18, vcc_lo, s6, v18
	v_add_co_ci_u32_e32 v19, vcc_lo, s7, v19, vcc_lo
	v_add_co_u32 v22, vcc_lo, s8, v22
	v_add_co_ci_u32_e32 v23, vcc_lo, s9, v23, vcc_lo
	global_load_b32 v13, v[18:19], off
	v_dual_mov_b32 v19, v15 :: v_dual_add_nc_u32 v18, 1, v14
	global_load_b64 v[25:26], v[22:23], off
	v_add_nc_u32_e32 v14, 0xc0, v14
	v_lshlrev_b64 v[18:19], 3, v[18:19]
	s_delay_alu instid0(VALU_DEP_1) | instskip(NEXT) | instid1(VALU_DEP_2)
	v_add_co_u32 v18, vcc_lo, s8, v18
	v_add_co_ci_u32_e32 v19, vcc_lo, s9, v19, vcc_lo
	v_add_co_u32 v20, vcc_lo, s8, v20
	v_add_co_ci_u32_e32 v21, vcc_lo, s9, v21, vcc_lo
	s_waitcnt vmcnt(1)
	v_subrev_nc_u32_e32 v23, s12, v13
	s_delay_alu instid0(VALU_DEP_1) | instskip(NEXT) | instid1(VALU_DEP_1)
	v_lshlrev_b64 v[22:23], 3, v[23:24]
	v_add_co_u32 v22, vcc_lo, s10, v22
	s_delay_alu instid0(VALU_DEP_2)
	v_add_co_ci_u32_e32 v23, vcc_lo, s11, v23, vcc_lo
	s_clause 0x1
	global_load_b64 v[18:19], v[18:19], off
	global_load_b64 v[20:21], v[20:21], off
	;; [unrolled: 1-line block ×3, first 2 shown]
	v_cmp_ge_i32_e32 vcc_lo, v12, v17
	s_or_b32 s2, vcc_lo, s2
	s_waitcnt vmcnt(0)
	v_fma_f64 v[6:7], v[25:26], v[22:23], v[6:7]
	v_fma_f64 v[10:11], v[18:19], v[22:23], v[10:11]
	;; [unrolled: 1-line block ×3, first 2 shown]
	s_and_not1_b32 exec_lo, exec_lo, s2
	s_cbranch_execnz .LBB41_15
; %bb.16:
	s_or_b32 exec_lo, exec_lo, s2
.LBB41_17:
	s_delay_alu instid0(SALU_CYCLE_1)
	s_or_b32 exec_lo, exec_lo, s3
.LBB41_18:
	v_mbcnt_lo_u32_b32 v18, -1, 0
	s_delay_alu instid0(VALU_DEP_1) | instskip(NEXT) | instid1(VALU_DEP_1)
	v_or_b32_e32 v12, 32, v18
	v_cmp_gt_i32_e32 vcc_lo, 32, v12
	v_cndmask_b32_e32 v12, v18, v12, vcc_lo
	s_delay_alu instid0(VALU_DEP_1)
	v_lshlrev_b32_e32 v17, 2, v12
	ds_bpermute_b32 v12, v17, v6
	ds_bpermute_b32 v13, v17, v7
	ds_bpermute_b32 v14, v17, v10
	ds_bpermute_b32 v15, v17, v11
	ds_bpermute_b32 v16, v17, v8
	ds_bpermute_b32 v17, v17, v9
	s_waitcnt lgkmcnt(4)
	v_add_f64 v[6:7], v[6:7], v[12:13]
	v_xor_b32_e32 v12, 16, v18
	s_waitcnt lgkmcnt(2)
	v_add_f64 v[10:11], v[10:11], v[14:15]
	s_waitcnt lgkmcnt(0)
	v_add_f64 v[8:9], v[8:9], v[16:17]
	v_cmp_gt_i32_e32 vcc_lo, 32, v12
	v_cndmask_b32_e32 v12, v18, v12, vcc_lo
	s_delay_alu instid0(VALU_DEP_1)
	v_lshlrev_b32_e32 v17, 2, v12
	ds_bpermute_b32 v12, v17, v6
	ds_bpermute_b32 v13, v17, v7
	ds_bpermute_b32 v14, v17, v10
	ds_bpermute_b32 v15, v17, v11
	ds_bpermute_b32 v16, v17, v8
	ds_bpermute_b32 v17, v17, v9
	s_waitcnt lgkmcnt(4)
	v_add_f64 v[6:7], v[6:7], v[12:13]
	v_xor_b32_e32 v12, 8, v18
	s_waitcnt lgkmcnt(2)
	v_add_f64 v[10:11], v[10:11], v[14:15]
	s_waitcnt lgkmcnt(0)
	v_add_f64 v[8:9], v[8:9], v[16:17]
	;; [unrolled: 17-line block ×3, first 2 shown]
	v_cmp_gt_i32_e32 vcc_lo, 32, v12
	v_cndmask_b32_e32 v12, v18, v12, vcc_lo
	s_delay_alu instid0(VALU_DEP_1)
	v_lshlrev_b32_e32 v17, 2, v12
	ds_bpermute_b32 v12, v17, v6
	ds_bpermute_b32 v13, v17, v7
	;; [unrolled: 1-line block ×6, first 2 shown]
	s_waitcnt lgkmcnt(4)
	v_add_f64 v[6:7], v[6:7], v[12:13]
	s_waitcnt lgkmcnt(2)
	v_add_f64 v[10:11], v[10:11], v[14:15]
	s_waitcnt lgkmcnt(0)
	v_add_f64 v[12:13], v[8:9], v[16:17]
	v_xor_b32_e32 v8, 2, v18
	s_delay_alu instid0(VALU_DEP_1) | instskip(SKIP_1) | instid1(VALU_DEP_1)
	v_cmp_gt_i32_e32 vcc_lo, 32, v8
	v_cndmask_b32_e32 v8, v18, v8, vcc_lo
	v_lshlrev_b32_e32 v17, 2, v8
	ds_bpermute_b32 v8, v17, v6
	ds_bpermute_b32 v9, v17, v7
	;; [unrolled: 1-line block ×6, first 2 shown]
	s_waitcnt lgkmcnt(4)
	v_add_f64 v[8:9], v[6:7], v[8:9]
	s_waitcnt lgkmcnt(2)
	v_add_f64 v[6:7], v[10:11], v[14:15]
	v_xor_b32_e32 v10, 1, v18
	s_waitcnt lgkmcnt(0)
	v_add_f64 v[12:13], v[12:13], v[16:17]
	s_delay_alu instid0(VALU_DEP_2) | instskip(SKIP_2) | instid1(VALU_DEP_2)
	v_cmp_gt_i32_e32 vcc_lo, 32, v10
	v_cndmask_b32_e32 v10, v18, v10, vcc_lo
	v_cmp_eq_u32_e32 vcc_lo, 63, v0
	v_lshlrev_b32_e32 v15, 2, v10
	ds_bpermute_b32 v10, v15, v8
	ds_bpermute_b32 v11, v15, v9
	;; [unrolled: 1-line block ×6, first 2 shown]
	s_and_b32 exec_lo, exec_lo, vcc_lo
	s_cbranch_execz .LBB41_23
; %bb.19:
	s_waitcnt lgkmcnt(4)
	v_add_f64 v[10:11], v[8:9], v[10:11]
	s_waitcnt lgkmcnt(2)
	v_add_f64 v[8:9], v[6:7], v[16:17]
	;; [unrolled: 2-line block ×3, first 2 shown]
	s_load_b64 s[0:1], s[0:1], 0x38
	s_mov_b32 s2, exec_lo
	v_cmpx_eq_f64_e32 0, v[3:4]
	s_xor_b32 s2, exec_lo, s2
	s_cbranch_execz .LBB41_21
; %bb.20:
	s_delay_alu instid0(VALU_DEP_4) | instskip(NEXT) | instid1(VALU_DEP_4)
	v_mul_f64 v[10:11], v[1:2], v[10:11]
	v_mul_f64 v[12:13], v[1:2], v[8:9]
	s_delay_alu instid0(VALU_DEP_4) | instskip(SKIP_1) | instid1(VALU_DEP_1)
	v_mul_f64 v[0:1], v[1:2], v[6:7]
	v_lshl_add_u32 v2, v5, 1, v5
                                        ; implicit-def: $vgpr5
                                        ; implicit-def: $vgpr8_vgpr9
                                        ; implicit-def: $vgpr6_vgpr7
	v_ashrrev_i32_e32 v3, 31, v2
	s_delay_alu instid0(VALU_DEP_1) | instskip(SKIP_1) | instid1(VALU_DEP_1)
	v_lshlrev_b64 v[2:3], 3, v[2:3]
	s_waitcnt lgkmcnt(0)
	v_add_co_u32 v2, vcc_lo, s0, v2
	s_delay_alu instid0(VALU_DEP_2)
	v_add_co_ci_u32_e32 v3, vcc_lo, s1, v3, vcc_lo
	s_clause 0x1
	global_store_b128 v[2:3], v[10:13], off
	global_store_b64 v[2:3], v[0:1], off offset:16
                                        ; implicit-def: $vgpr1_vgpr2
                                        ; implicit-def: $vgpr10_vgpr11
                                        ; implicit-def: $vgpr3_vgpr4
.LBB41_21:
	s_and_not1_saveexec_b32 s2, s2
	s_cbranch_execz .LBB41_23
; %bb.22:
	v_lshl_add_u32 v12, v5, 1, v5
	v_mul_f64 v[10:11], v[1:2], v[10:11]
	v_mul_f64 v[8:9], v[1:2], v[8:9]
	;; [unrolled: 1-line block ×3, first 2 shown]
	s_delay_alu instid0(VALU_DEP_4) | instskip(NEXT) | instid1(VALU_DEP_1)
	v_ashrrev_i32_e32 v13, 31, v12
	v_lshlrev_b64 v[12:13], 3, v[12:13]
	s_waitcnt lgkmcnt(0)
	s_delay_alu instid0(VALU_DEP_1) | instskip(NEXT) | instid1(VALU_DEP_2)
	v_add_co_u32 v16, vcc_lo, s0, v12
	v_add_co_ci_u32_e32 v17, vcc_lo, s1, v13, vcc_lo
	s_clause 0x1
	global_load_b128 v[12:15], v[16:17], off
	global_load_b64 v[18:19], v[16:17], off offset:16
	s_waitcnt vmcnt(1)
	v_fma_f64 v[5:6], v[3:4], v[12:13], v[10:11]
	v_fma_f64 v[7:8], v[3:4], v[14:15], v[8:9]
	s_waitcnt vmcnt(0)
	v_fma_f64 v[0:1], v[3:4], v[18:19], v[0:1]
	s_clause 0x1
	global_store_b128 v[16:17], v[5:8], off
	global_store_b64 v[16:17], v[0:1], off offset:16
.LBB41_23:
	s_nop 0
	s_sendmsg sendmsg(MSG_DEALLOC_VGPRS)
	s_endpgm
	.section	.rodata,"a",@progbits
	.p2align	6, 0x0
	.amdhsa_kernel _ZN9rocsparseL19gebsrmvn_3xn_kernelILj128ELj1ELj64EdEEvi20rocsparse_direction_NS_24const_host_device_scalarIT2_EEPKiS6_PKS3_S8_S4_PS3_21rocsparse_index_base_b
		.amdhsa_group_segment_fixed_size 0
		.amdhsa_private_segment_fixed_size 0
		.amdhsa_kernarg_size 72
		.amdhsa_user_sgpr_count 15
		.amdhsa_user_sgpr_dispatch_ptr 0
		.amdhsa_user_sgpr_queue_ptr 0
		.amdhsa_user_sgpr_kernarg_segment_ptr 1
		.amdhsa_user_sgpr_dispatch_id 0
		.amdhsa_user_sgpr_private_segment_size 0
		.amdhsa_wavefront_size32 1
		.amdhsa_uses_dynamic_stack 0
		.amdhsa_enable_private_segment 0
		.amdhsa_system_sgpr_workgroup_id_x 1
		.amdhsa_system_sgpr_workgroup_id_y 0
		.amdhsa_system_sgpr_workgroup_id_z 0
		.amdhsa_system_sgpr_workgroup_info 0
		.amdhsa_system_vgpr_workitem_id 0
		.amdhsa_next_free_vgpr 27
		.amdhsa_next_free_sgpr 16
		.amdhsa_reserve_vcc 1
		.amdhsa_float_round_mode_32 0
		.amdhsa_float_round_mode_16_64 0
		.amdhsa_float_denorm_mode_32 3
		.amdhsa_float_denorm_mode_16_64 3
		.amdhsa_dx10_clamp 1
		.amdhsa_ieee_mode 1
		.amdhsa_fp16_overflow 0
		.amdhsa_workgroup_processor_mode 1
		.amdhsa_memory_ordered 1
		.amdhsa_forward_progress 0
		.amdhsa_shared_vgpr_count 0
		.amdhsa_exception_fp_ieee_invalid_op 0
		.amdhsa_exception_fp_denorm_src 0
		.amdhsa_exception_fp_ieee_div_zero 0
		.amdhsa_exception_fp_ieee_overflow 0
		.amdhsa_exception_fp_ieee_underflow 0
		.amdhsa_exception_fp_ieee_inexact 0
		.amdhsa_exception_int_div_zero 0
	.end_amdhsa_kernel
	.section	.text._ZN9rocsparseL19gebsrmvn_3xn_kernelILj128ELj1ELj64EdEEvi20rocsparse_direction_NS_24const_host_device_scalarIT2_EEPKiS6_PKS3_S8_S4_PS3_21rocsparse_index_base_b,"axG",@progbits,_ZN9rocsparseL19gebsrmvn_3xn_kernelILj128ELj1ELj64EdEEvi20rocsparse_direction_NS_24const_host_device_scalarIT2_EEPKiS6_PKS3_S8_S4_PS3_21rocsparse_index_base_b,comdat
.Lfunc_end41:
	.size	_ZN9rocsparseL19gebsrmvn_3xn_kernelILj128ELj1ELj64EdEEvi20rocsparse_direction_NS_24const_host_device_scalarIT2_EEPKiS6_PKS3_S8_S4_PS3_21rocsparse_index_base_b, .Lfunc_end41-_ZN9rocsparseL19gebsrmvn_3xn_kernelILj128ELj1ELj64EdEEvi20rocsparse_direction_NS_24const_host_device_scalarIT2_EEPKiS6_PKS3_S8_S4_PS3_21rocsparse_index_base_b
                                        ; -- End function
	.section	.AMDGPU.csdata,"",@progbits
; Kernel info:
; codeLenInByte = 1904
; NumSgprs: 18
; NumVgprs: 27
; ScratchSize: 0
; MemoryBound: 0
; FloatMode: 240
; IeeeMode: 1
; LDSByteSize: 0 bytes/workgroup (compile time only)
; SGPRBlocks: 2
; VGPRBlocks: 3
; NumSGPRsForWavesPerEU: 18
; NumVGPRsForWavesPerEU: 27
; Occupancy: 16
; WaveLimiterHint : 1
; COMPUTE_PGM_RSRC2:SCRATCH_EN: 0
; COMPUTE_PGM_RSRC2:USER_SGPR: 15
; COMPUTE_PGM_RSRC2:TRAP_HANDLER: 0
; COMPUTE_PGM_RSRC2:TGID_X_EN: 1
; COMPUTE_PGM_RSRC2:TGID_Y_EN: 0
; COMPUTE_PGM_RSRC2:TGID_Z_EN: 0
; COMPUTE_PGM_RSRC2:TIDIG_COMP_CNT: 0
	.section	.text._ZN9rocsparseL19gebsrmvn_3xn_kernelILj128ELj2ELj4EdEEvi20rocsparse_direction_NS_24const_host_device_scalarIT2_EEPKiS6_PKS3_S8_S4_PS3_21rocsparse_index_base_b,"axG",@progbits,_ZN9rocsparseL19gebsrmvn_3xn_kernelILj128ELj2ELj4EdEEvi20rocsparse_direction_NS_24const_host_device_scalarIT2_EEPKiS6_PKS3_S8_S4_PS3_21rocsparse_index_base_b,comdat
	.globl	_ZN9rocsparseL19gebsrmvn_3xn_kernelILj128ELj2ELj4EdEEvi20rocsparse_direction_NS_24const_host_device_scalarIT2_EEPKiS6_PKS3_S8_S4_PS3_21rocsparse_index_base_b ; -- Begin function _ZN9rocsparseL19gebsrmvn_3xn_kernelILj128ELj2ELj4EdEEvi20rocsparse_direction_NS_24const_host_device_scalarIT2_EEPKiS6_PKS3_S8_S4_PS3_21rocsparse_index_base_b
	.p2align	8
	.type	_ZN9rocsparseL19gebsrmvn_3xn_kernelILj128ELj2ELj4EdEEvi20rocsparse_direction_NS_24const_host_device_scalarIT2_EEPKiS6_PKS3_S8_S4_PS3_21rocsparse_index_base_b,@function
_ZN9rocsparseL19gebsrmvn_3xn_kernelILj128ELj2ELj4EdEEvi20rocsparse_direction_NS_24const_host_device_scalarIT2_EEPKiS6_PKS3_S8_S4_PS3_21rocsparse_index_base_b: ; @_ZN9rocsparseL19gebsrmvn_3xn_kernelILj128ELj2ELj4EdEEvi20rocsparse_direction_NS_24const_host_device_scalarIT2_EEPKiS6_PKS3_S8_S4_PS3_21rocsparse_index_base_b
; %bb.0:
	s_clause 0x2
	s_load_b64 s[12:13], s[0:1], 0x40
	s_load_b64 s[4:5], s[0:1], 0x8
	;; [unrolled: 1-line block ×3, first 2 shown]
	s_waitcnt lgkmcnt(0)
	s_bitcmp1_b32 s13, 0
	v_dual_mov_b32 v1, s4 :: v_dual_mov_b32 v2, s5
	s_cselect_b32 s6, -1, 0
	s_delay_alu instid0(SALU_CYCLE_1)
	s_and_b32 vcc_lo, exec_lo, s6
	s_xor_b32 s6, s6, -1
	s_cbranch_vccnz .LBB42_2
; %bb.1:
	v_dual_mov_b32 v1, s4 :: v_dual_mov_b32 v2, s5
	flat_load_b64 v[1:2], v[1:2]
.LBB42_2:
	v_dual_mov_b32 v4, s3 :: v_dual_mov_b32 v3, s2
	s_and_not1_b32 vcc_lo, exec_lo, s6
	s_cbranch_vccnz .LBB42_4
; %bb.3:
	v_dual_mov_b32 v4, s3 :: v_dual_mov_b32 v3, s2
	flat_load_b64 v[3:4], v[3:4]
.LBB42_4:
	s_waitcnt vmcnt(0) lgkmcnt(0)
	v_cmp_neq_f64_e32 vcc_lo, 0, v[1:2]
	v_cmp_neq_f64_e64 s2, 1.0, v[3:4]
	s_delay_alu instid0(VALU_DEP_1) | instskip(NEXT) | instid1(SALU_CYCLE_1)
	s_or_b32 s2, vcc_lo, s2
	s_and_saveexec_b32 s3, s2
	s_cbranch_execz .LBB42_23
; %bb.5:
	s_load_b64 s[2:3], s[0:1], 0x0
	v_lshrrev_b32_e32 v5, 2, v0
	s_delay_alu instid0(VALU_DEP_1) | instskip(SKIP_1) | instid1(VALU_DEP_1)
	v_lshl_or_b32 v5, s15, 5, v5
	s_waitcnt lgkmcnt(0)
	v_cmp_gt_i32_e32 vcc_lo, s2, v5
	s_and_b32 exec_lo, exec_lo, vcc_lo
	s_cbranch_execz .LBB42_23
; %bb.6:
	s_load_b256 s[4:11], s[0:1], 0x10
	v_ashrrev_i32_e32 v6, 31, v5
	v_and_b32_e32 v0, 3, v0
	s_cmp_lg_u32 s3, 0
	s_delay_alu instid0(VALU_DEP_2) | instskip(SKIP_1) | instid1(VALU_DEP_1)
	v_lshlrev_b64 v[6:7], 2, v[5:6]
	s_waitcnt lgkmcnt(0)
	v_add_co_u32 v6, vcc_lo, s4, v6
	s_delay_alu instid0(VALU_DEP_2) | instskip(SKIP_4) | instid1(VALU_DEP_2)
	v_add_co_ci_u32_e32 v7, vcc_lo, s5, v7, vcc_lo
	global_load_b64 v[6:7], v[6:7], off
	s_waitcnt vmcnt(0)
	v_subrev_nc_u32_e32 v6, s12, v6
	v_subrev_nc_u32_e32 v19, s12, v7
	v_add_nc_u32_e32 v10, v6, v0
	s_delay_alu instid0(VALU_DEP_1)
	v_cmp_lt_i32_e64 s2, v10, v19
	s_cbranch_scc0 .LBB42_12
; %bb.7:
	v_mov_b32_e32 v6, 0
	v_mov_b32_e32 v7, 0
	s_delay_alu instid0(VALU_DEP_1)
	v_dual_mov_b32 v9, v7 :: v_dual_mov_b32 v8, v6
	v_dual_mov_b32 v13, v7 :: v_dual_mov_b32 v12, v6
	s_and_saveexec_b32 s3, s2
	s_cbranch_execz .LBB42_11
; %bb.8:
	v_dual_mov_b32 v6, 0 :: v_dual_mov_b32 v17, v10
	v_dual_mov_b32 v7, 0 :: v_dual_mov_b32 v16, 0
	v_mad_u64_u32 v[14:15], null, v10, 6, 5
	s_mov_b32 s4, 0
	s_delay_alu instid0(VALU_DEP_2)
	v_dual_mov_b32 v9, v7 :: v_dual_mov_b32 v8, v6
	v_dual_mov_b32 v13, v7 :: v_dual_mov_b32 v12, v6
.LBB42_9:                               ; =>This Inner Loop Header: Depth=1
	v_ashrrev_i32_e32 v18, 31, v17
	s_delay_alu instid0(VALU_DEP_4) | instskip(NEXT) | instid1(VALU_DEP_2)
	v_add_nc_u32_e32 v15, -5, v14
	v_lshlrev_b64 v[20:21], 2, v[17:18]
	s_delay_alu instid0(VALU_DEP_2) | instskip(SKIP_2) | instid1(VALU_DEP_4)
	v_lshlrev_b64 v[22:23], 3, v[15:16]
	v_add_nc_u32_e32 v15, -3, v14
	v_add_nc_u32_e32 v17, 4, v17
	v_add_co_u32 v20, vcc_lo, s6, v20
	v_add_co_ci_u32_e32 v21, vcc_lo, s7, v21, vcc_lo
	s_delay_alu instid0(VALU_DEP_4)
	v_lshlrev_b64 v[24:25], 3, v[15:16]
	v_add_co_u32 v22, vcc_lo, s8, v22
	global_load_b32 v11, v[20:21], off
	v_add_co_ci_u32_e32 v23, vcc_lo, s9, v23, vcc_lo
	v_add_co_u32 v24, vcc_lo, s8, v24
	v_add_co_ci_u32_e32 v25, vcc_lo, s9, v25, vcc_lo
	v_mov_b32_e32 v15, v16
	s_delay_alu instid0(VALU_DEP_1) | instskip(SKIP_1) | instid1(VALU_DEP_1)
	v_lshlrev_b64 v[30:31], 3, v[14:15]
	v_add_nc_u32_e32 v15, -2, v14
	v_lshlrev_b64 v[32:33], 3, v[15:16]
	v_add_nc_u32_e32 v15, -1, v14
	v_add_nc_u32_e32 v14, 24, v14
	s_delay_alu instid0(VALU_DEP_2) | instskip(SKIP_2) | instid1(VALU_DEP_1)
	v_lshlrev_b64 v[34:35], 3, v[15:16]
	s_waitcnt vmcnt(0)
	v_subrev_nc_u32_e32 v11, s12, v11
	v_dual_mov_b32 v21, v16 :: v_dual_lshlrev_b32 v20, 1, v11
	s_delay_alu instid0(VALU_DEP_1) | instskip(NEXT) | instid1(VALU_DEP_1)
	v_lshlrev_b64 v[20:21], 3, v[20:21]
	v_add_co_u32 v26, vcc_lo, s10, v20
	s_delay_alu instid0(VALU_DEP_2)
	v_add_co_ci_u32_e32 v27, vcc_lo, s11, v21, vcc_lo
	v_add_co_u32 v30, vcc_lo, s8, v30
	s_clause 0x1
	global_load_b128 v[20:23], v[22:23], off
	global_load_b64 v[28:29], v[24:25], off
	global_load_b128 v[24:27], v[26:27], off
	v_add_co_ci_u32_e32 v31, vcc_lo, s9, v31, vcc_lo
	v_add_co_u32 v32, vcc_lo, s8, v32
	v_add_co_ci_u32_e32 v33, vcc_lo, s9, v33, vcc_lo
	v_add_co_u32 v34, vcc_lo, s8, v34
	v_add_co_ci_u32_e32 v35, vcc_lo, s9, v35, vcc_lo
	s_clause 0x2
	global_load_b64 v[32:33], v[32:33], off
	global_load_b64 v[34:35], v[34:35], off
	;; [unrolled: 1-line block ×3, first 2 shown]
	v_cmp_ge_i32_e32 vcc_lo, v17, v19
	s_or_b32 s4, vcc_lo, s4
	s_waitcnt vmcnt(3)
	v_fma_f64 v[6:7], v[20:21], v[24:25], v[6:7]
	v_fma_f64 v[11:12], v[22:23], v[24:25], v[12:13]
	;; [unrolled: 1-line block ×3, first 2 shown]
	s_waitcnt vmcnt(2)
	s_delay_alu instid0(VALU_DEP_3) | instskip(SKIP_1) | instid1(VALU_DEP_3)
	v_fma_f64 v[6:7], v[32:33], v[26:27], v[6:7]
	s_waitcnt vmcnt(1)
	v_fma_f64 v[12:13], v[34:35], v[26:27], v[11:12]
	s_waitcnt vmcnt(0)
	s_delay_alu instid0(VALU_DEP_3)
	v_fma_f64 v[8:9], v[30:31], v[26:27], v[8:9]
	s_and_not1_b32 exec_lo, exec_lo, s4
	s_cbranch_execnz .LBB42_9
; %bb.10:
	s_or_b32 exec_lo, exec_lo, s4
.LBB42_11:
	s_delay_alu instid0(SALU_CYCLE_1)
	s_or_b32 exec_lo, exec_lo, s3
	s_cbranch_execz .LBB42_13
	s_branch .LBB42_18
.LBB42_12:
                                        ; implicit-def: $vgpr6_vgpr7
                                        ; implicit-def: $vgpr8_vgpr9
                                        ; implicit-def: $vgpr12_vgpr13
.LBB42_13:
	v_mov_b32_e32 v6, 0
	v_mov_b32_e32 v7, 0
	s_delay_alu instid0(VALU_DEP_1)
	v_dual_mov_b32 v9, v7 :: v_dual_mov_b32 v8, v6
	v_dual_mov_b32 v13, v7 :: v_dual_mov_b32 v12, v6
	s_and_saveexec_b32 s3, s2
	s_cbranch_execz .LBB42_17
; %bb.14:
	v_dual_mov_b32 v6, 0 :: v_dual_mov_b32 v17, 0
	v_mov_b32_e32 v7, 0
	v_mad_u64_u32 v[14:15], null, v10, 6, 5
	s_mov_b32 s2, 0
	s_delay_alu instid0(VALU_DEP_2)
	v_dual_mov_b32 v9, v7 :: v_dual_mov_b32 v8, v6
	v_dual_mov_b32 v13, v7 :: v_dual_mov_b32 v12, v6
.LBB42_15:                              ; =>This Inner Loop Header: Depth=1
	v_ashrrev_i32_e32 v11, 31, v10
	s_delay_alu instid0(VALU_DEP_4) | instskip(SKIP_1) | instid1(VALU_DEP_3)
	v_dual_mov_b32 v21, v17 :: v_dual_add_nc_u32 v20, -3, v14
	v_dual_mov_b32 v23, v17 :: v_dual_add_nc_u32 v22, -1, v14
	v_lshlrev_b64 v[15:16], 2, v[10:11]
	v_add_nc_u32_e32 v10, 4, v10
	s_delay_alu instid0(VALU_DEP_4)
	v_lshlrev_b64 v[20:21], 3, v[20:21]
	v_mov_b32_e32 v25, v17
	v_lshlrev_b64 v[22:23], 3, v[22:23]
	v_add_co_u32 v15, vcc_lo, s6, v15
	v_add_co_ci_u32_e32 v16, vcc_lo, s7, v16, vcc_lo
	global_load_b32 v11, v[15:16], off
	v_add_nc_u32_e32 v16, -5, v14
	s_delay_alu instid0(VALU_DEP_1) | instskip(NEXT) | instid1(VALU_DEP_1)
	v_lshlrev_b64 v[15:16], 3, v[16:17]
	v_add_co_u32 v15, vcc_lo, s8, v15
	s_delay_alu instid0(VALU_DEP_2)
	v_add_co_ci_u32_e32 v16, vcc_lo, s9, v16, vcc_lo
	v_add_co_u32 v26, vcc_lo, s8, v20
	v_add_co_ci_u32_e32 v27, vcc_lo, s9, v21, vcc_lo
	v_add_co_u32 v28, vcc_lo, s8, v22
	v_add_co_ci_u32_e32 v29, vcc_lo, s9, v23, vcc_lo
	global_load_b128 v[20:23], v[15:16], off
	s_waitcnt vmcnt(1)
	v_subrev_nc_u32_e32 v11, s12, v11
	s_delay_alu instid0(VALU_DEP_1) | instskip(NEXT) | instid1(VALU_DEP_1)
	v_lshlrev_b32_e32 v24, 1, v11
	v_lshlrev_b64 v[15:16], 3, v[24:25]
	s_delay_alu instid0(VALU_DEP_1) | instskip(NEXT) | instid1(VALU_DEP_2)
	v_add_co_u32 v15, vcc_lo, s10, v15
	v_add_co_ci_u32_e32 v16, vcc_lo, s11, v16, vcc_lo
	s_clause 0x1
	global_load_b64 v[30:31], v[26:27], off
	global_load_b64 v[28:29], v[28:29], off
	global_load_b128 v[24:27], v[15:16], off
	v_dual_mov_b32 v15, v17 :: v_dual_add_nc_u32 v16, -2, v14
	s_delay_alu instid0(VALU_DEP_1) | instskip(NEXT) | instid1(VALU_DEP_2)
	v_lshlrev_b64 v[32:33], 3, v[14:15]
	v_lshlrev_b64 v[15:16], 3, v[16:17]
	v_add_nc_u32_e32 v14, 24, v14
	s_delay_alu instid0(VALU_DEP_3) | instskip(NEXT) | instid1(VALU_DEP_4)
	v_add_co_u32 v32, vcc_lo, s8, v32
	v_add_co_ci_u32_e32 v33, vcc_lo, s9, v33, vcc_lo
	s_delay_alu instid0(VALU_DEP_4)
	v_add_co_u32 v15, vcc_lo, s8, v15
	v_add_co_ci_u32_e32 v16, vcc_lo, s9, v16, vcc_lo
	v_cmp_ge_i32_e32 vcc_lo, v10, v19
	s_clause 0x1
	global_load_b64 v[15:16], v[15:16], off
	global_load_b64 v[32:33], v[32:33], off
	s_or_b32 s2, vcc_lo, s2
	s_waitcnt vmcnt(2)
	v_fma_f64 v[6:7], v[20:21], v[24:25], v[6:7]
	v_fma_f64 v[11:12], v[30:31], v[24:25], v[12:13]
	;; [unrolled: 1-line block ×3, first 2 shown]
	s_delay_alu instid0(VALU_DEP_3) | instskip(SKIP_1) | instid1(VALU_DEP_3)
	v_fma_f64 v[6:7], v[22:23], v[26:27], v[6:7]
	s_waitcnt vmcnt(1)
	v_fma_f64 v[12:13], v[15:16], v[26:27], v[11:12]
	s_waitcnt vmcnt(0)
	s_delay_alu instid0(VALU_DEP_3)
	v_fma_f64 v[8:9], v[32:33], v[26:27], v[8:9]
	s_and_not1_b32 exec_lo, exec_lo, s2
	s_cbranch_execnz .LBB42_15
; %bb.16:
	s_or_b32 exec_lo, exec_lo, s2
.LBB42_17:
	s_delay_alu instid0(SALU_CYCLE_1)
	s_or_b32 exec_lo, exec_lo, s3
.LBB42_18:
	v_mbcnt_lo_u32_b32 v18, -1, 0
	s_delay_alu instid0(VALU_DEP_1) | instskip(NEXT) | instid1(VALU_DEP_1)
	v_xor_b32_e32 v10, 2, v18
	v_cmp_gt_i32_e32 vcc_lo, 32, v10
	v_cndmask_b32_e32 v10, v18, v10, vcc_lo
	s_delay_alu instid0(VALU_DEP_1)
	v_lshlrev_b32_e32 v17, 2, v10
	ds_bpermute_b32 v10, v17, v6
	ds_bpermute_b32 v11, v17, v7
	;; [unrolled: 1-line block ×6, first 2 shown]
	s_waitcnt lgkmcnt(4)
	v_add_f64 v[10:11], v[6:7], v[10:11]
	s_waitcnt lgkmcnt(2)
	v_add_f64 v[6:7], v[12:13], v[14:15]
	;; [unrolled: 2-line block ×3, first 2 shown]
	v_xor_b32_e32 v8, 1, v18
	s_delay_alu instid0(VALU_DEP_1) | instskip(SKIP_2) | instid1(VALU_DEP_2)
	v_cmp_gt_i32_e32 vcc_lo, 32, v8
	v_cndmask_b32_e32 v8, v18, v8, vcc_lo
	v_cmp_eq_u32_e32 vcc_lo, 3, v0
	v_lshlrev_b32_e32 v15, 2, v8
	ds_bpermute_b32 v16, v15, v10
	ds_bpermute_b32 v17, v15, v11
	;; [unrolled: 1-line block ×6, first 2 shown]
	s_and_b32 exec_lo, exec_lo, vcc_lo
	s_cbranch_execz .LBB42_23
; %bb.19:
	s_waitcnt lgkmcnt(4)
	v_add_f64 v[10:11], v[10:11], v[16:17]
	s_waitcnt lgkmcnt(2)
	v_add_f64 v[8:9], v[6:7], v[8:9]
	;; [unrolled: 2-line block ×3, first 2 shown]
	s_load_b64 s[0:1], s[0:1], 0x38
	s_mov_b32 s2, exec_lo
	v_cmpx_eq_f64_e32 0, v[3:4]
	s_xor_b32 s2, exec_lo, s2
	s_cbranch_execz .LBB42_21
; %bb.20:
	s_delay_alu instid0(VALU_DEP_4) | instskip(NEXT) | instid1(VALU_DEP_4)
	v_mul_f64 v[10:11], v[1:2], v[10:11]
	v_mul_f64 v[12:13], v[1:2], v[8:9]
	s_delay_alu instid0(VALU_DEP_4) | instskip(SKIP_1) | instid1(VALU_DEP_1)
	v_mul_f64 v[0:1], v[1:2], v[6:7]
	v_lshl_add_u32 v2, v5, 1, v5
                                        ; implicit-def: $vgpr5
                                        ; implicit-def: $vgpr8_vgpr9
                                        ; implicit-def: $vgpr6_vgpr7
	v_ashrrev_i32_e32 v3, 31, v2
	s_delay_alu instid0(VALU_DEP_1) | instskip(SKIP_1) | instid1(VALU_DEP_1)
	v_lshlrev_b64 v[2:3], 3, v[2:3]
	s_waitcnt lgkmcnt(0)
	v_add_co_u32 v2, vcc_lo, s0, v2
	s_delay_alu instid0(VALU_DEP_2)
	v_add_co_ci_u32_e32 v3, vcc_lo, s1, v3, vcc_lo
	s_clause 0x1
	global_store_b128 v[2:3], v[10:13], off
	global_store_b64 v[2:3], v[0:1], off offset:16
                                        ; implicit-def: $vgpr1_vgpr2
                                        ; implicit-def: $vgpr10_vgpr11
                                        ; implicit-def: $vgpr3_vgpr4
.LBB42_21:
	s_and_not1_saveexec_b32 s2, s2
	s_cbranch_execz .LBB42_23
; %bb.22:
	v_lshl_add_u32 v12, v5, 1, v5
	v_mul_f64 v[10:11], v[1:2], v[10:11]
	v_mul_f64 v[8:9], v[1:2], v[8:9]
	v_mul_f64 v[0:1], v[1:2], v[6:7]
	s_delay_alu instid0(VALU_DEP_4) | instskip(NEXT) | instid1(VALU_DEP_1)
	v_ashrrev_i32_e32 v13, 31, v12
	v_lshlrev_b64 v[12:13], 3, v[12:13]
	s_waitcnt lgkmcnt(0)
	s_delay_alu instid0(VALU_DEP_1) | instskip(NEXT) | instid1(VALU_DEP_2)
	v_add_co_u32 v16, vcc_lo, s0, v12
	v_add_co_ci_u32_e32 v17, vcc_lo, s1, v13, vcc_lo
	s_clause 0x1
	global_load_b128 v[12:15], v[16:17], off
	global_load_b64 v[18:19], v[16:17], off offset:16
	s_waitcnt vmcnt(1)
	v_fma_f64 v[5:6], v[3:4], v[12:13], v[10:11]
	v_fma_f64 v[7:8], v[3:4], v[14:15], v[8:9]
	s_waitcnt vmcnt(0)
	v_fma_f64 v[0:1], v[3:4], v[18:19], v[0:1]
	s_clause 0x1
	global_store_b128 v[16:17], v[5:8], off
	global_store_b64 v[16:17], v[0:1], off offset:16
.LBB42_23:
	s_nop 0
	s_sendmsg sendmsg(MSG_DEALLOC_VGPRS)
	s_endpgm
	.section	.rodata,"a",@progbits
	.p2align	6, 0x0
	.amdhsa_kernel _ZN9rocsparseL19gebsrmvn_3xn_kernelILj128ELj2ELj4EdEEvi20rocsparse_direction_NS_24const_host_device_scalarIT2_EEPKiS6_PKS3_S8_S4_PS3_21rocsparse_index_base_b
		.amdhsa_group_segment_fixed_size 0
		.amdhsa_private_segment_fixed_size 0
		.amdhsa_kernarg_size 72
		.amdhsa_user_sgpr_count 15
		.amdhsa_user_sgpr_dispatch_ptr 0
		.amdhsa_user_sgpr_queue_ptr 0
		.amdhsa_user_sgpr_kernarg_segment_ptr 1
		.amdhsa_user_sgpr_dispatch_id 0
		.amdhsa_user_sgpr_private_segment_size 0
		.amdhsa_wavefront_size32 1
		.amdhsa_uses_dynamic_stack 0
		.amdhsa_enable_private_segment 0
		.amdhsa_system_sgpr_workgroup_id_x 1
		.amdhsa_system_sgpr_workgroup_id_y 0
		.amdhsa_system_sgpr_workgroup_id_z 0
		.amdhsa_system_sgpr_workgroup_info 0
		.amdhsa_system_vgpr_workitem_id 0
		.amdhsa_next_free_vgpr 36
		.amdhsa_next_free_sgpr 16
		.amdhsa_reserve_vcc 1
		.amdhsa_float_round_mode_32 0
		.amdhsa_float_round_mode_16_64 0
		.amdhsa_float_denorm_mode_32 3
		.amdhsa_float_denorm_mode_16_64 3
		.amdhsa_dx10_clamp 1
		.amdhsa_ieee_mode 1
		.amdhsa_fp16_overflow 0
		.amdhsa_workgroup_processor_mode 1
		.amdhsa_memory_ordered 1
		.amdhsa_forward_progress 0
		.amdhsa_shared_vgpr_count 0
		.amdhsa_exception_fp_ieee_invalid_op 0
		.amdhsa_exception_fp_denorm_src 0
		.amdhsa_exception_fp_ieee_div_zero 0
		.amdhsa_exception_fp_ieee_overflow 0
		.amdhsa_exception_fp_ieee_underflow 0
		.amdhsa_exception_fp_ieee_inexact 0
		.amdhsa_exception_int_div_zero 0
	.end_amdhsa_kernel
	.section	.text._ZN9rocsparseL19gebsrmvn_3xn_kernelILj128ELj2ELj4EdEEvi20rocsparse_direction_NS_24const_host_device_scalarIT2_EEPKiS6_PKS3_S8_S4_PS3_21rocsparse_index_base_b,"axG",@progbits,_ZN9rocsparseL19gebsrmvn_3xn_kernelILj128ELj2ELj4EdEEvi20rocsparse_direction_NS_24const_host_device_scalarIT2_EEPKiS6_PKS3_S8_S4_PS3_21rocsparse_index_base_b,comdat
.Lfunc_end42:
	.size	_ZN9rocsparseL19gebsrmvn_3xn_kernelILj128ELj2ELj4EdEEvi20rocsparse_direction_NS_24const_host_device_scalarIT2_EEPKiS6_PKS3_S8_S4_PS3_21rocsparse_index_base_b, .Lfunc_end42-_ZN9rocsparseL19gebsrmvn_3xn_kernelILj128ELj2ELj4EdEEvi20rocsparse_direction_NS_24const_host_device_scalarIT2_EEPKiS6_PKS3_S8_S4_PS3_21rocsparse_index_base_b
                                        ; -- End function
	.section	.AMDGPU.csdata,"",@progbits
; Kernel info:
; codeLenInByte = 1732
; NumSgprs: 18
; NumVgprs: 36
; ScratchSize: 0
; MemoryBound: 0
; FloatMode: 240
; IeeeMode: 1
; LDSByteSize: 0 bytes/workgroup (compile time only)
; SGPRBlocks: 2
; VGPRBlocks: 4
; NumSGPRsForWavesPerEU: 18
; NumVGPRsForWavesPerEU: 36
; Occupancy: 16
; WaveLimiterHint : 1
; COMPUTE_PGM_RSRC2:SCRATCH_EN: 0
; COMPUTE_PGM_RSRC2:USER_SGPR: 15
; COMPUTE_PGM_RSRC2:TRAP_HANDLER: 0
; COMPUTE_PGM_RSRC2:TGID_X_EN: 1
; COMPUTE_PGM_RSRC2:TGID_Y_EN: 0
; COMPUTE_PGM_RSRC2:TGID_Z_EN: 0
; COMPUTE_PGM_RSRC2:TIDIG_COMP_CNT: 0
	.section	.text._ZN9rocsparseL19gebsrmvn_3xn_kernelILj128ELj2ELj8EdEEvi20rocsparse_direction_NS_24const_host_device_scalarIT2_EEPKiS6_PKS3_S8_S4_PS3_21rocsparse_index_base_b,"axG",@progbits,_ZN9rocsparseL19gebsrmvn_3xn_kernelILj128ELj2ELj8EdEEvi20rocsparse_direction_NS_24const_host_device_scalarIT2_EEPKiS6_PKS3_S8_S4_PS3_21rocsparse_index_base_b,comdat
	.globl	_ZN9rocsparseL19gebsrmvn_3xn_kernelILj128ELj2ELj8EdEEvi20rocsparse_direction_NS_24const_host_device_scalarIT2_EEPKiS6_PKS3_S8_S4_PS3_21rocsparse_index_base_b ; -- Begin function _ZN9rocsparseL19gebsrmvn_3xn_kernelILj128ELj2ELj8EdEEvi20rocsparse_direction_NS_24const_host_device_scalarIT2_EEPKiS6_PKS3_S8_S4_PS3_21rocsparse_index_base_b
	.p2align	8
	.type	_ZN9rocsparseL19gebsrmvn_3xn_kernelILj128ELj2ELj8EdEEvi20rocsparse_direction_NS_24const_host_device_scalarIT2_EEPKiS6_PKS3_S8_S4_PS3_21rocsparse_index_base_b,@function
_ZN9rocsparseL19gebsrmvn_3xn_kernelILj128ELj2ELj8EdEEvi20rocsparse_direction_NS_24const_host_device_scalarIT2_EEPKiS6_PKS3_S8_S4_PS3_21rocsparse_index_base_b: ; @_ZN9rocsparseL19gebsrmvn_3xn_kernelILj128ELj2ELj8EdEEvi20rocsparse_direction_NS_24const_host_device_scalarIT2_EEPKiS6_PKS3_S8_S4_PS3_21rocsparse_index_base_b
; %bb.0:
	s_clause 0x2
	s_load_b64 s[12:13], s[0:1], 0x40
	s_load_b64 s[4:5], s[0:1], 0x8
	;; [unrolled: 1-line block ×3, first 2 shown]
	s_waitcnt lgkmcnt(0)
	s_bitcmp1_b32 s13, 0
	v_dual_mov_b32 v1, s4 :: v_dual_mov_b32 v2, s5
	s_cselect_b32 s6, -1, 0
	s_delay_alu instid0(SALU_CYCLE_1)
	s_and_b32 vcc_lo, exec_lo, s6
	s_xor_b32 s6, s6, -1
	s_cbranch_vccnz .LBB43_2
; %bb.1:
	v_dual_mov_b32 v1, s4 :: v_dual_mov_b32 v2, s5
	flat_load_b64 v[1:2], v[1:2]
.LBB43_2:
	v_dual_mov_b32 v4, s3 :: v_dual_mov_b32 v3, s2
	s_and_not1_b32 vcc_lo, exec_lo, s6
	s_cbranch_vccnz .LBB43_4
; %bb.3:
	v_dual_mov_b32 v4, s3 :: v_dual_mov_b32 v3, s2
	flat_load_b64 v[3:4], v[3:4]
.LBB43_4:
	s_waitcnt vmcnt(0) lgkmcnt(0)
	v_cmp_neq_f64_e32 vcc_lo, 0, v[1:2]
	v_cmp_neq_f64_e64 s2, 1.0, v[3:4]
	s_delay_alu instid0(VALU_DEP_1) | instskip(NEXT) | instid1(SALU_CYCLE_1)
	s_or_b32 s2, vcc_lo, s2
	s_and_saveexec_b32 s3, s2
	s_cbranch_execz .LBB43_23
; %bb.5:
	s_load_b64 s[2:3], s[0:1], 0x0
	v_lshrrev_b32_e32 v5, 3, v0
	s_delay_alu instid0(VALU_DEP_1) | instskip(SKIP_1) | instid1(VALU_DEP_1)
	v_lshl_or_b32 v5, s15, 4, v5
	s_waitcnt lgkmcnt(0)
	v_cmp_gt_i32_e32 vcc_lo, s2, v5
	s_and_b32 exec_lo, exec_lo, vcc_lo
	s_cbranch_execz .LBB43_23
; %bb.6:
	s_load_b256 s[4:11], s[0:1], 0x10
	v_ashrrev_i32_e32 v6, 31, v5
	v_and_b32_e32 v0, 7, v0
	s_cmp_lg_u32 s3, 0
	s_delay_alu instid0(VALU_DEP_2) | instskip(SKIP_1) | instid1(VALU_DEP_1)
	v_lshlrev_b64 v[6:7], 2, v[5:6]
	s_waitcnt lgkmcnt(0)
	v_add_co_u32 v6, vcc_lo, s4, v6
	s_delay_alu instid0(VALU_DEP_2) | instskip(SKIP_4) | instid1(VALU_DEP_2)
	v_add_co_ci_u32_e32 v7, vcc_lo, s5, v7, vcc_lo
	global_load_b64 v[6:7], v[6:7], off
	s_waitcnt vmcnt(0)
	v_subrev_nc_u32_e32 v6, s12, v6
	v_subrev_nc_u32_e32 v18, s12, v7
	v_add_nc_u32_e32 v12, v6, v0
	s_delay_alu instid0(VALU_DEP_1)
	v_cmp_lt_i32_e64 s2, v12, v18
	s_cbranch_scc0 .LBB43_12
; %bb.7:
	v_mov_b32_e32 v6, 0
	v_mov_b32_e32 v7, 0
	s_delay_alu instid0(VALU_DEP_1)
	v_dual_mov_b32 v9, v7 :: v_dual_mov_b32 v8, v6
	v_dual_mov_b32 v11, v7 :: v_dual_mov_b32 v10, v6
	s_and_saveexec_b32 s3, s2
	s_cbranch_execz .LBB43_11
; %bb.8:
	v_dual_mov_b32 v6, 0 :: v_dual_mov_b32 v15, 0
	v_dual_mov_b32 v7, 0 :: v_dual_mov_b32 v16, v12
	v_mad_u64_u32 v[13:14], null, v12, 6, 5
	s_mov_b32 s4, 0
	s_delay_alu instid0(VALU_DEP_2)
	v_dual_mov_b32 v9, v7 :: v_dual_mov_b32 v8, v6
	v_dual_mov_b32 v11, v7 :: v_dual_mov_b32 v10, v6
.LBB43_9:                               ; =>This Inner Loop Header: Depth=1
	v_ashrrev_i32_e32 v17, 31, v16
	s_delay_alu instid0(VALU_DEP_4) | instskip(NEXT) | instid1(VALU_DEP_2)
	v_add_nc_u32_e32 v14, -5, v13
	v_lshlrev_b64 v[19:20], 2, v[16:17]
	s_delay_alu instid0(VALU_DEP_2) | instskip(SKIP_2) | instid1(VALU_DEP_4)
	v_lshlrev_b64 v[21:22], 3, v[14:15]
	v_add_nc_u32_e32 v14, -3, v13
	v_add_nc_u32_e32 v16, 8, v16
	v_add_co_u32 v19, vcc_lo, s6, v19
	v_add_co_ci_u32_e32 v20, vcc_lo, s7, v20, vcc_lo
	s_delay_alu instid0(VALU_DEP_4)
	v_lshlrev_b64 v[23:24], 3, v[14:15]
	v_add_co_u32 v21, vcc_lo, s8, v21
	global_load_b32 v17, v[19:20], off
	v_add_co_ci_u32_e32 v22, vcc_lo, s9, v22, vcc_lo
	v_add_co_u32 v23, vcc_lo, s8, v23
	v_add_co_ci_u32_e32 v24, vcc_lo, s9, v24, vcc_lo
	s_waitcnt vmcnt(0)
	v_subrev_nc_u32_e32 v14, s12, v17
	s_delay_alu instid0(VALU_DEP_1) | instskip(SKIP_1) | instid1(VALU_DEP_2)
	v_dual_mov_b32 v20, v15 :: v_dual_lshlrev_b32 v19, 1, v14
	v_mov_b32_e32 v14, v15
	v_lshlrev_b64 v[19:20], 3, v[19:20]
	s_delay_alu instid0(VALU_DEP_2) | instskip(SKIP_1) | instid1(VALU_DEP_3)
	v_lshlrev_b64 v[29:30], 3, v[13:14]
	v_add_nc_u32_e32 v14, -2, v13
	v_add_co_u32 v25, vcc_lo, s10, v19
	s_delay_alu instid0(VALU_DEP_4) | instskip(NEXT) | instid1(VALU_DEP_3)
	v_add_co_ci_u32_e32 v26, vcc_lo, s11, v20, vcc_lo
	v_lshlrev_b64 v[31:32], 3, v[14:15]
	s_clause 0x1
	global_load_b128 v[19:22], v[21:22], off
	global_load_b64 v[27:28], v[23:24], off
	global_load_b128 v[23:26], v[25:26], off
	v_add_nc_u32_e32 v14, -1, v13
	v_add_nc_u32_e32 v13, 48, v13
	v_add_co_u32 v29, vcc_lo, s8, v29
	v_add_co_ci_u32_e32 v30, vcc_lo, s9, v30, vcc_lo
	s_delay_alu instid0(VALU_DEP_4) | instskip(SKIP_2) | instid1(VALU_DEP_3)
	v_lshlrev_b64 v[33:34], 3, v[14:15]
	v_add_co_u32 v31, vcc_lo, s8, v31
	v_add_co_ci_u32_e32 v32, vcc_lo, s9, v32, vcc_lo
	v_add_co_u32 v33, vcc_lo, s8, v33
	s_delay_alu instid0(VALU_DEP_4)
	v_add_co_ci_u32_e32 v34, vcc_lo, s9, v34, vcc_lo
	s_clause 0x2
	global_load_b64 v[31:32], v[31:32], off
	global_load_b64 v[33:34], v[33:34], off
	;; [unrolled: 1-line block ×3, first 2 shown]
	v_cmp_ge_i32_e32 vcc_lo, v16, v18
	s_or_b32 s4, vcc_lo, s4
	s_waitcnt vmcnt(3)
	v_fma_f64 v[6:7], v[19:20], v[23:24], v[6:7]
	v_fma_f64 v[10:11], v[21:22], v[23:24], v[10:11]
	;; [unrolled: 1-line block ×3, first 2 shown]
	s_waitcnt vmcnt(2)
	s_delay_alu instid0(VALU_DEP_3) | instskip(SKIP_1) | instid1(VALU_DEP_3)
	v_fma_f64 v[6:7], v[31:32], v[25:26], v[6:7]
	s_waitcnt vmcnt(1)
	v_fma_f64 v[10:11], v[33:34], v[25:26], v[10:11]
	s_waitcnt vmcnt(0)
	s_delay_alu instid0(VALU_DEP_3)
	v_fma_f64 v[8:9], v[29:30], v[25:26], v[8:9]
	s_and_not1_b32 exec_lo, exec_lo, s4
	s_cbranch_execnz .LBB43_9
; %bb.10:
	s_or_b32 exec_lo, exec_lo, s4
.LBB43_11:
	s_delay_alu instid0(SALU_CYCLE_1)
	s_or_b32 exec_lo, exec_lo, s3
	s_cbranch_execz .LBB43_13
	s_branch .LBB43_18
.LBB43_12:
                                        ; implicit-def: $vgpr6_vgpr7
                                        ; implicit-def: $vgpr8_vgpr9
                                        ; implicit-def: $vgpr10_vgpr11
.LBB43_13:
	v_mov_b32_e32 v6, 0
	v_mov_b32_e32 v7, 0
	s_delay_alu instid0(VALU_DEP_1)
	v_dual_mov_b32 v9, v7 :: v_dual_mov_b32 v8, v6
	v_dual_mov_b32 v11, v7 :: v_dual_mov_b32 v10, v6
	s_and_saveexec_b32 s3, s2
	s_cbranch_execz .LBB43_17
; %bb.14:
	v_dual_mov_b32 v6, 0 :: v_dual_mov_b32 v17, 0
	v_mov_b32_e32 v7, 0
	v_mad_u64_u32 v[14:15], null, v12, 6, 5
	s_mov_b32 s2, 0
	s_delay_alu instid0(VALU_DEP_2)
	v_dual_mov_b32 v9, v7 :: v_dual_mov_b32 v8, v6
	v_dual_mov_b32 v11, v7 :: v_dual_mov_b32 v10, v6
.LBB43_15:                              ; =>This Inner Loop Header: Depth=1
	v_ashrrev_i32_e32 v13, 31, v12
	s_delay_alu instid0(VALU_DEP_4) | instskip(SKIP_1) | instid1(VALU_DEP_3)
	v_dual_mov_b32 v24, v17 :: v_dual_add_nc_u32 v19, -3, v14
	v_dual_mov_b32 v20, v17 :: v_dual_add_nc_u32 v21, -1, v14
	v_lshlrev_b64 v[15:16], 2, v[12:13]
	v_add_nc_u32_e32 v12, 8, v12
	s_delay_alu instid0(VALU_DEP_3) | instskip(NEXT) | instid1(VALU_DEP_3)
	v_lshlrev_b64 v[19:20], 3, v[19:20]
	v_add_co_u32 v15, vcc_lo, s6, v15
	s_delay_alu instid0(VALU_DEP_4) | instskip(SKIP_2) | instid1(VALU_DEP_1)
	v_add_co_ci_u32_e32 v16, vcc_lo, s7, v16, vcc_lo
	global_load_b32 v13, v[15:16], off
	v_add_nc_u32_e32 v16, -5, v14
	v_lshlrev_b64 v[15:16], 3, v[16:17]
	s_delay_alu instid0(VALU_DEP_1) | instskip(NEXT) | instid1(VALU_DEP_2)
	v_add_co_u32 v15, vcc_lo, s8, v15
	v_add_co_ci_u32_e32 v16, vcc_lo, s9, v16, vcc_lo
	v_add_co_u32 v25, vcc_lo, s8, v19
	v_add_co_ci_u32_e32 v26, vcc_lo, s9, v20, vcc_lo
	s_waitcnt vmcnt(0)
	v_subrev_nc_u32_e32 v13, s12, v13
	s_delay_alu instid0(VALU_DEP_1) | instskip(NEXT) | instid1(VALU_DEP_1)
	v_dual_mov_b32 v22, v17 :: v_dual_lshlrev_b32 v23, 1, v13
	v_lshlrev_b64 v[21:22], 3, v[21:22]
	s_delay_alu instid0(VALU_DEP_1) | instskip(NEXT) | instid1(VALU_DEP_2)
	v_add_co_u32 v27, vcc_lo, s8, v21
	v_add_co_ci_u32_e32 v28, vcc_lo, s9, v22, vcc_lo
	global_load_b128 v[19:22], v[15:16], off
	v_lshlrev_b64 v[15:16], 3, v[23:24]
	s_delay_alu instid0(VALU_DEP_1) | instskip(NEXT) | instid1(VALU_DEP_2)
	v_add_co_u32 v15, vcc_lo, s10, v15
	v_add_co_ci_u32_e32 v16, vcc_lo, s11, v16, vcc_lo
	s_clause 0x1
	global_load_b64 v[29:30], v[25:26], off
	global_load_b64 v[27:28], v[27:28], off
	global_load_b128 v[23:26], v[15:16], off
	v_dual_mov_b32 v15, v17 :: v_dual_add_nc_u32 v16, -2, v14
	s_delay_alu instid0(VALU_DEP_1) | instskip(NEXT) | instid1(VALU_DEP_2)
	v_lshlrev_b64 v[31:32], 3, v[14:15]
	v_lshlrev_b64 v[15:16], 3, v[16:17]
	v_add_nc_u32_e32 v14, 48, v14
	s_delay_alu instid0(VALU_DEP_3) | instskip(NEXT) | instid1(VALU_DEP_4)
	v_add_co_u32 v31, vcc_lo, s8, v31
	v_add_co_ci_u32_e32 v32, vcc_lo, s9, v32, vcc_lo
	s_delay_alu instid0(VALU_DEP_4)
	v_add_co_u32 v15, vcc_lo, s8, v15
	v_add_co_ci_u32_e32 v16, vcc_lo, s9, v16, vcc_lo
	s_clause 0x1
	global_load_b64 v[15:16], v[15:16], off
	global_load_b64 v[31:32], v[31:32], off
	v_cmp_ge_i32_e32 vcc_lo, v12, v18
	s_or_b32 s2, vcc_lo, s2
	s_waitcnt vmcnt(2)
	v_fma_f64 v[6:7], v[19:20], v[23:24], v[6:7]
	v_fma_f64 v[10:11], v[29:30], v[23:24], v[10:11]
	;; [unrolled: 1-line block ×3, first 2 shown]
	s_delay_alu instid0(VALU_DEP_3) | instskip(SKIP_1) | instid1(VALU_DEP_3)
	v_fma_f64 v[6:7], v[21:22], v[25:26], v[6:7]
	s_waitcnt vmcnt(1)
	v_fma_f64 v[10:11], v[15:16], v[25:26], v[10:11]
	s_waitcnt vmcnt(0)
	s_delay_alu instid0(VALU_DEP_3)
	v_fma_f64 v[8:9], v[31:32], v[25:26], v[8:9]
	s_and_not1_b32 exec_lo, exec_lo, s2
	s_cbranch_execnz .LBB43_15
; %bb.16:
	s_or_b32 exec_lo, exec_lo, s2
.LBB43_17:
	s_delay_alu instid0(SALU_CYCLE_1)
	s_or_b32 exec_lo, exec_lo, s3
.LBB43_18:
	v_mbcnt_lo_u32_b32 v18, -1, 0
	s_delay_alu instid0(VALU_DEP_1) | instskip(NEXT) | instid1(VALU_DEP_1)
	v_xor_b32_e32 v12, 4, v18
	v_cmp_gt_i32_e32 vcc_lo, 32, v12
	v_cndmask_b32_e32 v12, v18, v12, vcc_lo
	s_delay_alu instid0(VALU_DEP_1)
	v_lshlrev_b32_e32 v17, 2, v12
	ds_bpermute_b32 v12, v17, v6
	ds_bpermute_b32 v13, v17, v7
	;; [unrolled: 1-line block ×6, first 2 shown]
	s_waitcnt lgkmcnt(4)
	v_add_f64 v[6:7], v[6:7], v[12:13]
	s_waitcnt lgkmcnt(2)
	v_add_f64 v[10:11], v[10:11], v[14:15]
	;; [unrolled: 2-line block ×3, first 2 shown]
	v_xor_b32_e32 v8, 2, v18
	s_delay_alu instid0(VALU_DEP_1) | instskip(SKIP_1) | instid1(VALU_DEP_1)
	v_cmp_gt_i32_e32 vcc_lo, 32, v8
	v_cndmask_b32_e32 v8, v18, v8, vcc_lo
	v_lshlrev_b32_e32 v17, 2, v8
	ds_bpermute_b32 v8, v17, v6
	ds_bpermute_b32 v9, v17, v7
	;; [unrolled: 1-line block ×6, first 2 shown]
	s_waitcnt lgkmcnt(4)
	v_add_f64 v[8:9], v[6:7], v[8:9]
	s_waitcnt lgkmcnt(2)
	v_add_f64 v[6:7], v[10:11], v[14:15]
	v_xor_b32_e32 v10, 1, v18
	s_waitcnt lgkmcnt(0)
	v_add_f64 v[12:13], v[12:13], v[16:17]
	s_delay_alu instid0(VALU_DEP_2) | instskip(SKIP_2) | instid1(VALU_DEP_2)
	v_cmp_gt_i32_e32 vcc_lo, 32, v10
	v_cndmask_b32_e32 v10, v18, v10, vcc_lo
	v_cmp_eq_u32_e32 vcc_lo, 7, v0
	v_lshlrev_b32_e32 v15, 2, v10
	ds_bpermute_b32 v10, v15, v8
	ds_bpermute_b32 v11, v15, v9
	ds_bpermute_b32 v16, v15, v6
	ds_bpermute_b32 v17, v15, v7
	ds_bpermute_b32 v14, v15, v12
	ds_bpermute_b32 v15, v15, v13
	s_and_b32 exec_lo, exec_lo, vcc_lo
	s_cbranch_execz .LBB43_23
; %bb.19:
	s_waitcnt lgkmcnt(4)
	v_add_f64 v[10:11], v[8:9], v[10:11]
	s_waitcnt lgkmcnt(2)
	v_add_f64 v[8:9], v[6:7], v[16:17]
	;; [unrolled: 2-line block ×3, first 2 shown]
	s_load_b64 s[0:1], s[0:1], 0x38
	s_mov_b32 s2, exec_lo
	v_cmpx_eq_f64_e32 0, v[3:4]
	s_xor_b32 s2, exec_lo, s2
	s_cbranch_execz .LBB43_21
; %bb.20:
	s_delay_alu instid0(VALU_DEP_4) | instskip(NEXT) | instid1(VALU_DEP_4)
	v_mul_f64 v[10:11], v[1:2], v[10:11]
	v_mul_f64 v[12:13], v[1:2], v[8:9]
	s_delay_alu instid0(VALU_DEP_4) | instskip(SKIP_1) | instid1(VALU_DEP_1)
	v_mul_f64 v[0:1], v[1:2], v[6:7]
	v_lshl_add_u32 v2, v5, 1, v5
                                        ; implicit-def: $vgpr5
                                        ; implicit-def: $vgpr8_vgpr9
                                        ; implicit-def: $vgpr6_vgpr7
	v_ashrrev_i32_e32 v3, 31, v2
	s_delay_alu instid0(VALU_DEP_1) | instskip(SKIP_1) | instid1(VALU_DEP_1)
	v_lshlrev_b64 v[2:3], 3, v[2:3]
	s_waitcnt lgkmcnt(0)
	v_add_co_u32 v2, vcc_lo, s0, v2
	s_delay_alu instid0(VALU_DEP_2)
	v_add_co_ci_u32_e32 v3, vcc_lo, s1, v3, vcc_lo
	s_clause 0x1
	global_store_b128 v[2:3], v[10:13], off
	global_store_b64 v[2:3], v[0:1], off offset:16
                                        ; implicit-def: $vgpr1_vgpr2
                                        ; implicit-def: $vgpr10_vgpr11
                                        ; implicit-def: $vgpr3_vgpr4
.LBB43_21:
	s_and_not1_saveexec_b32 s2, s2
	s_cbranch_execz .LBB43_23
; %bb.22:
	v_lshl_add_u32 v12, v5, 1, v5
	v_mul_f64 v[10:11], v[1:2], v[10:11]
	v_mul_f64 v[8:9], v[1:2], v[8:9]
	;; [unrolled: 1-line block ×3, first 2 shown]
	s_delay_alu instid0(VALU_DEP_4) | instskip(NEXT) | instid1(VALU_DEP_1)
	v_ashrrev_i32_e32 v13, 31, v12
	v_lshlrev_b64 v[12:13], 3, v[12:13]
	s_waitcnt lgkmcnt(0)
	s_delay_alu instid0(VALU_DEP_1) | instskip(NEXT) | instid1(VALU_DEP_2)
	v_add_co_u32 v16, vcc_lo, s0, v12
	v_add_co_ci_u32_e32 v17, vcc_lo, s1, v13, vcc_lo
	s_clause 0x1
	global_load_b128 v[12:15], v[16:17], off
	global_load_b64 v[18:19], v[16:17], off offset:16
	s_waitcnt vmcnt(1)
	v_fma_f64 v[5:6], v[3:4], v[12:13], v[10:11]
	v_fma_f64 v[7:8], v[3:4], v[14:15], v[8:9]
	s_waitcnt vmcnt(0)
	v_fma_f64 v[0:1], v[3:4], v[18:19], v[0:1]
	s_clause 0x1
	global_store_b128 v[16:17], v[5:8], off
	global_store_b64 v[16:17], v[0:1], off offset:16
.LBB43_23:
	s_nop 0
	s_sendmsg sendmsg(MSG_DEALLOC_VGPRS)
	s_endpgm
	.section	.rodata,"a",@progbits
	.p2align	6, 0x0
	.amdhsa_kernel _ZN9rocsparseL19gebsrmvn_3xn_kernelILj128ELj2ELj8EdEEvi20rocsparse_direction_NS_24const_host_device_scalarIT2_EEPKiS6_PKS3_S8_S4_PS3_21rocsparse_index_base_b
		.amdhsa_group_segment_fixed_size 0
		.amdhsa_private_segment_fixed_size 0
		.amdhsa_kernarg_size 72
		.amdhsa_user_sgpr_count 15
		.amdhsa_user_sgpr_dispatch_ptr 0
		.amdhsa_user_sgpr_queue_ptr 0
		.amdhsa_user_sgpr_kernarg_segment_ptr 1
		.amdhsa_user_sgpr_dispatch_id 0
		.amdhsa_user_sgpr_private_segment_size 0
		.amdhsa_wavefront_size32 1
		.amdhsa_uses_dynamic_stack 0
		.amdhsa_enable_private_segment 0
		.amdhsa_system_sgpr_workgroup_id_x 1
		.amdhsa_system_sgpr_workgroup_id_y 0
		.amdhsa_system_sgpr_workgroup_id_z 0
		.amdhsa_system_sgpr_workgroup_info 0
		.amdhsa_system_vgpr_workitem_id 0
		.amdhsa_next_free_vgpr 35
		.amdhsa_next_free_sgpr 16
		.amdhsa_reserve_vcc 1
		.amdhsa_float_round_mode_32 0
		.amdhsa_float_round_mode_16_64 0
		.amdhsa_float_denorm_mode_32 3
		.amdhsa_float_denorm_mode_16_64 3
		.amdhsa_dx10_clamp 1
		.amdhsa_ieee_mode 1
		.amdhsa_fp16_overflow 0
		.amdhsa_workgroup_processor_mode 1
		.amdhsa_memory_ordered 1
		.amdhsa_forward_progress 0
		.amdhsa_shared_vgpr_count 0
		.amdhsa_exception_fp_ieee_invalid_op 0
		.amdhsa_exception_fp_denorm_src 0
		.amdhsa_exception_fp_ieee_div_zero 0
		.amdhsa_exception_fp_ieee_overflow 0
		.amdhsa_exception_fp_ieee_underflow 0
		.amdhsa_exception_fp_ieee_inexact 0
		.amdhsa_exception_int_div_zero 0
	.end_amdhsa_kernel
	.section	.text._ZN9rocsparseL19gebsrmvn_3xn_kernelILj128ELj2ELj8EdEEvi20rocsparse_direction_NS_24const_host_device_scalarIT2_EEPKiS6_PKS3_S8_S4_PS3_21rocsparse_index_base_b,"axG",@progbits,_ZN9rocsparseL19gebsrmvn_3xn_kernelILj128ELj2ELj8EdEEvi20rocsparse_direction_NS_24const_host_device_scalarIT2_EEPKiS6_PKS3_S8_S4_PS3_21rocsparse_index_base_b,comdat
.Lfunc_end43:
	.size	_ZN9rocsparseL19gebsrmvn_3xn_kernelILj128ELj2ELj8EdEEvi20rocsparse_direction_NS_24const_host_device_scalarIT2_EEPKiS6_PKS3_S8_S4_PS3_21rocsparse_index_base_b, .Lfunc_end43-_ZN9rocsparseL19gebsrmvn_3xn_kernelILj128ELj2ELj8EdEEvi20rocsparse_direction_NS_24const_host_device_scalarIT2_EEPKiS6_PKS3_S8_S4_PS3_21rocsparse_index_base_b
                                        ; -- End function
	.section	.AMDGPU.csdata,"",@progbits
; Kernel info:
; codeLenInByte = 1844
; NumSgprs: 18
; NumVgprs: 35
; ScratchSize: 0
; MemoryBound: 0
; FloatMode: 240
; IeeeMode: 1
; LDSByteSize: 0 bytes/workgroup (compile time only)
; SGPRBlocks: 2
; VGPRBlocks: 4
; NumSGPRsForWavesPerEU: 18
; NumVGPRsForWavesPerEU: 35
; Occupancy: 16
; WaveLimiterHint : 1
; COMPUTE_PGM_RSRC2:SCRATCH_EN: 0
; COMPUTE_PGM_RSRC2:USER_SGPR: 15
; COMPUTE_PGM_RSRC2:TRAP_HANDLER: 0
; COMPUTE_PGM_RSRC2:TGID_X_EN: 1
; COMPUTE_PGM_RSRC2:TGID_Y_EN: 0
; COMPUTE_PGM_RSRC2:TGID_Z_EN: 0
; COMPUTE_PGM_RSRC2:TIDIG_COMP_CNT: 0
	.section	.text._ZN9rocsparseL19gebsrmvn_3xn_kernelILj128ELj2ELj16EdEEvi20rocsparse_direction_NS_24const_host_device_scalarIT2_EEPKiS6_PKS3_S8_S4_PS3_21rocsparse_index_base_b,"axG",@progbits,_ZN9rocsparseL19gebsrmvn_3xn_kernelILj128ELj2ELj16EdEEvi20rocsparse_direction_NS_24const_host_device_scalarIT2_EEPKiS6_PKS3_S8_S4_PS3_21rocsparse_index_base_b,comdat
	.globl	_ZN9rocsparseL19gebsrmvn_3xn_kernelILj128ELj2ELj16EdEEvi20rocsparse_direction_NS_24const_host_device_scalarIT2_EEPKiS6_PKS3_S8_S4_PS3_21rocsparse_index_base_b ; -- Begin function _ZN9rocsparseL19gebsrmvn_3xn_kernelILj128ELj2ELj16EdEEvi20rocsparse_direction_NS_24const_host_device_scalarIT2_EEPKiS6_PKS3_S8_S4_PS3_21rocsparse_index_base_b
	.p2align	8
	.type	_ZN9rocsparseL19gebsrmvn_3xn_kernelILj128ELj2ELj16EdEEvi20rocsparse_direction_NS_24const_host_device_scalarIT2_EEPKiS6_PKS3_S8_S4_PS3_21rocsparse_index_base_b,@function
_ZN9rocsparseL19gebsrmvn_3xn_kernelILj128ELj2ELj16EdEEvi20rocsparse_direction_NS_24const_host_device_scalarIT2_EEPKiS6_PKS3_S8_S4_PS3_21rocsparse_index_base_b: ; @_ZN9rocsparseL19gebsrmvn_3xn_kernelILj128ELj2ELj16EdEEvi20rocsparse_direction_NS_24const_host_device_scalarIT2_EEPKiS6_PKS3_S8_S4_PS3_21rocsparse_index_base_b
; %bb.0:
	s_clause 0x2
	s_load_b64 s[12:13], s[0:1], 0x40
	s_load_b64 s[4:5], s[0:1], 0x8
	;; [unrolled: 1-line block ×3, first 2 shown]
	s_waitcnt lgkmcnt(0)
	s_bitcmp1_b32 s13, 0
	v_dual_mov_b32 v1, s4 :: v_dual_mov_b32 v2, s5
	s_cselect_b32 s6, -1, 0
	s_delay_alu instid0(SALU_CYCLE_1)
	s_and_b32 vcc_lo, exec_lo, s6
	s_xor_b32 s6, s6, -1
	s_cbranch_vccnz .LBB44_2
; %bb.1:
	v_dual_mov_b32 v1, s4 :: v_dual_mov_b32 v2, s5
	flat_load_b64 v[1:2], v[1:2]
.LBB44_2:
	v_dual_mov_b32 v4, s3 :: v_dual_mov_b32 v3, s2
	s_and_not1_b32 vcc_lo, exec_lo, s6
	s_cbranch_vccnz .LBB44_4
; %bb.3:
	v_dual_mov_b32 v4, s3 :: v_dual_mov_b32 v3, s2
	flat_load_b64 v[3:4], v[3:4]
.LBB44_4:
	s_waitcnt vmcnt(0) lgkmcnt(0)
	v_cmp_neq_f64_e32 vcc_lo, 0, v[1:2]
	v_cmp_neq_f64_e64 s2, 1.0, v[3:4]
	s_delay_alu instid0(VALU_DEP_1) | instskip(NEXT) | instid1(SALU_CYCLE_1)
	s_or_b32 s2, vcc_lo, s2
	s_and_saveexec_b32 s3, s2
	s_cbranch_execz .LBB44_23
; %bb.5:
	s_load_b64 s[2:3], s[0:1], 0x0
	v_lshrrev_b32_e32 v5, 4, v0
	s_delay_alu instid0(VALU_DEP_1) | instskip(SKIP_1) | instid1(VALU_DEP_1)
	v_lshl_or_b32 v5, s15, 3, v5
	s_waitcnt lgkmcnt(0)
	v_cmp_gt_i32_e32 vcc_lo, s2, v5
	s_and_b32 exec_lo, exec_lo, vcc_lo
	s_cbranch_execz .LBB44_23
; %bb.6:
	s_load_b256 s[4:11], s[0:1], 0x10
	v_ashrrev_i32_e32 v6, 31, v5
	v_and_b32_e32 v0, 15, v0
	s_cmp_lg_u32 s3, 0
	s_delay_alu instid0(VALU_DEP_2) | instskip(SKIP_1) | instid1(VALU_DEP_1)
	v_lshlrev_b64 v[6:7], 2, v[5:6]
	s_waitcnt lgkmcnt(0)
	v_add_co_u32 v6, vcc_lo, s4, v6
	s_delay_alu instid0(VALU_DEP_2) | instskip(SKIP_4) | instid1(VALU_DEP_2)
	v_add_co_ci_u32_e32 v7, vcc_lo, s5, v7, vcc_lo
	global_load_b64 v[6:7], v[6:7], off
	s_waitcnt vmcnt(0)
	v_subrev_nc_u32_e32 v6, s12, v6
	v_subrev_nc_u32_e32 v18, s12, v7
	v_add_nc_u32_e32 v12, v6, v0
	s_delay_alu instid0(VALU_DEP_1)
	v_cmp_lt_i32_e64 s2, v12, v18
	s_cbranch_scc0 .LBB44_12
; %bb.7:
	v_mov_b32_e32 v6, 0
	v_mov_b32_e32 v7, 0
	s_delay_alu instid0(VALU_DEP_1)
	v_dual_mov_b32 v9, v7 :: v_dual_mov_b32 v8, v6
	v_dual_mov_b32 v11, v7 :: v_dual_mov_b32 v10, v6
	s_and_saveexec_b32 s3, s2
	s_cbranch_execz .LBB44_11
; %bb.8:
	v_dual_mov_b32 v6, 0 :: v_dual_mov_b32 v15, 0
	v_dual_mov_b32 v7, 0 :: v_dual_mov_b32 v16, v12
	v_mad_u64_u32 v[13:14], null, v12, 6, 5
	s_mov_b32 s4, 0
	s_delay_alu instid0(VALU_DEP_2)
	v_dual_mov_b32 v9, v7 :: v_dual_mov_b32 v8, v6
	v_dual_mov_b32 v11, v7 :: v_dual_mov_b32 v10, v6
.LBB44_9:                               ; =>This Inner Loop Header: Depth=1
	v_ashrrev_i32_e32 v17, 31, v16
	s_delay_alu instid0(VALU_DEP_4) | instskip(NEXT) | instid1(VALU_DEP_2)
	v_add_nc_u32_e32 v14, -5, v13
	v_lshlrev_b64 v[19:20], 2, v[16:17]
	s_delay_alu instid0(VALU_DEP_2) | instskip(SKIP_2) | instid1(VALU_DEP_4)
	v_lshlrev_b64 v[21:22], 3, v[14:15]
	v_add_nc_u32_e32 v14, -3, v13
	v_add_nc_u32_e32 v16, 16, v16
	v_add_co_u32 v19, vcc_lo, s6, v19
	v_add_co_ci_u32_e32 v20, vcc_lo, s7, v20, vcc_lo
	s_delay_alu instid0(VALU_DEP_4)
	v_lshlrev_b64 v[23:24], 3, v[14:15]
	v_add_co_u32 v21, vcc_lo, s8, v21
	global_load_b32 v17, v[19:20], off
	v_add_co_ci_u32_e32 v22, vcc_lo, s9, v22, vcc_lo
	v_add_co_u32 v23, vcc_lo, s8, v23
	v_add_co_ci_u32_e32 v24, vcc_lo, s9, v24, vcc_lo
	s_waitcnt vmcnt(0)
	v_subrev_nc_u32_e32 v14, s12, v17
	s_delay_alu instid0(VALU_DEP_1) | instskip(SKIP_1) | instid1(VALU_DEP_2)
	v_dual_mov_b32 v20, v15 :: v_dual_lshlrev_b32 v19, 1, v14
	v_mov_b32_e32 v14, v15
	v_lshlrev_b64 v[19:20], 3, v[19:20]
	s_delay_alu instid0(VALU_DEP_2) | instskip(SKIP_1) | instid1(VALU_DEP_3)
	v_lshlrev_b64 v[29:30], 3, v[13:14]
	v_add_nc_u32_e32 v14, -2, v13
	v_add_co_u32 v25, vcc_lo, s10, v19
	s_delay_alu instid0(VALU_DEP_4) | instskip(NEXT) | instid1(VALU_DEP_3)
	v_add_co_ci_u32_e32 v26, vcc_lo, s11, v20, vcc_lo
	v_lshlrev_b64 v[31:32], 3, v[14:15]
	s_clause 0x1
	global_load_b128 v[19:22], v[21:22], off
	global_load_b64 v[27:28], v[23:24], off
	global_load_b128 v[23:26], v[25:26], off
	v_add_nc_u32_e32 v14, -1, v13
	v_add_nc_u32_e32 v13, 0x60, v13
	v_add_co_u32 v29, vcc_lo, s8, v29
	v_add_co_ci_u32_e32 v30, vcc_lo, s9, v30, vcc_lo
	s_delay_alu instid0(VALU_DEP_4) | instskip(SKIP_2) | instid1(VALU_DEP_3)
	v_lshlrev_b64 v[33:34], 3, v[14:15]
	v_add_co_u32 v31, vcc_lo, s8, v31
	v_add_co_ci_u32_e32 v32, vcc_lo, s9, v32, vcc_lo
	v_add_co_u32 v33, vcc_lo, s8, v33
	s_delay_alu instid0(VALU_DEP_4)
	v_add_co_ci_u32_e32 v34, vcc_lo, s9, v34, vcc_lo
	s_clause 0x2
	global_load_b64 v[31:32], v[31:32], off
	global_load_b64 v[33:34], v[33:34], off
	;; [unrolled: 1-line block ×3, first 2 shown]
	v_cmp_ge_i32_e32 vcc_lo, v16, v18
	s_or_b32 s4, vcc_lo, s4
	s_waitcnt vmcnt(3)
	v_fma_f64 v[6:7], v[19:20], v[23:24], v[6:7]
	v_fma_f64 v[10:11], v[21:22], v[23:24], v[10:11]
	;; [unrolled: 1-line block ×3, first 2 shown]
	s_waitcnt vmcnt(2)
	s_delay_alu instid0(VALU_DEP_3) | instskip(SKIP_1) | instid1(VALU_DEP_3)
	v_fma_f64 v[6:7], v[31:32], v[25:26], v[6:7]
	s_waitcnt vmcnt(1)
	v_fma_f64 v[10:11], v[33:34], v[25:26], v[10:11]
	s_waitcnt vmcnt(0)
	s_delay_alu instid0(VALU_DEP_3)
	v_fma_f64 v[8:9], v[29:30], v[25:26], v[8:9]
	s_and_not1_b32 exec_lo, exec_lo, s4
	s_cbranch_execnz .LBB44_9
; %bb.10:
	s_or_b32 exec_lo, exec_lo, s4
.LBB44_11:
	s_delay_alu instid0(SALU_CYCLE_1)
	s_or_b32 exec_lo, exec_lo, s3
	s_cbranch_execz .LBB44_13
	s_branch .LBB44_18
.LBB44_12:
                                        ; implicit-def: $vgpr6_vgpr7
                                        ; implicit-def: $vgpr8_vgpr9
                                        ; implicit-def: $vgpr10_vgpr11
.LBB44_13:
	v_mov_b32_e32 v6, 0
	v_mov_b32_e32 v7, 0
	s_delay_alu instid0(VALU_DEP_1)
	v_dual_mov_b32 v9, v7 :: v_dual_mov_b32 v8, v6
	v_dual_mov_b32 v11, v7 :: v_dual_mov_b32 v10, v6
	s_and_saveexec_b32 s3, s2
	s_cbranch_execz .LBB44_17
; %bb.14:
	v_dual_mov_b32 v6, 0 :: v_dual_mov_b32 v17, 0
	v_mov_b32_e32 v7, 0
	v_mad_u64_u32 v[14:15], null, v12, 6, 5
	s_mov_b32 s2, 0
	s_delay_alu instid0(VALU_DEP_2)
	v_dual_mov_b32 v9, v7 :: v_dual_mov_b32 v8, v6
	v_dual_mov_b32 v11, v7 :: v_dual_mov_b32 v10, v6
.LBB44_15:                              ; =>This Inner Loop Header: Depth=1
	v_ashrrev_i32_e32 v13, 31, v12
	s_delay_alu instid0(VALU_DEP_4) | instskip(SKIP_1) | instid1(VALU_DEP_3)
	v_dual_mov_b32 v24, v17 :: v_dual_add_nc_u32 v19, -3, v14
	v_dual_mov_b32 v20, v17 :: v_dual_add_nc_u32 v21, -1, v14
	v_lshlrev_b64 v[15:16], 2, v[12:13]
	v_add_nc_u32_e32 v12, 16, v12
	s_delay_alu instid0(VALU_DEP_3) | instskip(NEXT) | instid1(VALU_DEP_3)
	v_lshlrev_b64 v[19:20], 3, v[19:20]
	v_add_co_u32 v15, vcc_lo, s6, v15
	s_delay_alu instid0(VALU_DEP_4) | instskip(SKIP_2) | instid1(VALU_DEP_1)
	v_add_co_ci_u32_e32 v16, vcc_lo, s7, v16, vcc_lo
	global_load_b32 v13, v[15:16], off
	v_add_nc_u32_e32 v16, -5, v14
	v_lshlrev_b64 v[15:16], 3, v[16:17]
	s_delay_alu instid0(VALU_DEP_1) | instskip(NEXT) | instid1(VALU_DEP_2)
	v_add_co_u32 v15, vcc_lo, s8, v15
	v_add_co_ci_u32_e32 v16, vcc_lo, s9, v16, vcc_lo
	v_add_co_u32 v25, vcc_lo, s8, v19
	v_add_co_ci_u32_e32 v26, vcc_lo, s9, v20, vcc_lo
	s_waitcnt vmcnt(0)
	v_subrev_nc_u32_e32 v13, s12, v13
	s_delay_alu instid0(VALU_DEP_1) | instskip(NEXT) | instid1(VALU_DEP_1)
	v_dual_mov_b32 v22, v17 :: v_dual_lshlrev_b32 v23, 1, v13
	v_lshlrev_b64 v[21:22], 3, v[21:22]
	s_delay_alu instid0(VALU_DEP_1) | instskip(NEXT) | instid1(VALU_DEP_2)
	v_add_co_u32 v27, vcc_lo, s8, v21
	v_add_co_ci_u32_e32 v28, vcc_lo, s9, v22, vcc_lo
	global_load_b128 v[19:22], v[15:16], off
	v_lshlrev_b64 v[15:16], 3, v[23:24]
	s_delay_alu instid0(VALU_DEP_1) | instskip(NEXT) | instid1(VALU_DEP_2)
	v_add_co_u32 v15, vcc_lo, s10, v15
	v_add_co_ci_u32_e32 v16, vcc_lo, s11, v16, vcc_lo
	s_clause 0x1
	global_load_b64 v[29:30], v[25:26], off
	global_load_b64 v[27:28], v[27:28], off
	global_load_b128 v[23:26], v[15:16], off
	v_dual_mov_b32 v15, v17 :: v_dual_add_nc_u32 v16, -2, v14
	s_delay_alu instid0(VALU_DEP_1) | instskip(NEXT) | instid1(VALU_DEP_2)
	v_lshlrev_b64 v[31:32], 3, v[14:15]
	v_lshlrev_b64 v[15:16], 3, v[16:17]
	v_add_nc_u32_e32 v14, 0x60, v14
	s_delay_alu instid0(VALU_DEP_3) | instskip(NEXT) | instid1(VALU_DEP_4)
	v_add_co_u32 v31, vcc_lo, s8, v31
	v_add_co_ci_u32_e32 v32, vcc_lo, s9, v32, vcc_lo
	s_delay_alu instid0(VALU_DEP_4)
	v_add_co_u32 v15, vcc_lo, s8, v15
	v_add_co_ci_u32_e32 v16, vcc_lo, s9, v16, vcc_lo
	s_clause 0x1
	global_load_b64 v[15:16], v[15:16], off
	global_load_b64 v[31:32], v[31:32], off
	v_cmp_ge_i32_e32 vcc_lo, v12, v18
	s_or_b32 s2, vcc_lo, s2
	s_waitcnt vmcnt(2)
	v_fma_f64 v[6:7], v[19:20], v[23:24], v[6:7]
	v_fma_f64 v[10:11], v[29:30], v[23:24], v[10:11]
	;; [unrolled: 1-line block ×3, first 2 shown]
	s_delay_alu instid0(VALU_DEP_3) | instskip(SKIP_1) | instid1(VALU_DEP_3)
	v_fma_f64 v[6:7], v[21:22], v[25:26], v[6:7]
	s_waitcnt vmcnt(1)
	v_fma_f64 v[10:11], v[15:16], v[25:26], v[10:11]
	s_waitcnt vmcnt(0)
	s_delay_alu instid0(VALU_DEP_3)
	v_fma_f64 v[8:9], v[31:32], v[25:26], v[8:9]
	s_and_not1_b32 exec_lo, exec_lo, s2
	s_cbranch_execnz .LBB44_15
; %bb.16:
	s_or_b32 exec_lo, exec_lo, s2
.LBB44_17:
	s_delay_alu instid0(SALU_CYCLE_1)
	s_or_b32 exec_lo, exec_lo, s3
.LBB44_18:
	v_mbcnt_lo_u32_b32 v18, -1, 0
	s_delay_alu instid0(VALU_DEP_1) | instskip(NEXT) | instid1(VALU_DEP_1)
	v_xor_b32_e32 v12, 8, v18
	v_cmp_gt_i32_e32 vcc_lo, 32, v12
	v_cndmask_b32_e32 v12, v18, v12, vcc_lo
	s_delay_alu instid0(VALU_DEP_1)
	v_lshlrev_b32_e32 v17, 2, v12
	ds_bpermute_b32 v12, v17, v6
	ds_bpermute_b32 v13, v17, v7
	ds_bpermute_b32 v14, v17, v10
	ds_bpermute_b32 v15, v17, v11
	ds_bpermute_b32 v16, v17, v8
	ds_bpermute_b32 v17, v17, v9
	s_waitcnt lgkmcnt(4)
	v_add_f64 v[6:7], v[6:7], v[12:13]
	v_xor_b32_e32 v12, 4, v18
	s_waitcnt lgkmcnt(2)
	v_add_f64 v[10:11], v[10:11], v[14:15]
	s_waitcnt lgkmcnt(0)
	v_add_f64 v[8:9], v[8:9], v[16:17]
	v_cmp_gt_i32_e32 vcc_lo, 32, v12
	v_cndmask_b32_e32 v12, v18, v12, vcc_lo
	s_delay_alu instid0(VALU_DEP_1)
	v_lshlrev_b32_e32 v17, 2, v12
	ds_bpermute_b32 v12, v17, v6
	ds_bpermute_b32 v13, v17, v7
	;; [unrolled: 1-line block ×6, first 2 shown]
	s_waitcnt lgkmcnt(4)
	v_add_f64 v[6:7], v[6:7], v[12:13]
	s_waitcnt lgkmcnt(2)
	v_add_f64 v[10:11], v[10:11], v[14:15]
	s_waitcnt lgkmcnt(0)
	v_add_f64 v[12:13], v[8:9], v[16:17]
	v_xor_b32_e32 v8, 2, v18
	s_delay_alu instid0(VALU_DEP_1) | instskip(SKIP_1) | instid1(VALU_DEP_1)
	v_cmp_gt_i32_e32 vcc_lo, 32, v8
	v_cndmask_b32_e32 v8, v18, v8, vcc_lo
	v_lshlrev_b32_e32 v17, 2, v8
	ds_bpermute_b32 v8, v17, v6
	ds_bpermute_b32 v9, v17, v7
	;; [unrolled: 1-line block ×6, first 2 shown]
	s_waitcnt lgkmcnt(4)
	v_add_f64 v[8:9], v[6:7], v[8:9]
	s_waitcnt lgkmcnt(2)
	v_add_f64 v[6:7], v[10:11], v[14:15]
	v_xor_b32_e32 v10, 1, v18
	s_waitcnt lgkmcnt(0)
	v_add_f64 v[12:13], v[12:13], v[16:17]
	s_delay_alu instid0(VALU_DEP_2) | instskip(SKIP_2) | instid1(VALU_DEP_2)
	v_cmp_gt_i32_e32 vcc_lo, 32, v10
	v_cndmask_b32_e32 v10, v18, v10, vcc_lo
	v_cmp_eq_u32_e32 vcc_lo, 15, v0
	v_lshlrev_b32_e32 v15, 2, v10
	ds_bpermute_b32 v10, v15, v8
	ds_bpermute_b32 v11, v15, v9
	ds_bpermute_b32 v16, v15, v6
	ds_bpermute_b32 v17, v15, v7
	ds_bpermute_b32 v14, v15, v12
	ds_bpermute_b32 v15, v15, v13
	s_and_b32 exec_lo, exec_lo, vcc_lo
	s_cbranch_execz .LBB44_23
; %bb.19:
	s_waitcnt lgkmcnt(4)
	v_add_f64 v[10:11], v[8:9], v[10:11]
	s_waitcnt lgkmcnt(2)
	v_add_f64 v[8:9], v[6:7], v[16:17]
	s_waitcnt lgkmcnt(0)
	v_add_f64 v[6:7], v[12:13], v[14:15]
	s_load_b64 s[0:1], s[0:1], 0x38
	s_mov_b32 s2, exec_lo
	v_cmpx_eq_f64_e32 0, v[3:4]
	s_xor_b32 s2, exec_lo, s2
	s_cbranch_execz .LBB44_21
; %bb.20:
	s_delay_alu instid0(VALU_DEP_4) | instskip(NEXT) | instid1(VALU_DEP_4)
	v_mul_f64 v[10:11], v[1:2], v[10:11]
	v_mul_f64 v[12:13], v[1:2], v[8:9]
	s_delay_alu instid0(VALU_DEP_4) | instskip(SKIP_1) | instid1(VALU_DEP_1)
	v_mul_f64 v[0:1], v[1:2], v[6:7]
	v_lshl_add_u32 v2, v5, 1, v5
                                        ; implicit-def: $vgpr5
                                        ; implicit-def: $vgpr8_vgpr9
                                        ; implicit-def: $vgpr6_vgpr7
	v_ashrrev_i32_e32 v3, 31, v2
	s_delay_alu instid0(VALU_DEP_1) | instskip(SKIP_1) | instid1(VALU_DEP_1)
	v_lshlrev_b64 v[2:3], 3, v[2:3]
	s_waitcnt lgkmcnt(0)
	v_add_co_u32 v2, vcc_lo, s0, v2
	s_delay_alu instid0(VALU_DEP_2)
	v_add_co_ci_u32_e32 v3, vcc_lo, s1, v3, vcc_lo
	s_clause 0x1
	global_store_b128 v[2:3], v[10:13], off
	global_store_b64 v[2:3], v[0:1], off offset:16
                                        ; implicit-def: $vgpr1_vgpr2
                                        ; implicit-def: $vgpr10_vgpr11
                                        ; implicit-def: $vgpr3_vgpr4
.LBB44_21:
	s_and_not1_saveexec_b32 s2, s2
	s_cbranch_execz .LBB44_23
; %bb.22:
	v_lshl_add_u32 v12, v5, 1, v5
	v_mul_f64 v[10:11], v[1:2], v[10:11]
	v_mul_f64 v[8:9], v[1:2], v[8:9]
	;; [unrolled: 1-line block ×3, first 2 shown]
	s_delay_alu instid0(VALU_DEP_4) | instskip(NEXT) | instid1(VALU_DEP_1)
	v_ashrrev_i32_e32 v13, 31, v12
	v_lshlrev_b64 v[12:13], 3, v[12:13]
	s_waitcnt lgkmcnt(0)
	s_delay_alu instid0(VALU_DEP_1) | instskip(NEXT) | instid1(VALU_DEP_2)
	v_add_co_u32 v16, vcc_lo, s0, v12
	v_add_co_ci_u32_e32 v17, vcc_lo, s1, v13, vcc_lo
	s_clause 0x1
	global_load_b128 v[12:15], v[16:17], off
	global_load_b64 v[18:19], v[16:17], off offset:16
	s_waitcnt vmcnt(1)
	v_fma_f64 v[5:6], v[3:4], v[12:13], v[10:11]
	v_fma_f64 v[7:8], v[3:4], v[14:15], v[8:9]
	s_waitcnt vmcnt(0)
	v_fma_f64 v[0:1], v[3:4], v[18:19], v[0:1]
	s_clause 0x1
	global_store_b128 v[16:17], v[5:8], off
	global_store_b64 v[16:17], v[0:1], off offset:16
.LBB44_23:
	s_nop 0
	s_sendmsg sendmsg(MSG_DEALLOC_VGPRS)
	s_endpgm
	.section	.rodata,"a",@progbits
	.p2align	6, 0x0
	.amdhsa_kernel _ZN9rocsparseL19gebsrmvn_3xn_kernelILj128ELj2ELj16EdEEvi20rocsparse_direction_NS_24const_host_device_scalarIT2_EEPKiS6_PKS3_S8_S4_PS3_21rocsparse_index_base_b
		.amdhsa_group_segment_fixed_size 0
		.amdhsa_private_segment_fixed_size 0
		.amdhsa_kernarg_size 72
		.amdhsa_user_sgpr_count 15
		.amdhsa_user_sgpr_dispatch_ptr 0
		.amdhsa_user_sgpr_queue_ptr 0
		.amdhsa_user_sgpr_kernarg_segment_ptr 1
		.amdhsa_user_sgpr_dispatch_id 0
		.amdhsa_user_sgpr_private_segment_size 0
		.amdhsa_wavefront_size32 1
		.amdhsa_uses_dynamic_stack 0
		.amdhsa_enable_private_segment 0
		.amdhsa_system_sgpr_workgroup_id_x 1
		.amdhsa_system_sgpr_workgroup_id_y 0
		.amdhsa_system_sgpr_workgroup_id_z 0
		.amdhsa_system_sgpr_workgroup_info 0
		.amdhsa_system_vgpr_workitem_id 0
		.amdhsa_next_free_vgpr 35
		.amdhsa_next_free_sgpr 16
		.amdhsa_reserve_vcc 1
		.amdhsa_float_round_mode_32 0
		.amdhsa_float_round_mode_16_64 0
		.amdhsa_float_denorm_mode_32 3
		.amdhsa_float_denorm_mode_16_64 3
		.amdhsa_dx10_clamp 1
		.amdhsa_ieee_mode 1
		.amdhsa_fp16_overflow 0
		.amdhsa_workgroup_processor_mode 1
		.amdhsa_memory_ordered 1
		.amdhsa_forward_progress 0
		.amdhsa_shared_vgpr_count 0
		.amdhsa_exception_fp_ieee_invalid_op 0
		.amdhsa_exception_fp_denorm_src 0
		.amdhsa_exception_fp_ieee_div_zero 0
		.amdhsa_exception_fp_ieee_overflow 0
		.amdhsa_exception_fp_ieee_underflow 0
		.amdhsa_exception_fp_ieee_inexact 0
		.amdhsa_exception_int_div_zero 0
	.end_amdhsa_kernel
	.section	.text._ZN9rocsparseL19gebsrmvn_3xn_kernelILj128ELj2ELj16EdEEvi20rocsparse_direction_NS_24const_host_device_scalarIT2_EEPKiS6_PKS3_S8_S4_PS3_21rocsparse_index_base_b,"axG",@progbits,_ZN9rocsparseL19gebsrmvn_3xn_kernelILj128ELj2ELj16EdEEvi20rocsparse_direction_NS_24const_host_device_scalarIT2_EEPKiS6_PKS3_S8_S4_PS3_21rocsparse_index_base_b,comdat
.Lfunc_end44:
	.size	_ZN9rocsparseL19gebsrmvn_3xn_kernelILj128ELj2ELj16EdEEvi20rocsparse_direction_NS_24const_host_device_scalarIT2_EEPKiS6_PKS3_S8_S4_PS3_21rocsparse_index_base_b, .Lfunc_end44-_ZN9rocsparseL19gebsrmvn_3xn_kernelILj128ELj2ELj16EdEEvi20rocsparse_direction_NS_24const_host_device_scalarIT2_EEPKiS6_PKS3_S8_S4_PS3_21rocsparse_index_base_b
                                        ; -- End function
	.section	.AMDGPU.csdata,"",@progbits
; Kernel info:
; codeLenInByte = 1956
; NumSgprs: 18
; NumVgprs: 35
; ScratchSize: 0
; MemoryBound: 0
; FloatMode: 240
; IeeeMode: 1
; LDSByteSize: 0 bytes/workgroup (compile time only)
; SGPRBlocks: 2
; VGPRBlocks: 4
; NumSGPRsForWavesPerEU: 18
; NumVGPRsForWavesPerEU: 35
; Occupancy: 16
; WaveLimiterHint : 1
; COMPUTE_PGM_RSRC2:SCRATCH_EN: 0
; COMPUTE_PGM_RSRC2:USER_SGPR: 15
; COMPUTE_PGM_RSRC2:TRAP_HANDLER: 0
; COMPUTE_PGM_RSRC2:TGID_X_EN: 1
; COMPUTE_PGM_RSRC2:TGID_Y_EN: 0
; COMPUTE_PGM_RSRC2:TGID_Z_EN: 0
; COMPUTE_PGM_RSRC2:TIDIG_COMP_CNT: 0
	.section	.text._ZN9rocsparseL19gebsrmvn_3xn_kernelILj128ELj2ELj32EdEEvi20rocsparse_direction_NS_24const_host_device_scalarIT2_EEPKiS6_PKS3_S8_S4_PS3_21rocsparse_index_base_b,"axG",@progbits,_ZN9rocsparseL19gebsrmvn_3xn_kernelILj128ELj2ELj32EdEEvi20rocsparse_direction_NS_24const_host_device_scalarIT2_EEPKiS6_PKS3_S8_S4_PS3_21rocsparse_index_base_b,comdat
	.globl	_ZN9rocsparseL19gebsrmvn_3xn_kernelILj128ELj2ELj32EdEEvi20rocsparse_direction_NS_24const_host_device_scalarIT2_EEPKiS6_PKS3_S8_S4_PS3_21rocsparse_index_base_b ; -- Begin function _ZN9rocsparseL19gebsrmvn_3xn_kernelILj128ELj2ELj32EdEEvi20rocsparse_direction_NS_24const_host_device_scalarIT2_EEPKiS6_PKS3_S8_S4_PS3_21rocsparse_index_base_b
	.p2align	8
	.type	_ZN9rocsparseL19gebsrmvn_3xn_kernelILj128ELj2ELj32EdEEvi20rocsparse_direction_NS_24const_host_device_scalarIT2_EEPKiS6_PKS3_S8_S4_PS3_21rocsparse_index_base_b,@function
_ZN9rocsparseL19gebsrmvn_3xn_kernelILj128ELj2ELj32EdEEvi20rocsparse_direction_NS_24const_host_device_scalarIT2_EEPKiS6_PKS3_S8_S4_PS3_21rocsparse_index_base_b: ; @_ZN9rocsparseL19gebsrmvn_3xn_kernelILj128ELj2ELj32EdEEvi20rocsparse_direction_NS_24const_host_device_scalarIT2_EEPKiS6_PKS3_S8_S4_PS3_21rocsparse_index_base_b
; %bb.0:
	s_clause 0x2
	s_load_b64 s[12:13], s[0:1], 0x40
	s_load_b64 s[4:5], s[0:1], 0x8
	;; [unrolled: 1-line block ×3, first 2 shown]
	s_waitcnt lgkmcnt(0)
	s_bitcmp1_b32 s13, 0
	v_dual_mov_b32 v1, s4 :: v_dual_mov_b32 v2, s5
	s_cselect_b32 s6, -1, 0
	s_delay_alu instid0(SALU_CYCLE_1)
	s_and_b32 vcc_lo, exec_lo, s6
	s_xor_b32 s6, s6, -1
	s_cbranch_vccnz .LBB45_2
; %bb.1:
	v_dual_mov_b32 v1, s4 :: v_dual_mov_b32 v2, s5
	flat_load_b64 v[1:2], v[1:2]
.LBB45_2:
	v_dual_mov_b32 v4, s3 :: v_dual_mov_b32 v3, s2
	s_and_not1_b32 vcc_lo, exec_lo, s6
	s_cbranch_vccnz .LBB45_4
; %bb.3:
	v_dual_mov_b32 v4, s3 :: v_dual_mov_b32 v3, s2
	flat_load_b64 v[3:4], v[3:4]
.LBB45_4:
	s_waitcnt vmcnt(0) lgkmcnt(0)
	v_cmp_neq_f64_e32 vcc_lo, 0, v[1:2]
	v_cmp_neq_f64_e64 s2, 1.0, v[3:4]
	s_delay_alu instid0(VALU_DEP_1) | instskip(NEXT) | instid1(SALU_CYCLE_1)
	s_or_b32 s2, vcc_lo, s2
	s_and_saveexec_b32 s3, s2
	s_cbranch_execz .LBB45_23
; %bb.5:
	s_load_b64 s[2:3], s[0:1], 0x0
	v_lshrrev_b32_e32 v5, 5, v0
	s_delay_alu instid0(VALU_DEP_1) | instskip(SKIP_1) | instid1(VALU_DEP_1)
	v_lshl_or_b32 v5, s15, 2, v5
	s_waitcnt lgkmcnt(0)
	v_cmp_gt_i32_e32 vcc_lo, s2, v5
	s_and_b32 exec_lo, exec_lo, vcc_lo
	s_cbranch_execz .LBB45_23
; %bb.6:
	s_load_b256 s[4:11], s[0:1], 0x10
	v_ashrrev_i32_e32 v6, 31, v5
	v_and_b32_e32 v0, 31, v0
	s_cmp_lg_u32 s3, 0
	s_delay_alu instid0(VALU_DEP_2) | instskip(SKIP_1) | instid1(VALU_DEP_1)
	v_lshlrev_b64 v[6:7], 2, v[5:6]
	s_waitcnt lgkmcnt(0)
	v_add_co_u32 v6, vcc_lo, s4, v6
	s_delay_alu instid0(VALU_DEP_2) | instskip(SKIP_4) | instid1(VALU_DEP_2)
	v_add_co_ci_u32_e32 v7, vcc_lo, s5, v7, vcc_lo
	global_load_b64 v[6:7], v[6:7], off
	s_waitcnt vmcnt(0)
	v_subrev_nc_u32_e32 v6, s12, v6
	v_subrev_nc_u32_e32 v18, s12, v7
	v_add_nc_u32_e32 v12, v6, v0
	s_delay_alu instid0(VALU_DEP_1)
	v_cmp_lt_i32_e64 s2, v12, v18
	s_cbranch_scc0 .LBB45_12
; %bb.7:
	v_mov_b32_e32 v6, 0
	v_mov_b32_e32 v7, 0
	s_delay_alu instid0(VALU_DEP_1)
	v_dual_mov_b32 v9, v7 :: v_dual_mov_b32 v8, v6
	v_dual_mov_b32 v11, v7 :: v_dual_mov_b32 v10, v6
	s_and_saveexec_b32 s3, s2
	s_cbranch_execz .LBB45_11
; %bb.8:
	v_dual_mov_b32 v6, 0 :: v_dual_mov_b32 v15, 0
	v_dual_mov_b32 v7, 0 :: v_dual_mov_b32 v16, v12
	v_mad_u64_u32 v[13:14], null, v12, 6, 5
	s_mov_b32 s4, 0
	s_delay_alu instid0(VALU_DEP_2)
	v_dual_mov_b32 v9, v7 :: v_dual_mov_b32 v8, v6
	v_dual_mov_b32 v11, v7 :: v_dual_mov_b32 v10, v6
.LBB45_9:                               ; =>This Inner Loop Header: Depth=1
	v_ashrrev_i32_e32 v17, 31, v16
	s_delay_alu instid0(VALU_DEP_4) | instskip(NEXT) | instid1(VALU_DEP_2)
	v_add_nc_u32_e32 v14, -5, v13
	v_lshlrev_b64 v[19:20], 2, v[16:17]
	s_delay_alu instid0(VALU_DEP_2) | instskip(SKIP_2) | instid1(VALU_DEP_4)
	v_lshlrev_b64 v[21:22], 3, v[14:15]
	v_add_nc_u32_e32 v14, -3, v13
	v_add_nc_u32_e32 v16, 32, v16
	v_add_co_u32 v19, vcc_lo, s6, v19
	v_add_co_ci_u32_e32 v20, vcc_lo, s7, v20, vcc_lo
	s_delay_alu instid0(VALU_DEP_4)
	v_lshlrev_b64 v[23:24], 3, v[14:15]
	v_add_co_u32 v21, vcc_lo, s8, v21
	global_load_b32 v17, v[19:20], off
	v_add_co_ci_u32_e32 v22, vcc_lo, s9, v22, vcc_lo
	v_add_co_u32 v23, vcc_lo, s8, v23
	v_add_co_ci_u32_e32 v24, vcc_lo, s9, v24, vcc_lo
	s_waitcnt vmcnt(0)
	v_subrev_nc_u32_e32 v14, s12, v17
	s_delay_alu instid0(VALU_DEP_1) | instskip(SKIP_1) | instid1(VALU_DEP_2)
	v_dual_mov_b32 v20, v15 :: v_dual_lshlrev_b32 v19, 1, v14
	v_mov_b32_e32 v14, v15
	v_lshlrev_b64 v[19:20], 3, v[19:20]
	s_delay_alu instid0(VALU_DEP_2) | instskip(SKIP_1) | instid1(VALU_DEP_3)
	v_lshlrev_b64 v[29:30], 3, v[13:14]
	v_add_nc_u32_e32 v14, -2, v13
	v_add_co_u32 v25, vcc_lo, s10, v19
	s_delay_alu instid0(VALU_DEP_4) | instskip(NEXT) | instid1(VALU_DEP_3)
	v_add_co_ci_u32_e32 v26, vcc_lo, s11, v20, vcc_lo
	v_lshlrev_b64 v[31:32], 3, v[14:15]
	s_clause 0x1
	global_load_b128 v[19:22], v[21:22], off
	global_load_b64 v[27:28], v[23:24], off
	global_load_b128 v[23:26], v[25:26], off
	v_add_nc_u32_e32 v14, -1, v13
	v_add_nc_u32_e32 v13, 0xc0, v13
	v_add_co_u32 v29, vcc_lo, s8, v29
	v_add_co_ci_u32_e32 v30, vcc_lo, s9, v30, vcc_lo
	s_delay_alu instid0(VALU_DEP_4) | instskip(SKIP_2) | instid1(VALU_DEP_3)
	v_lshlrev_b64 v[33:34], 3, v[14:15]
	v_add_co_u32 v31, vcc_lo, s8, v31
	v_add_co_ci_u32_e32 v32, vcc_lo, s9, v32, vcc_lo
	v_add_co_u32 v33, vcc_lo, s8, v33
	s_delay_alu instid0(VALU_DEP_4)
	v_add_co_ci_u32_e32 v34, vcc_lo, s9, v34, vcc_lo
	s_clause 0x2
	global_load_b64 v[31:32], v[31:32], off
	global_load_b64 v[33:34], v[33:34], off
	;; [unrolled: 1-line block ×3, first 2 shown]
	v_cmp_ge_i32_e32 vcc_lo, v16, v18
	s_or_b32 s4, vcc_lo, s4
	s_waitcnt vmcnt(3)
	v_fma_f64 v[6:7], v[19:20], v[23:24], v[6:7]
	v_fma_f64 v[10:11], v[21:22], v[23:24], v[10:11]
	;; [unrolled: 1-line block ×3, first 2 shown]
	s_waitcnt vmcnt(2)
	s_delay_alu instid0(VALU_DEP_3) | instskip(SKIP_1) | instid1(VALU_DEP_3)
	v_fma_f64 v[6:7], v[31:32], v[25:26], v[6:7]
	s_waitcnt vmcnt(1)
	v_fma_f64 v[10:11], v[33:34], v[25:26], v[10:11]
	s_waitcnt vmcnt(0)
	s_delay_alu instid0(VALU_DEP_3)
	v_fma_f64 v[8:9], v[29:30], v[25:26], v[8:9]
	s_and_not1_b32 exec_lo, exec_lo, s4
	s_cbranch_execnz .LBB45_9
; %bb.10:
	s_or_b32 exec_lo, exec_lo, s4
.LBB45_11:
	s_delay_alu instid0(SALU_CYCLE_1)
	s_or_b32 exec_lo, exec_lo, s3
	s_cbranch_execz .LBB45_13
	s_branch .LBB45_18
.LBB45_12:
                                        ; implicit-def: $vgpr6_vgpr7
                                        ; implicit-def: $vgpr8_vgpr9
                                        ; implicit-def: $vgpr10_vgpr11
.LBB45_13:
	v_mov_b32_e32 v6, 0
	v_mov_b32_e32 v7, 0
	s_delay_alu instid0(VALU_DEP_1)
	v_dual_mov_b32 v9, v7 :: v_dual_mov_b32 v8, v6
	v_dual_mov_b32 v11, v7 :: v_dual_mov_b32 v10, v6
	s_and_saveexec_b32 s3, s2
	s_cbranch_execz .LBB45_17
; %bb.14:
	v_dual_mov_b32 v6, 0 :: v_dual_mov_b32 v17, 0
	v_mov_b32_e32 v7, 0
	v_mad_u64_u32 v[14:15], null, v12, 6, 5
	s_mov_b32 s2, 0
	s_delay_alu instid0(VALU_DEP_2)
	v_dual_mov_b32 v9, v7 :: v_dual_mov_b32 v8, v6
	v_dual_mov_b32 v11, v7 :: v_dual_mov_b32 v10, v6
.LBB45_15:                              ; =>This Inner Loop Header: Depth=1
	v_ashrrev_i32_e32 v13, 31, v12
	s_delay_alu instid0(VALU_DEP_4) | instskip(SKIP_1) | instid1(VALU_DEP_3)
	v_dual_mov_b32 v24, v17 :: v_dual_add_nc_u32 v19, -3, v14
	v_dual_mov_b32 v20, v17 :: v_dual_add_nc_u32 v21, -1, v14
	v_lshlrev_b64 v[15:16], 2, v[12:13]
	v_add_nc_u32_e32 v12, 32, v12
	s_delay_alu instid0(VALU_DEP_3) | instskip(NEXT) | instid1(VALU_DEP_3)
	v_lshlrev_b64 v[19:20], 3, v[19:20]
	v_add_co_u32 v15, vcc_lo, s6, v15
	s_delay_alu instid0(VALU_DEP_4) | instskip(SKIP_2) | instid1(VALU_DEP_1)
	v_add_co_ci_u32_e32 v16, vcc_lo, s7, v16, vcc_lo
	global_load_b32 v13, v[15:16], off
	v_add_nc_u32_e32 v16, -5, v14
	v_lshlrev_b64 v[15:16], 3, v[16:17]
	s_delay_alu instid0(VALU_DEP_1) | instskip(NEXT) | instid1(VALU_DEP_2)
	v_add_co_u32 v15, vcc_lo, s8, v15
	v_add_co_ci_u32_e32 v16, vcc_lo, s9, v16, vcc_lo
	v_add_co_u32 v25, vcc_lo, s8, v19
	v_add_co_ci_u32_e32 v26, vcc_lo, s9, v20, vcc_lo
	s_waitcnt vmcnt(0)
	v_subrev_nc_u32_e32 v13, s12, v13
	s_delay_alu instid0(VALU_DEP_1) | instskip(NEXT) | instid1(VALU_DEP_1)
	v_dual_mov_b32 v22, v17 :: v_dual_lshlrev_b32 v23, 1, v13
	v_lshlrev_b64 v[21:22], 3, v[21:22]
	s_delay_alu instid0(VALU_DEP_1) | instskip(NEXT) | instid1(VALU_DEP_2)
	v_add_co_u32 v27, vcc_lo, s8, v21
	v_add_co_ci_u32_e32 v28, vcc_lo, s9, v22, vcc_lo
	global_load_b128 v[19:22], v[15:16], off
	v_lshlrev_b64 v[15:16], 3, v[23:24]
	s_delay_alu instid0(VALU_DEP_1) | instskip(NEXT) | instid1(VALU_DEP_2)
	v_add_co_u32 v15, vcc_lo, s10, v15
	v_add_co_ci_u32_e32 v16, vcc_lo, s11, v16, vcc_lo
	s_clause 0x1
	global_load_b64 v[29:30], v[25:26], off
	global_load_b64 v[27:28], v[27:28], off
	global_load_b128 v[23:26], v[15:16], off
	v_dual_mov_b32 v15, v17 :: v_dual_add_nc_u32 v16, -2, v14
	s_delay_alu instid0(VALU_DEP_1) | instskip(NEXT) | instid1(VALU_DEP_2)
	v_lshlrev_b64 v[31:32], 3, v[14:15]
	v_lshlrev_b64 v[15:16], 3, v[16:17]
	v_add_nc_u32_e32 v14, 0xc0, v14
	s_delay_alu instid0(VALU_DEP_3) | instskip(NEXT) | instid1(VALU_DEP_4)
	v_add_co_u32 v31, vcc_lo, s8, v31
	v_add_co_ci_u32_e32 v32, vcc_lo, s9, v32, vcc_lo
	s_delay_alu instid0(VALU_DEP_4)
	v_add_co_u32 v15, vcc_lo, s8, v15
	v_add_co_ci_u32_e32 v16, vcc_lo, s9, v16, vcc_lo
	s_clause 0x1
	global_load_b64 v[15:16], v[15:16], off
	global_load_b64 v[31:32], v[31:32], off
	v_cmp_ge_i32_e32 vcc_lo, v12, v18
	s_or_b32 s2, vcc_lo, s2
	s_waitcnt vmcnt(2)
	v_fma_f64 v[6:7], v[19:20], v[23:24], v[6:7]
	v_fma_f64 v[10:11], v[29:30], v[23:24], v[10:11]
	;; [unrolled: 1-line block ×3, first 2 shown]
	s_delay_alu instid0(VALU_DEP_3) | instskip(SKIP_1) | instid1(VALU_DEP_3)
	v_fma_f64 v[6:7], v[21:22], v[25:26], v[6:7]
	s_waitcnt vmcnt(1)
	v_fma_f64 v[10:11], v[15:16], v[25:26], v[10:11]
	s_waitcnt vmcnt(0)
	s_delay_alu instid0(VALU_DEP_3)
	v_fma_f64 v[8:9], v[31:32], v[25:26], v[8:9]
	s_and_not1_b32 exec_lo, exec_lo, s2
	s_cbranch_execnz .LBB45_15
; %bb.16:
	s_or_b32 exec_lo, exec_lo, s2
.LBB45_17:
	s_delay_alu instid0(SALU_CYCLE_1)
	s_or_b32 exec_lo, exec_lo, s3
.LBB45_18:
	v_mbcnt_lo_u32_b32 v18, -1, 0
	s_delay_alu instid0(VALU_DEP_1) | instskip(NEXT) | instid1(VALU_DEP_1)
	v_xor_b32_e32 v12, 16, v18
	v_cmp_gt_i32_e32 vcc_lo, 32, v12
	v_cndmask_b32_e32 v12, v18, v12, vcc_lo
	s_delay_alu instid0(VALU_DEP_1)
	v_lshlrev_b32_e32 v17, 2, v12
	ds_bpermute_b32 v12, v17, v6
	ds_bpermute_b32 v13, v17, v7
	;; [unrolled: 1-line block ×6, first 2 shown]
	s_waitcnt lgkmcnt(4)
	v_add_f64 v[6:7], v[6:7], v[12:13]
	v_xor_b32_e32 v12, 8, v18
	s_waitcnt lgkmcnt(2)
	v_add_f64 v[10:11], v[10:11], v[14:15]
	s_waitcnt lgkmcnt(0)
	v_add_f64 v[8:9], v[8:9], v[16:17]
	v_cmp_gt_i32_e32 vcc_lo, 32, v12
	v_cndmask_b32_e32 v12, v18, v12, vcc_lo
	s_delay_alu instid0(VALU_DEP_1)
	v_lshlrev_b32_e32 v17, 2, v12
	ds_bpermute_b32 v12, v17, v6
	ds_bpermute_b32 v13, v17, v7
	;; [unrolled: 1-line block ×6, first 2 shown]
	s_waitcnt lgkmcnt(4)
	v_add_f64 v[6:7], v[6:7], v[12:13]
	v_xor_b32_e32 v12, 4, v18
	s_waitcnt lgkmcnt(2)
	v_add_f64 v[10:11], v[10:11], v[14:15]
	s_waitcnt lgkmcnt(0)
	v_add_f64 v[8:9], v[8:9], v[16:17]
	v_cmp_gt_i32_e32 vcc_lo, 32, v12
	v_cndmask_b32_e32 v12, v18, v12, vcc_lo
	s_delay_alu instid0(VALU_DEP_1)
	v_lshlrev_b32_e32 v17, 2, v12
	ds_bpermute_b32 v12, v17, v6
	ds_bpermute_b32 v13, v17, v7
	;; [unrolled: 1-line block ×6, first 2 shown]
	s_waitcnt lgkmcnt(4)
	v_add_f64 v[6:7], v[6:7], v[12:13]
	s_waitcnt lgkmcnt(2)
	v_add_f64 v[10:11], v[10:11], v[14:15]
	;; [unrolled: 2-line block ×3, first 2 shown]
	v_xor_b32_e32 v8, 2, v18
	s_delay_alu instid0(VALU_DEP_1) | instskip(SKIP_1) | instid1(VALU_DEP_1)
	v_cmp_gt_i32_e32 vcc_lo, 32, v8
	v_cndmask_b32_e32 v8, v18, v8, vcc_lo
	v_lshlrev_b32_e32 v17, 2, v8
	ds_bpermute_b32 v8, v17, v6
	ds_bpermute_b32 v9, v17, v7
	;; [unrolled: 1-line block ×6, first 2 shown]
	s_waitcnt lgkmcnt(4)
	v_add_f64 v[8:9], v[6:7], v[8:9]
	s_waitcnt lgkmcnt(2)
	v_add_f64 v[6:7], v[10:11], v[14:15]
	v_xor_b32_e32 v10, 1, v18
	s_waitcnt lgkmcnt(0)
	v_add_f64 v[12:13], v[12:13], v[16:17]
	s_delay_alu instid0(VALU_DEP_2) | instskip(SKIP_2) | instid1(VALU_DEP_2)
	v_cmp_gt_i32_e32 vcc_lo, 32, v10
	v_cndmask_b32_e32 v10, v18, v10, vcc_lo
	v_cmp_eq_u32_e32 vcc_lo, 31, v0
	v_lshlrev_b32_e32 v15, 2, v10
	ds_bpermute_b32 v10, v15, v8
	ds_bpermute_b32 v11, v15, v9
	;; [unrolled: 1-line block ×6, first 2 shown]
	s_and_b32 exec_lo, exec_lo, vcc_lo
	s_cbranch_execz .LBB45_23
; %bb.19:
	s_waitcnt lgkmcnt(4)
	v_add_f64 v[10:11], v[8:9], v[10:11]
	s_waitcnt lgkmcnt(2)
	v_add_f64 v[8:9], v[6:7], v[16:17]
	;; [unrolled: 2-line block ×3, first 2 shown]
	s_load_b64 s[0:1], s[0:1], 0x38
	s_mov_b32 s2, exec_lo
	v_cmpx_eq_f64_e32 0, v[3:4]
	s_xor_b32 s2, exec_lo, s2
	s_cbranch_execz .LBB45_21
; %bb.20:
	s_delay_alu instid0(VALU_DEP_4) | instskip(NEXT) | instid1(VALU_DEP_4)
	v_mul_f64 v[10:11], v[1:2], v[10:11]
	v_mul_f64 v[12:13], v[1:2], v[8:9]
	s_delay_alu instid0(VALU_DEP_4) | instskip(SKIP_1) | instid1(VALU_DEP_1)
	v_mul_f64 v[0:1], v[1:2], v[6:7]
	v_lshl_add_u32 v2, v5, 1, v5
                                        ; implicit-def: $vgpr5
                                        ; implicit-def: $vgpr8_vgpr9
                                        ; implicit-def: $vgpr6_vgpr7
	v_ashrrev_i32_e32 v3, 31, v2
	s_delay_alu instid0(VALU_DEP_1) | instskip(SKIP_1) | instid1(VALU_DEP_1)
	v_lshlrev_b64 v[2:3], 3, v[2:3]
	s_waitcnt lgkmcnt(0)
	v_add_co_u32 v2, vcc_lo, s0, v2
	s_delay_alu instid0(VALU_DEP_2)
	v_add_co_ci_u32_e32 v3, vcc_lo, s1, v3, vcc_lo
	s_clause 0x1
	global_store_b128 v[2:3], v[10:13], off
	global_store_b64 v[2:3], v[0:1], off offset:16
                                        ; implicit-def: $vgpr1_vgpr2
                                        ; implicit-def: $vgpr10_vgpr11
                                        ; implicit-def: $vgpr3_vgpr4
.LBB45_21:
	s_and_not1_saveexec_b32 s2, s2
	s_cbranch_execz .LBB45_23
; %bb.22:
	v_lshl_add_u32 v12, v5, 1, v5
	v_mul_f64 v[10:11], v[1:2], v[10:11]
	v_mul_f64 v[8:9], v[1:2], v[8:9]
	;; [unrolled: 1-line block ×3, first 2 shown]
	s_delay_alu instid0(VALU_DEP_4) | instskip(NEXT) | instid1(VALU_DEP_1)
	v_ashrrev_i32_e32 v13, 31, v12
	v_lshlrev_b64 v[12:13], 3, v[12:13]
	s_waitcnt lgkmcnt(0)
	s_delay_alu instid0(VALU_DEP_1) | instskip(NEXT) | instid1(VALU_DEP_2)
	v_add_co_u32 v16, vcc_lo, s0, v12
	v_add_co_ci_u32_e32 v17, vcc_lo, s1, v13, vcc_lo
	s_clause 0x1
	global_load_b128 v[12:15], v[16:17], off
	global_load_b64 v[18:19], v[16:17], off offset:16
	s_waitcnt vmcnt(1)
	v_fma_f64 v[5:6], v[3:4], v[12:13], v[10:11]
	v_fma_f64 v[7:8], v[3:4], v[14:15], v[8:9]
	s_waitcnt vmcnt(0)
	v_fma_f64 v[0:1], v[3:4], v[18:19], v[0:1]
	s_clause 0x1
	global_store_b128 v[16:17], v[5:8], off
	global_store_b64 v[16:17], v[0:1], off offset:16
.LBB45_23:
	s_nop 0
	s_sendmsg sendmsg(MSG_DEALLOC_VGPRS)
	s_endpgm
	.section	.rodata,"a",@progbits
	.p2align	6, 0x0
	.amdhsa_kernel _ZN9rocsparseL19gebsrmvn_3xn_kernelILj128ELj2ELj32EdEEvi20rocsparse_direction_NS_24const_host_device_scalarIT2_EEPKiS6_PKS3_S8_S4_PS3_21rocsparse_index_base_b
		.amdhsa_group_segment_fixed_size 0
		.amdhsa_private_segment_fixed_size 0
		.amdhsa_kernarg_size 72
		.amdhsa_user_sgpr_count 15
		.amdhsa_user_sgpr_dispatch_ptr 0
		.amdhsa_user_sgpr_queue_ptr 0
		.amdhsa_user_sgpr_kernarg_segment_ptr 1
		.amdhsa_user_sgpr_dispatch_id 0
		.amdhsa_user_sgpr_private_segment_size 0
		.amdhsa_wavefront_size32 1
		.amdhsa_uses_dynamic_stack 0
		.amdhsa_enable_private_segment 0
		.amdhsa_system_sgpr_workgroup_id_x 1
		.amdhsa_system_sgpr_workgroup_id_y 0
		.amdhsa_system_sgpr_workgroup_id_z 0
		.amdhsa_system_sgpr_workgroup_info 0
		.amdhsa_system_vgpr_workitem_id 0
		.amdhsa_next_free_vgpr 35
		.amdhsa_next_free_sgpr 16
		.amdhsa_reserve_vcc 1
		.amdhsa_float_round_mode_32 0
		.amdhsa_float_round_mode_16_64 0
		.amdhsa_float_denorm_mode_32 3
		.amdhsa_float_denorm_mode_16_64 3
		.amdhsa_dx10_clamp 1
		.amdhsa_ieee_mode 1
		.amdhsa_fp16_overflow 0
		.amdhsa_workgroup_processor_mode 1
		.amdhsa_memory_ordered 1
		.amdhsa_forward_progress 0
		.amdhsa_shared_vgpr_count 0
		.amdhsa_exception_fp_ieee_invalid_op 0
		.amdhsa_exception_fp_denorm_src 0
		.amdhsa_exception_fp_ieee_div_zero 0
		.amdhsa_exception_fp_ieee_overflow 0
		.amdhsa_exception_fp_ieee_underflow 0
		.amdhsa_exception_fp_ieee_inexact 0
		.amdhsa_exception_int_div_zero 0
	.end_amdhsa_kernel
	.section	.text._ZN9rocsparseL19gebsrmvn_3xn_kernelILj128ELj2ELj32EdEEvi20rocsparse_direction_NS_24const_host_device_scalarIT2_EEPKiS6_PKS3_S8_S4_PS3_21rocsparse_index_base_b,"axG",@progbits,_ZN9rocsparseL19gebsrmvn_3xn_kernelILj128ELj2ELj32EdEEvi20rocsparse_direction_NS_24const_host_device_scalarIT2_EEPKiS6_PKS3_S8_S4_PS3_21rocsparse_index_base_b,comdat
.Lfunc_end45:
	.size	_ZN9rocsparseL19gebsrmvn_3xn_kernelILj128ELj2ELj32EdEEvi20rocsparse_direction_NS_24const_host_device_scalarIT2_EEPKiS6_PKS3_S8_S4_PS3_21rocsparse_index_base_b, .Lfunc_end45-_ZN9rocsparseL19gebsrmvn_3xn_kernelILj128ELj2ELj32EdEEvi20rocsparse_direction_NS_24const_host_device_scalarIT2_EEPKiS6_PKS3_S8_S4_PS3_21rocsparse_index_base_b
                                        ; -- End function
	.section	.AMDGPU.csdata,"",@progbits
; Kernel info:
; codeLenInByte = 2060
; NumSgprs: 18
; NumVgprs: 35
; ScratchSize: 0
; MemoryBound: 0
; FloatMode: 240
; IeeeMode: 1
; LDSByteSize: 0 bytes/workgroup (compile time only)
; SGPRBlocks: 2
; VGPRBlocks: 4
; NumSGPRsForWavesPerEU: 18
; NumVGPRsForWavesPerEU: 35
; Occupancy: 16
; WaveLimiterHint : 1
; COMPUTE_PGM_RSRC2:SCRATCH_EN: 0
; COMPUTE_PGM_RSRC2:USER_SGPR: 15
; COMPUTE_PGM_RSRC2:TRAP_HANDLER: 0
; COMPUTE_PGM_RSRC2:TGID_X_EN: 1
; COMPUTE_PGM_RSRC2:TGID_Y_EN: 0
; COMPUTE_PGM_RSRC2:TGID_Z_EN: 0
; COMPUTE_PGM_RSRC2:TIDIG_COMP_CNT: 0
	.section	.text._ZN9rocsparseL19gebsrmvn_3xn_kernelILj128ELj2ELj64EdEEvi20rocsparse_direction_NS_24const_host_device_scalarIT2_EEPKiS6_PKS3_S8_S4_PS3_21rocsparse_index_base_b,"axG",@progbits,_ZN9rocsparseL19gebsrmvn_3xn_kernelILj128ELj2ELj64EdEEvi20rocsparse_direction_NS_24const_host_device_scalarIT2_EEPKiS6_PKS3_S8_S4_PS3_21rocsparse_index_base_b,comdat
	.globl	_ZN9rocsparseL19gebsrmvn_3xn_kernelILj128ELj2ELj64EdEEvi20rocsparse_direction_NS_24const_host_device_scalarIT2_EEPKiS6_PKS3_S8_S4_PS3_21rocsparse_index_base_b ; -- Begin function _ZN9rocsparseL19gebsrmvn_3xn_kernelILj128ELj2ELj64EdEEvi20rocsparse_direction_NS_24const_host_device_scalarIT2_EEPKiS6_PKS3_S8_S4_PS3_21rocsparse_index_base_b
	.p2align	8
	.type	_ZN9rocsparseL19gebsrmvn_3xn_kernelILj128ELj2ELj64EdEEvi20rocsparse_direction_NS_24const_host_device_scalarIT2_EEPKiS6_PKS3_S8_S4_PS3_21rocsparse_index_base_b,@function
_ZN9rocsparseL19gebsrmvn_3xn_kernelILj128ELj2ELj64EdEEvi20rocsparse_direction_NS_24const_host_device_scalarIT2_EEPKiS6_PKS3_S8_S4_PS3_21rocsparse_index_base_b: ; @_ZN9rocsparseL19gebsrmvn_3xn_kernelILj128ELj2ELj64EdEEvi20rocsparse_direction_NS_24const_host_device_scalarIT2_EEPKiS6_PKS3_S8_S4_PS3_21rocsparse_index_base_b
; %bb.0:
	s_clause 0x2
	s_load_b64 s[12:13], s[0:1], 0x40
	s_load_b64 s[4:5], s[0:1], 0x8
	;; [unrolled: 1-line block ×3, first 2 shown]
	s_waitcnt lgkmcnt(0)
	s_bitcmp1_b32 s13, 0
	v_dual_mov_b32 v1, s4 :: v_dual_mov_b32 v2, s5
	s_cselect_b32 s6, -1, 0
	s_delay_alu instid0(SALU_CYCLE_1)
	s_and_b32 vcc_lo, exec_lo, s6
	s_xor_b32 s6, s6, -1
	s_cbranch_vccnz .LBB46_2
; %bb.1:
	v_dual_mov_b32 v1, s4 :: v_dual_mov_b32 v2, s5
	flat_load_b64 v[1:2], v[1:2]
.LBB46_2:
	v_dual_mov_b32 v4, s3 :: v_dual_mov_b32 v3, s2
	s_and_not1_b32 vcc_lo, exec_lo, s6
	s_cbranch_vccnz .LBB46_4
; %bb.3:
	v_dual_mov_b32 v4, s3 :: v_dual_mov_b32 v3, s2
	flat_load_b64 v[3:4], v[3:4]
.LBB46_4:
	s_waitcnt vmcnt(0) lgkmcnt(0)
	v_cmp_neq_f64_e32 vcc_lo, 0, v[1:2]
	v_cmp_neq_f64_e64 s2, 1.0, v[3:4]
	s_delay_alu instid0(VALU_DEP_1) | instskip(NEXT) | instid1(SALU_CYCLE_1)
	s_or_b32 s2, vcc_lo, s2
	s_and_saveexec_b32 s3, s2
	s_cbranch_execz .LBB46_23
; %bb.5:
	s_load_b64 s[2:3], s[0:1], 0x0
	v_lshrrev_b32_e32 v5, 6, v0
	s_delay_alu instid0(VALU_DEP_1) | instskip(SKIP_1) | instid1(VALU_DEP_1)
	v_lshl_or_b32 v5, s15, 1, v5
	s_waitcnt lgkmcnt(0)
	v_cmp_gt_i32_e32 vcc_lo, s2, v5
	s_and_b32 exec_lo, exec_lo, vcc_lo
	s_cbranch_execz .LBB46_23
; %bb.6:
	s_load_b256 s[4:11], s[0:1], 0x10
	v_ashrrev_i32_e32 v6, 31, v5
	v_and_b32_e32 v0, 63, v0
	s_cmp_lg_u32 s3, 0
	s_delay_alu instid0(VALU_DEP_2) | instskip(SKIP_1) | instid1(VALU_DEP_1)
	v_lshlrev_b64 v[6:7], 2, v[5:6]
	s_waitcnt lgkmcnt(0)
	v_add_co_u32 v6, vcc_lo, s4, v6
	s_delay_alu instid0(VALU_DEP_2) | instskip(SKIP_4) | instid1(VALU_DEP_2)
	v_add_co_ci_u32_e32 v7, vcc_lo, s5, v7, vcc_lo
	global_load_b64 v[6:7], v[6:7], off
	s_waitcnt vmcnt(0)
	v_subrev_nc_u32_e32 v6, s12, v6
	v_subrev_nc_u32_e32 v18, s12, v7
	v_add_nc_u32_e32 v12, v6, v0
	s_delay_alu instid0(VALU_DEP_1)
	v_cmp_lt_i32_e64 s2, v12, v18
	s_cbranch_scc0 .LBB46_12
; %bb.7:
	v_mov_b32_e32 v6, 0
	v_mov_b32_e32 v7, 0
	s_delay_alu instid0(VALU_DEP_1)
	v_dual_mov_b32 v9, v7 :: v_dual_mov_b32 v8, v6
	v_dual_mov_b32 v11, v7 :: v_dual_mov_b32 v10, v6
	s_and_saveexec_b32 s3, s2
	s_cbranch_execz .LBB46_11
; %bb.8:
	v_dual_mov_b32 v6, 0 :: v_dual_mov_b32 v15, 0
	v_dual_mov_b32 v7, 0 :: v_dual_mov_b32 v16, v12
	v_mad_u64_u32 v[13:14], null, v12, 6, 5
	s_mov_b32 s4, 0
	s_delay_alu instid0(VALU_DEP_2)
	v_dual_mov_b32 v9, v7 :: v_dual_mov_b32 v8, v6
	v_dual_mov_b32 v11, v7 :: v_dual_mov_b32 v10, v6
.LBB46_9:                               ; =>This Inner Loop Header: Depth=1
	v_ashrrev_i32_e32 v17, 31, v16
	s_delay_alu instid0(VALU_DEP_4) | instskip(NEXT) | instid1(VALU_DEP_2)
	v_add_nc_u32_e32 v14, -5, v13
	v_lshlrev_b64 v[19:20], 2, v[16:17]
	s_delay_alu instid0(VALU_DEP_2) | instskip(SKIP_2) | instid1(VALU_DEP_4)
	v_lshlrev_b64 v[21:22], 3, v[14:15]
	v_add_nc_u32_e32 v14, -3, v13
	v_add_nc_u32_e32 v16, 64, v16
	v_add_co_u32 v19, vcc_lo, s6, v19
	v_add_co_ci_u32_e32 v20, vcc_lo, s7, v20, vcc_lo
	s_delay_alu instid0(VALU_DEP_4)
	v_lshlrev_b64 v[23:24], 3, v[14:15]
	v_add_co_u32 v21, vcc_lo, s8, v21
	global_load_b32 v17, v[19:20], off
	v_add_co_ci_u32_e32 v22, vcc_lo, s9, v22, vcc_lo
	v_add_co_u32 v23, vcc_lo, s8, v23
	v_add_co_ci_u32_e32 v24, vcc_lo, s9, v24, vcc_lo
	s_waitcnt vmcnt(0)
	v_subrev_nc_u32_e32 v14, s12, v17
	s_delay_alu instid0(VALU_DEP_1) | instskip(SKIP_1) | instid1(VALU_DEP_2)
	v_dual_mov_b32 v20, v15 :: v_dual_lshlrev_b32 v19, 1, v14
	v_mov_b32_e32 v14, v15
	v_lshlrev_b64 v[19:20], 3, v[19:20]
	s_delay_alu instid0(VALU_DEP_2) | instskip(SKIP_1) | instid1(VALU_DEP_3)
	v_lshlrev_b64 v[29:30], 3, v[13:14]
	v_add_nc_u32_e32 v14, -2, v13
	v_add_co_u32 v25, vcc_lo, s10, v19
	s_delay_alu instid0(VALU_DEP_4) | instskip(NEXT) | instid1(VALU_DEP_3)
	v_add_co_ci_u32_e32 v26, vcc_lo, s11, v20, vcc_lo
	v_lshlrev_b64 v[31:32], 3, v[14:15]
	s_clause 0x1
	global_load_b128 v[19:22], v[21:22], off
	global_load_b64 v[27:28], v[23:24], off
	global_load_b128 v[23:26], v[25:26], off
	v_add_nc_u32_e32 v14, -1, v13
	v_add_nc_u32_e32 v13, 0x180, v13
	v_add_co_u32 v29, vcc_lo, s8, v29
	v_add_co_ci_u32_e32 v30, vcc_lo, s9, v30, vcc_lo
	s_delay_alu instid0(VALU_DEP_4) | instskip(SKIP_2) | instid1(VALU_DEP_3)
	v_lshlrev_b64 v[33:34], 3, v[14:15]
	v_add_co_u32 v31, vcc_lo, s8, v31
	v_add_co_ci_u32_e32 v32, vcc_lo, s9, v32, vcc_lo
	v_add_co_u32 v33, vcc_lo, s8, v33
	s_delay_alu instid0(VALU_DEP_4)
	v_add_co_ci_u32_e32 v34, vcc_lo, s9, v34, vcc_lo
	s_clause 0x2
	global_load_b64 v[31:32], v[31:32], off
	global_load_b64 v[33:34], v[33:34], off
	;; [unrolled: 1-line block ×3, first 2 shown]
	v_cmp_ge_i32_e32 vcc_lo, v16, v18
	s_or_b32 s4, vcc_lo, s4
	s_waitcnt vmcnt(3)
	v_fma_f64 v[6:7], v[19:20], v[23:24], v[6:7]
	v_fma_f64 v[10:11], v[21:22], v[23:24], v[10:11]
	;; [unrolled: 1-line block ×3, first 2 shown]
	s_waitcnt vmcnt(2)
	s_delay_alu instid0(VALU_DEP_3) | instskip(SKIP_1) | instid1(VALU_DEP_3)
	v_fma_f64 v[6:7], v[31:32], v[25:26], v[6:7]
	s_waitcnt vmcnt(1)
	v_fma_f64 v[10:11], v[33:34], v[25:26], v[10:11]
	s_waitcnt vmcnt(0)
	s_delay_alu instid0(VALU_DEP_3)
	v_fma_f64 v[8:9], v[29:30], v[25:26], v[8:9]
	s_and_not1_b32 exec_lo, exec_lo, s4
	s_cbranch_execnz .LBB46_9
; %bb.10:
	s_or_b32 exec_lo, exec_lo, s4
.LBB46_11:
	s_delay_alu instid0(SALU_CYCLE_1)
	s_or_b32 exec_lo, exec_lo, s3
	s_cbranch_execz .LBB46_13
	s_branch .LBB46_18
.LBB46_12:
                                        ; implicit-def: $vgpr6_vgpr7
                                        ; implicit-def: $vgpr8_vgpr9
                                        ; implicit-def: $vgpr10_vgpr11
.LBB46_13:
	v_mov_b32_e32 v6, 0
	v_mov_b32_e32 v7, 0
	s_delay_alu instid0(VALU_DEP_1)
	v_dual_mov_b32 v9, v7 :: v_dual_mov_b32 v8, v6
	v_dual_mov_b32 v11, v7 :: v_dual_mov_b32 v10, v6
	s_and_saveexec_b32 s3, s2
	s_cbranch_execz .LBB46_17
; %bb.14:
	v_dual_mov_b32 v6, 0 :: v_dual_mov_b32 v17, 0
	v_mov_b32_e32 v7, 0
	v_mad_u64_u32 v[14:15], null, v12, 6, 5
	s_mov_b32 s2, 0
	s_delay_alu instid0(VALU_DEP_2)
	v_dual_mov_b32 v9, v7 :: v_dual_mov_b32 v8, v6
	v_dual_mov_b32 v11, v7 :: v_dual_mov_b32 v10, v6
.LBB46_15:                              ; =>This Inner Loop Header: Depth=1
	v_ashrrev_i32_e32 v13, 31, v12
	s_delay_alu instid0(VALU_DEP_4) | instskip(SKIP_1) | instid1(VALU_DEP_3)
	v_dual_mov_b32 v24, v17 :: v_dual_add_nc_u32 v19, -3, v14
	v_dual_mov_b32 v20, v17 :: v_dual_add_nc_u32 v21, -1, v14
	v_lshlrev_b64 v[15:16], 2, v[12:13]
	v_add_nc_u32_e32 v12, 64, v12
	s_delay_alu instid0(VALU_DEP_3) | instskip(NEXT) | instid1(VALU_DEP_3)
	v_lshlrev_b64 v[19:20], 3, v[19:20]
	v_add_co_u32 v15, vcc_lo, s6, v15
	s_delay_alu instid0(VALU_DEP_4) | instskip(SKIP_2) | instid1(VALU_DEP_1)
	v_add_co_ci_u32_e32 v16, vcc_lo, s7, v16, vcc_lo
	global_load_b32 v13, v[15:16], off
	v_add_nc_u32_e32 v16, -5, v14
	v_lshlrev_b64 v[15:16], 3, v[16:17]
	s_delay_alu instid0(VALU_DEP_1) | instskip(NEXT) | instid1(VALU_DEP_2)
	v_add_co_u32 v15, vcc_lo, s8, v15
	v_add_co_ci_u32_e32 v16, vcc_lo, s9, v16, vcc_lo
	v_add_co_u32 v25, vcc_lo, s8, v19
	v_add_co_ci_u32_e32 v26, vcc_lo, s9, v20, vcc_lo
	s_waitcnt vmcnt(0)
	v_subrev_nc_u32_e32 v13, s12, v13
	s_delay_alu instid0(VALU_DEP_1) | instskip(NEXT) | instid1(VALU_DEP_1)
	v_dual_mov_b32 v22, v17 :: v_dual_lshlrev_b32 v23, 1, v13
	v_lshlrev_b64 v[21:22], 3, v[21:22]
	s_delay_alu instid0(VALU_DEP_1) | instskip(NEXT) | instid1(VALU_DEP_2)
	v_add_co_u32 v27, vcc_lo, s8, v21
	v_add_co_ci_u32_e32 v28, vcc_lo, s9, v22, vcc_lo
	global_load_b128 v[19:22], v[15:16], off
	v_lshlrev_b64 v[15:16], 3, v[23:24]
	s_delay_alu instid0(VALU_DEP_1) | instskip(NEXT) | instid1(VALU_DEP_2)
	v_add_co_u32 v15, vcc_lo, s10, v15
	v_add_co_ci_u32_e32 v16, vcc_lo, s11, v16, vcc_lo
	s_clause 0x1
	global_load_b64 v[29:30], v[25:26], off
	global_load_b64 v[27:28], v[27:28], off
	global_load_b128 v[23:26], v[15:16], off
	v_dual_mov_b32 v15, v17 :: v_dual_add_nc_u32 v16, -2, v14
	s_delay_alu instid0(VALU_DEP_1) | instskip(NEXT) | instid1(VALU_DEP_2)
	v_lshlrev_b64 v[31:32], 3, v[14:15]
	v_lshlrev_b64 v[15:16], 3, v[16:17]
	v_add_nc_u32_e32 v14, 0x180, v14
	s_delay_alu instid0(VALU_DEP_3) | instskip(NEXT) | instid1(VALU_DEP_4)
	v_add_co_u32 v31, vcc_lo, s8, v31
	v_add_co_ci_u32_e32 v32, vcc_lo, s9, v32, vcc_lo
	s_delay_alu instid0(VALU_DEP_4)
	v_add_co_u32 v15, vcc_lo, s8, v15
	v_add_co_ci_u32_e32 v16, vcc_lo, s9, v16, vcc_lo
	s_clause 0x1
	global_load_b64 v[15:16], v[15:16], off
	global_load_b64 v[31:32], v[31:32], off
	v_cmp_ge_i32_e32 vcc_lo, v12, v18
	s_or_b32 s2, vcc_lo, s2
	s_waitcnt vmcnt(2)
	v_fma_f64 v[6:7], v[19:20], v[23:24], v[6:7]
	v_fma_f64 v[10:11], v[29:30], v[23:24], v[10:11]
	;; [unrolled: 1-line block ×3, first 2 shown]
	s_delay_alu instid0(VALU_DEP_3) | instskip(SKIP_1) | instid1(VALU_DEP_3)
	v_fma_f64 v[6:7], v[21:22], v[25:26], v[6:7]
	s_waitcnt vmcnt(1)
	v_fma_f64 v[10:11], v[15:16], v[25:26], v[10:11]
	s_waitcnt vmcnt(0)
	s_delay_alu instid0(VALU_DEP_3)
	v_fma_f64 v[8:9], v[31:32], v[25:26], v[8:9]
	s_and_not1_b32 exec_lo, exec_lo, s2
	s_cbranch_execnz .LBB46_15
; %bb.16:
	s_or_b32 exec_lo, exec_lo, s2
.LBB46_17:
	s_delay_alu instid0(SALU_CYCLE_1)
	s_or_b32 exec_lo, exec_lo, s3
.LBB46_18:
	v_mbcnt_lo_u32_b32 v18, -1, 0
	s_delay_alu instid0(VALU_DEP_1) | instskip(NEXT) | instid1(VALU_DEP_1)
	v_or_b32_e32 v12, 32, v18
	v_cmp_gt_i32_e32 vcc_lo, 32, v12
	v_cndmask_b32_e32 v12, v18, v12, vcc_lo
	s_delay_alu instid0(VALU_DEP_1)
	v_lshlrev_b32_e32 v17, 2, v12
	ds_bpermute_b32 v12, v17, v6
	ds_bpermute_b32 v13, v17, v7
	ds_bpermute_b32 v14, v17, v10
	ds_bpermute_b32 v15, v17, v11
	ds_bpermute_b32 v16, v17, v8
	ds_bpermute_b32 v17, v17, v9
	s_waitcnt lgkmcnt(4)
	v_add_f64 v[6:7], v[6:7], v[12:13]
	v_xor_b32_e32 v12, 16, v18
	s_waitcnt lgkmcnt(2)
	v_add_f64 v[10:11], v[10:11], v[14:15]
	s_waitcnt lgkmcnt(0)
	v_add_f64 v[8:9], v[8:9], v[16:17]
	v_cmp_gt_i32_e32 vcc_lo, 32, v12
	v_cndmask_b32_e32 v12, v18, v12, vcc_lo
	s_delay_alu instid0(VALU_DEP_1)
	v_lshlrev_b32_e32 v17, 2, v12
	ds_bpermute_b32 v12, v17, v6
	ds_bpermute_b32 v13, v17, v7
	ds_bpermute_b32 v14, v17, v10
	ds_bpermute_b32 v15, v17, v11
	ds_bpermute_b32 v16, v17, v8
	ds_bpermute_b32 v17, v17, v9
	s_waitcnt lgkmcnt(4)
	v_add_f64 v[6:7], v[6:7], v[12:13]
	v_xor_b32_e32 v12, 8, v18
	s_waitcnt lgkmcnt(2)
	v_add_f64 v[10:11], v[10:11], v[14:15]
	s_waitcnt lgkmcnt(0)
	v_add_f64 v[8:9], v[8:9], v[16:17]
	;; [unrolled: 17-line block ×3, first 2 shown]
	v_cmp_gt_i32_e32 vcc_lo, 32, v12
	v_cndmask_b32_e32 v12, v18, v12, vcc_lo
	s_delay_alu instid0(VALU_DEP_1)
	v_lshlrev_b32_e32 v17, 2, v12
	ds_bpermute_b32 v12, v17, v6
	ds_bpermute_b32 v13, v17, v7
	;; [unrolled: 1-line block ×6, first 2 shown]
	s_waitcnt lgkmcnt(4)
	v_add_f64 v[6:7], v[6:7], v[12:13]
	s_waitcnt lgkmcnt(2)
	v_add_f64 v[10:11], v[10:11], v[14:15]
	;; [unrolled: 2-line block ×3, first 2 shown]
	v_xor_b32_e32 v8, 2, v18
	s_delay_alu instid0(VALU_DEP_1) | instskip(SKIP_1) | instid1(VALU_DEP_1)
	v_cmp_gt_i32_e32 vcc_lo, 32, v8
	v_cndmask_b32_e32 v8, v18, v8, vcc_lo
	v_lshlrev_b32_e32 v17, 2, v8
	ds_bpermute_b32 v8, v17, v6
	ds_bpermute_b32 v9, v17, v7
	;; [unrolled: 1-line block ×6, first 2 shown]
	s_waitcnt lgkmcnt(4)
	v_add_f64 v[8:9], v[6:7], v[8:9]
	s_waitcnt lgkmcnt(2)
	v_add_f64 v[6:7], v[10:11], v[14:15]
	v_xor_b32_e32 v10, 1, v18
	s_waitcnt lgkmcnt(0)
	v_add_f64 v[12:13], v[12:13], v[16:17]
	s_delay_alu instid0(VALU_DEP_2) | instskip(SKIP_2) | instid1(VALU_DEP_2)
	v_cmp_gt_i32_e32 vcc_lo, 32, v10
	v_cndmask_b32_e32 v10, v18, v10, vcc_lo
	v_cmp_eq_u32_e32 vcc_lo, 63, v0
	v_lshlrev_b32_e32 v15, 2, v10
	ds_bpermute_b32 v10, v15, v8
	ds_bpermute_b32 v11, v15, v9
	;; [unrolled: 1-line block ×6, first 2 shown]
	s_and_b32 exec_lo, exec_lo, vcc_lo
	s_cbranch_execz .LBB46_23
; %bb.19:
	s_waitcnt lgkmcnt(4)
	v_add_f64 v[10:11], v[8:9], v[10:11]
	s_waitcnt lgkmcnt(2)
	v_add_f64 v[8:9], v[6:7], v[16:17]
	s_waitcnt lgkmcnt(0)
	v_add_f64 v[6:7], v[12:13], v[14:15]
	s_load_b64 s[0:1], s[0:1], 0x38
	s_mov_b32 s2, exec_lo
	v_cmpx_eq_f64_e32 0, v[3:4]
	s_xor_b32 s2, exec_lo, s2
	s_cbranch_execz .LBB46_21
; %bb.20:
	s_delay_alu instid0(VALU_DEP_4) | instskip(NEXT) | instid1(VALU_DEP_4)
	v_mul_f64 v[10:11], v[1:2], v[10:11]
	v_mul_f64 v[12:13], v[1:2], v[8:9]
	s_delay_alu instid0(VALU_DEP_4) | instskip(SKIP_1) | instid1(VALU_DEP_1)
	v_mul_f64 v[0:1], v[1:2], v[6:7]
	v_lshl_add_u32 v2, v5, 1, v5
                                        ; implicit-def: $vgpr5
                                        ; implicit-def: $vgpr8_vgpr9
                                        ; implicit-def: $vgpr6_vgpr7
	v_ashrrev_i32_e32 v3, 31, v2
	s_delay_alu instid0(VALU_DEP_1) | instskip(SKIP_1) | instid1(VALU_DEP_1)
	v_lshlrev_b64 v[2:3], 3, v[2:3]
	s_waitcnt lgkmcnt(0)
	v_add_co_u32 v2, vcc_lo, s0, v2
	s_delay_alu instid0(VALU_DEP_2)
	v_add_co_ci_u32_e32 v3, vcc_lo, s1, v3, vcc_lo
	s_clause 0x1
	global_store_b128 v[2:3], v[10:13], off
	global_store_b64 v[2:3], v[0:1], off offset:16
                                        ; implicit-def: $vgpr1_vgpr2
                                        ; implicit-def: $vgpr10_vgpr11
                                        ; implicit-def: $vgpr3_vgpr4
.LBB46_21:
	s_and_not1_saveexec_b32 s2, s2
	s_cbranch_execz .LBB46_23
; %bb.22:
	v_lshl_add_u32 v12, v5, 1, v5
	v_mul_f64 v[10:11], v[1:2], v[10:11]
	v_mul_f64 v[8:9], v[1:2], v[8:9]
	;; [unrolled: 1-line block ×3, first 2 shown]
	s_delay_alu instid0(VALU_DEP_4) | instskip(NEXT) | instid1(VALU_DEP_1)
	v_ashrrev_i32_e32 v13, 31, v12
	v_lshlrev_b64 v[12:13], 3, v[12:13]
	s_waitcnt lgkmcnt(0)
	s_delay_alu instid0(VALU_DEP_1) | instskip(NEXT) | instid1(VALU_DEP_2)
	v_add_co_u32 v16, vcc_lo, s0, v12
	v_add_co_ci_u32_e32 v17, vcc_lo, s1, v13, vcc_lo
	s_clause 0x1
	global_load_b128 v[12:15], v[16:17], off
	global_load_b64 v[18:19], v[16:17], off offset:16
	s_waitcnt vmcnt(1)
	v_fma_f64 v[5:6], v[3:4], v[12:13], v[10:11]
	v_fma_f64 v[7:8], v[3:4], v[14:15], v[8:9]
	s_waitcnt vmcnt(0)
	v_fma_f64 v[0:1], v[3:4], v[18:19], v[0:1]
	s_clause 0x1
	global_store_b128 v[16:17], v[5:8], off
	global_store_b64 v[16:17], v[0:1], off offset:16
.LBB46_23:
	s_nop 0
	s_sendmsg sendmsg(MSG_DEALLOC_VGPRS)
	s_endpgm
	.section	.rodata,"a",@progbits
	.p2align	6, 0x0
	.amdhsa_kernel _ZN9rocsparseL19gebsrmvn_3xn_kernelILj128ELj2ELj64EdEEvi20rocsparse_direction_NS_24const_host_device_scalarIT2_EEPKiS6_PKS3_S8_S4_PS3_21rocsparse_index_base_b
		.amdhsa_group_segment_fixed_size 0
		.amdhsa_private_segment_fixed_size 0
		.amdhsa_kernarg_size 72
		.amdhsa_user_sgpr_count 15
		.amdhsa_user_sgpr_dispatch_ptr 0
		.amdhsa_user_sgpr_queue_ptr 0
		.amdhsa_user_sgpr_kernarg_segment_ptr 1
		.amdhsa_user_sgpr_dispatch_id 0
		.amdhsa_user_sgpr_private_segment_size 0
		.amdhsa_wavefront_size32 1
		.amdhsa_uses_dynamic_stack 0
		.amdhsa_enable_private_segment 0
		.amdhsa_system_sgpr_workgroup_id_x 1
		.amdhsa_system_sgpr_workgroup_id_y 0
		.amdhsa_system_sgpr_workgroup_id_z 0
		.amdhsa_system_sgpr_workgroup_info 0
		.amdhsa_system_vgpr_workitem_id 0
		.amdhsa_next_free_vgpr 35
		.amdhsa_next_free_sgpr 16
		.amdhsa_reserve_vcc 1
		.amdhsa_float_round_mode_32 0
		.amdhsa_float_round_mode_16_64 0
		.amdhsa_float_denorm_mode_32 3
		.amdhsa_float_denorm_mode_16_64 3
		.amdhsa_dx10_clamp 1
		.amdhsa_ieee_mode 1
		.amdhsa_fp16_overflow 0
		.amdhsa_workgroup_processor_mode 1
		.amdhsa_memory_ordered 1
		.amdhsa_forward_progress 0
		.amdhsa_shared_vgpr_count 0
		.amdhsa_exception_fp_ieee_invalid_op 0
		.amdhsa_exception_fp_denorm_src 0
		.amdhsa_exception_fp_ieee_div_zero 0
		.amdhsa_exception_fp_ieee_overflow 0
		.amdhsa_exception_fp_ieee_underflow 0
		.amdhsa_exception_fp_ieee_inexact 0
		.amdhsa_exception_int_div_zero 0
	.end_amdhsa_kernel
	.section	.text._ZN9rocsparseL19gebsrmvn_3xn_kernelILj128ELj2ELj64EdEEvi20rocsparse_direction_NS_24const_host_device_scalarIT2_EEPKiS6_PKS3_S8_S4_PS3_21rocsparse_index_base_b,"axG",@progbits,_ZN9rocsparseL19gebsrmvn_3xn_kernelILj128ELj2ELj64EdEEvi20rocsparse_direction_NS_24const_host_device_scalarIT2_EEPKiS6_PKS3_S8_S4_PS3_21rocsparse_index_base_b,comdat
.Lfunc_end46:
	.size	_ZN9rocsparseL19gebsrmvn_3xn_kernelILj128ELj2ELj64EdEEvi20rocsparse_direction_NS_24const_host_device_scalarIT2_EEPKiS6_PKS3_S8_S4_PS3_21rocsparse_index_base_b, .Lfunc_end46-_ZN9rocsparseL19gebsrmvn_3xn_kernelILj128ELj2ELj64EdEEvi20rocsparse_direction_NS_24const_host_device_scalarIT2_EEPKiS6_PKS3_S8_S4_PS3_21rocsparse_index_base_b
                                        ; -- End function
	.section	.AMDGPU.csdata,"",@progbits
; Kernel info:
; codeLenInByte = 2164
; NumSgprs: 18
; NumVgprs: 35
; ScratchSize: 0
; MemoryBound: 0
; FloatMode: 240
; IeeeMode: 1
; LDSByteSize: 0 bytes/workgroup (compile time only)
; SGPRBlocks: 2
; VGPRBlocks: 4
; NumSGPRsForWavesPerEU: 18
; NumVGPRsForWavesPerEU: 35
; Occupancy: 16
; WaveLimiterHint : 1
; COMPUTE_PGM_RSRC2:SCRATCH_EN: 0
; COMPUTE_PGM_RSRC2:USER_SGPR: 15
; COMPUTE_PGM_RSRC2:TRAP_HANDLER: 0
; COMPUTE_PGM_RSRC2:TGID_X_EN: 1
; COMPUTE_PGM_RSRC2:TGID_Y_EN: 0
; COMPUTE_PGM_RSRC2:TGID_Z_EN: 0
; COMPUTE_PGM_RSRC2:TIDIG_COMP_CNT: 0
	.section	.text._ZN9rocsparseL19gebsrmvn_3xn_kernelILj128ELj4ELj4EdEEvi20rocsparse_direction_NS_24const_host_device_scalarIT2_EEPKiS6_PKS3_S8_S4_PS3_21rocsparse_index_base_b,"axG",@progbits,_ZN9rocsparseL19gebsrmvn_3xn_kernelILj128ELj4ELj4EdEEvi20rocsparse_direction_NS_24const_host_device_scalarIT2_EEPKiS6_PKS3_S8_S4_PS3_21rocsparse_index_base_b,comdat
	.globl	_ZN9rocsparseL19gebsrmvn_3xn_kernelILj128ELj4ELj4EdEEvi20rocsparse_direction_NS_24const_host_device_scalarIT2_EEPKiS6_PKS3_S8_S4_PS3_21rocsparse_index_base_b ; -- Begin function _ZN9rocsparseL19gebsrmvn_3xn_kernelILj128ELj4ELj4EdEEvi20rocsparse_direction_NS_24const_host_device_scalarIT2_EEPKiS6_PKS3_S8_S4_PS3_21rocsparse_index_base_b
	.p2align	8
	.type	_ZN9rocsparseL19gebsrmvn_3xn_kernelILj128ELj4ELj4EdEEvi20rocsparse_direction_NS_24const_host_device_scalarIT2_EEPKiS6_PKS3_S8_S4_PS3_21rocsparse_index_base_b,@function
_ZN9rocsparseL19gebsrmvn_3xn_kernelILj128ELj4ELj4EdEEvi20rocsparse_direction_NS_24const_host_device_scalarIT2_EEPKiS6_PKS3_S8_S4_PS3_21rocsparse_index_base_b: ; @_ZN9rocsparseL19gebsrmvn_3xn_kernelILj128ELj4ELj4EdEEvi20rocsparse_direction_NS_24const_host_device_scalarIT2_EEPKiS6_PKS3_S8_S4_PS3_21rocsparse_index_base_b
; %bb.0:
	s_clause 0x2
	s_load_b64 s[12:13], s[0:1], 0x40
	s_load_b64 s[4:5], s[0:1], 0x8
	;; [unrolled: 1-line block ×3, first 2 shown]
	s_waitcnt lgkmcnt(0)
	s_bitcmp1_b32 s13, 0
	v_dual_mov_b32 v1, s4 :: v_dual_mov_b32 v2, s5
	s_cselect_b32 s6, -1, 0
	s_delay_alu instid0(SALU_CYCLE_1)
	s_and_b32 vcc_lo, exec_lo, s6
	s_xor_b32 s6, s6, -1
	s_cbranch_vccnz .LBB47_2
; %bb.1:
	v_dual_mov_b32 v1, s4 :: v_dual_mov_b32 v2, s5
	flat_load_b64 v[1:2], v[1:2]
.LBB47_2:
	v_dual_mov_b32 v4, s3 :: v_dual_mov_b32 v3, s2
	s_and_not1_b32 vcc_lo, exec_lo, s6
	s_cbranch_vccnz .LBB47_4
; %bb.3:
	v_dual_mov_b32 v4, s3 :: v_dual_mov_b32 v3, s2
	flat_load_b64 v[3:4], v[3:4]
.LBB47_4:
	s_waitcnt vmcnt(0) lgkmcnt(0)
	v_cmp_neq_f64_e32 vcc_lo, 0, v[1:2]
	v_cmp_neq_f64_e64 s2, 1.0, v[3:4]
	s_delay_alu instid0(VALU_DEP_1) | instskip(NEXT) | instid1(SALU_CYCLE_1)
	s_or_b32 s2, vcc_lo, s2
	s_and_saveexec_b32 s3, s2
	s_cbranch_execz .LBB47_23
; %bb.5:
	s_load_b64 s[2:3], s[0:1], 0x0
	v_lshrrev_b32_e32 v5, 2, v0
	s_delay_alu instid0(VALU_DEP_1) | instskip(SKIP_1) | instid1(VALU_DEP_1)
	v_lshl_or_b32 v5, s15, 5, v5
	s_waitcnt lgkmcnt(0)
	v_cmp_gt_i32_e32 vcc_lo, s2, v5
	s_and_b32 exec_lo, exec_lo, vcc_lo
	s_cbranch_execz .LBB47_23
; %bb.6:
	s_load_b256 s[4:11], s[0:1], 0x10
	v_ashrrev_i32_e32 v6, 31, v5
	v_and_b32_e32 v0, 3, v0
	s_cmp_lg_u32 s3, 0
	s_delay_alu instid0(VALU_DEP_2) | instskip(SKIP_1) | instid1(VALU_DEP_1)
	v_lshlrev_b64 v[6:7], 2, v[5:6]
	s_waitcnt lgkmcnt(0)
	v_add_co_u32 v6, vcc_lo, s4, v6
	s_delay_alu instid0(VALU_DEP_2) | instskip(SKIP_4) | instid1(VALU_DEP_2)
	v_add_co_ci_u32_e32 v7, vcc_lo, s5, v7, vcc_lo
	global_load_b64 v[6:7], v[6:7], off
	s_waitcnt vmcnt(0)
	v_subrev_nc_u32_e32 v6, s12, v6
	v_subrev_nc_u32_e32 v19, s12, v7
	v_add_nc_u32_e32 v8, v6, v0
	s_delay_alu instid0(VALU_DEP_1)
	v_cmp_lt_i32_e64 s2, v8, v19
	s_cbranch_scc0 .LBB47_12
; %bb.7:
	v_mov_b32_e32 v6, 0
	v_mov_b32_e32 v7, 0
	s_delay_alu instid0(VALU_DEP_1)
	v_dual_mov_b32 v11, v7 :: v_dual_mov_b32 v10, v6
	v_dual_mov_b32 v13, v7 :: v_dual_mov_b32 v12, v6
	s_and_saveexec_b32 s3, s2
	s_cbranch_execz .LBB47_11
; %bb.8:
	v_dual_mov_b32 v6, 0 :: v_dual_mov_b32 v17, v8
	v_dual_mov_b32 v7, 0 :: v_dual_mov_b32 v16, 0
	v_mad_u64_u32 v[14:15], null, v8, 12, 11
	s_mov_b32 s4, 0
	s_delay_alu instid0(VALU_DEP_2)
	v_dual_mov_b32 v11, v7 :: v_dual_mov_b32 v10, v6
	v_dual_mov_b32 v13, v7 :: v_dual_mov_b32 v12, v6
.LBB47_9:                               ; =>This Inner Loop Header: Depth=1
	v_ashrrev_i32_e32 v18, 31, v17
	s_delay_alu instid0(VALU_DEP_4) | instskip(NEXT) | instid1(VALU_DEP_2)
	v_add_nc_u32_e32 v15, -11, v14
	v_lshlrev_b64 v[20:21], 2, v[17:18]
	s_delay_alu instid0(VALU_DEP_2) | instskip(SKIP_2) | instid1(VALU_DEP_4)
	v_lshlrev_b64 v[22:23], 3, v[15:16]
	v_add_nc_u32_e32 v15, -7, v14
	v_add_nc_u32_e32 v17, 4, v17
	v_add_co_u32 v20, vcc_lo, s6, v20
	v_add_co_ci_u32_e32 v21, vcc_lo, s7, v21, vcc_lo
	v_add_co_u32 v24, vcc_lo, s8, v22
	v_add_co_ci_u32_e32 v25, vcc_lo, s9, v23, vcc_lo
	global_load_b32 v9, v[20:21], off
	v_lshlrev_b64 v[36:37], 3, v[15:16]
	v_add_nc_u32_e32 v15, -6, v14
	s_delay_alu instid0(VALU_DEP_1) | instskip(SKIP_1) | instid1(VALU_DEP_1)
	v_lshlrev_b64 v[38:39], 3, v[15:16]
	v_add_nc_u32_e32 v15, -5, v14
	v_lshlrev_b64 v[40:41], 3, v[15:16]
	v_add_nc_u32_e32 v15, -4, v14
	s_delay_alu instid0(VALU_DEP_1) | instskip(SKIP_1) | instid1(VALU_DEP_1)
	v_lshlrev_b64 v[42:43], 3, v[15:16]
	v_add_nc_u32_e32 v15, -3, v14
	v_lshlrev_b64 v[44:45], 3, v[15:16]
	v_mov_b32_e32 v15, v16
	s_delay_alu instid0(VALU_DEP_1) | instskip(SKIP_1) | instid1(VALU_DEP_1)
	v_lshlrev_b64 v[46:47], 3, v[14:15]
	v_add_nc_u32_e32 v15, -2, v14
	v_lshlrev_b64 v[48:49], 3, v[15:16]
	v_add_nc_u32_e32 v15, -1, v14
	v_add_nc_u32_e32 v14, 48, v14
	s_delay_alu instid0(VALU_DEP_2) | instskip(SKIP_2) | instid1(VALU_DEP_1)
	v_lshlrev_b64 v[50:51], 3, v[15:16]
	s_waitcnt vmcnt(0)
	v_subrev_nc_u32_e32 v9, s12, v9
	v_dual_mov_b32 v21, v16 :: v_dual_lshlrev_b32 v20, 2, v9
	s_delay_alu instid0(VALU_DEP_1) | instskip(NEXT) | instid1(VALU_DEP_1)
	v_lshlrev_b64 v[20:21], 3, v[20:21]
	v_add_co_u32 v32, vcc_lo, s10, v20
	s_delay_alu instid0(VALU_DEP_2)
	v_add_co_ci_u32_e32 v33, vcc_lo, s11, v21, vcc_lo
	s_clause 0x1
	global_load_b128 v[20:23], v[24:25], off offset:16
	global_load_b128 v[24:27], v[24:25], off
	s_clause 0x1
	global_load_b128 v[28:31], v[32:33], off
	global_load_b128 v[32:35], v[32:33], off offset:16
	v_add_co_u32 v36, vcc_lo, s8, v36
	v_add_co_ci_u32_e32 v37, vcc_lo, s9, v37, vcc_lo
	v_add_co_u32 v38, vcc_lo, s8, v38
	v_add_co_ci_u32_e32 v39, vcc_lo, s9, v39, vcc_lo
	s_clause 0x1
	global_load_b64 v[36:37], v[36:37], off
	global_load_b64 v[38:39], v[38:39], off
	v_add_co_u32 v40, vcc_lo, s8, v40
	v_add_co_ci_u32_e32 v41, vcc_lo, s9, v41, vcc_lo
	v_add_co_u32 v42, vcc_lo, s8, v42
	v_add_co_ci_u32_e32 v43, vcc_lo, s9, v43, vcc_lo
	;; [unrolled: 2-line block ×3, first 2 shown]
	s_clause 0x2
	global_load_b64 v[40:41], v[40:41], off
	global_load_b64 v[42:43], v[42:43], off
	;; [unrolled: 1-line block ×3, first 2 shown]
	v_add_co_u32 v46, vcc_lo, s8, v46
	v_add_co_ci_u32_e32 v47, vcc_lo, s9, v47, vcc_lo
	v_add_co_u32 v48, vcc_lo, s8, v48
	v_add_co_ci_u32_e32 v49, vcc_lo, s9, v49, vcc_lo
	;; [unrolled: 2-line block ×3, first 2 shown]
	s_clause 0x2
	global_load_b64 v[48:49], v[48:49], off
	global_load_b64 v[50:51], v[50:51], off
	;; [unrolled: 1-line block ×3, first 2 shown]
	v_cmp_ge_i32_e32 vcc_lo, v17, v19
	s_or_b32 s4, vcc_lo, s4
	s_waitcnt vmcnt(9)
	v_fma_f64 v[6:7], v[24:25], v[28:29], v[6:7]
	v_fma_f64 v[12:13], v[26:27], v[28:29], v[12:13]
	;; [unrolled: 1-line block ×3, first 2 shown]
	s_delay_alu instid0(VALU_DEP_3) | instskip(SKIP_1) | instid1(VALU_DEP_3)
	v_fma_f64 v[6:7], v[22:23], v[30:31], v[6:7]
	s_waitcnt vmcnt(7)
	v_fma_f64 v[11:12], v[36:37], v[30:31], v[12:13]
	s_waitcnt vmcnt(6)
	s_delay_alu instid0(VALU_DEP_3) | instskip(SKIP_1) | instid1(VALU_DEP_3)
	v_fma_f64 v[9:10], v[38:39], v[30:31], v[9:10]
	s_waitcnt vmcnt(5)
	v_fma_f64 v[6:7], v[40:41], v[32:33], v[6:7]
	s_waitcnt vmcnt(4)
	;; [unrolled: 5-line block ×4, first 2 shown]
	s_delay_alu instid0(VALU_DEP_3)
	v_fma_f64 v[10:11], v[46:47], v[34:35], v[9:10]
	s_and_not1_b32 exec_lo, exec_lo, s4
	s_cbranch_execnz .LBB47_9
; %bb.10:
	s_or_b32 exec_lo, exec_lo, s4
.LBB47_11:
	s_delay_alu instid0(SALU_CYCLE_1)
	s_or_b32 exec_lo, exec_lo, s3
	s_cbranch_execz .LBB47_13
	s_branch .LBB47_18
.LBB47_12:
                                        ; implicit-def: $vgpr6_vgpr7
                                        ; implicit-def: $vgpr10_vgpr11
                                        ; implicit-def: $vgpr12_vgpr13
.LBB47_13:
	v_mov_b32_e32 v6, 0
	v_mov_b32_e32 v7, 0
	s_delay_alu instid0(VALU_DEP_1)
	v_dual_mov_b32 v11, v7 :: v_dual_mov_b32 v10, v6
	v_dual_mov_b32 v13, v7 :: v_dual_mov_b32 v12, v6
	s_and_saveexec_b32 s3, s2
	s_cbranch_execz .LBB47_17
; %bb.14:
	v_mov_b32_e32 v6, 0
	v_dual_mov_b32 v7, 0 :: v_dual_mov_b32 v16, 0
	v_mad_u64_u32 v[14:15], null, v8, 12, 11
	s_mov_b32 s2, 0
	s_delay_alu instid0(VALU_DEP_2)
	v_dual_mov_b32 v11, v7 :: v_dual_mov_b32 v10, v6
	v_dual_mov_b32 v13, v7 :: v_dual_mov_b32 v12, v6
.LBB47_15:                              ; =>This Inner Loop Header: Depth=1
	v_ashrrev_i32_e32 v9, 31, v8
	s_delay_alu instid0(VALU_DEP_4) | instskip(SKIP_1) | instid1(VALU_DEP_3)
	v_add_nc_u32_e32 v15, -11, v14
	v_dual_mov_b32 v29, v16 :: v_dual_add_nc_u32 v20, -3, v14
	v_lshlrev_b64 v[17:18], 2, v[8:9]
	v_add_nc_u32_e32 v8, 4, v8
	s_delay_alu instid0(VALU_DEP_2) | instskip(NEXT) | instid1(VALU_DEP_3)
	v_add_co_u32 v17, vcc_lo, s6, v17
	v_add_co_ci_u32_e32 v18, vcc_lo, s7, v18, vcc_lo
	global_load_b32 v9, v[17:18], off
	v_dual_mov_b32 v18, v16 :: v_dual_add_nc_u32 v17, -7, v14
	v_lshlrev_b64 v[22:23], 3, v[15:16]
	v_add_nc_u32_e32 v15, -6, v14
	s_delay_alu instid0(VALU_DEP_3) | instskip(NEXT) | instid1(VALU_DEP_3)
	v_lshlrev_b64 v[17:18], 3, v[17:18]
	v_add_co_u32 v24, vcc_lo, s8, v22
	s_delay_alu instid0(VALU_DEP_4) | instskip(NEXT) | instid1(VALU_DEP_3)
	v_add_co_ci_u32_e32 v25, vcc_lo, s9, v23, vcc_lo
	v_add_co_u32 v17, vcc_lo, s8, v17
	s_delay_alu instid0(VALU_DEP_4) | instskip(SKIP_2) | instid1(VALU_DEP_1)
	v_add_co_ci_u32_e32 v18, vcc_lo, s9, v18, vcc_lo
	v_lshlrev_b64 v[38:39], 3, v[15:16]
	v_add_nc_u32_e32 v15, -2, v14
	v_lshlrev_b64 v[40:41], 3, v[15:16]
	v_add_nc_u32_e32 v15, -5, v14
	s_delay_alu instid0(VALU_DEP_1) | instskip(SKIP_1) | instid1(VALU_DEP_1)
	v_lshlrev_b64 v[42:43], 3, v[15:16]
	v_add_nc_u32_e32 v15, -1, v14
	v_lshlrev_b64 v[44:45], 3, v[15:16]
	v_mov_b32_e32 v15, v16
	s_delay_alu instid0(VALU_DEP_1) | instskip(SKIP_2) | instid1(VALU_DEP_2)
	v_lshlrev_b64 v[46:47], 3, v[14:15]
	v_add_nc_u32_e32 v15, -4, v14
	v_add_nc_u32_e32 v14, 48, v14
	v_lshlrev_b64 v[48:49], 3, v[15:16]
	s_waitcnt vmcnt(0)
	v_subrev_nc_u32_e32 v9, s12, v9
	s_delay_alu instid0(VALU_DEP_1) | instskip(NEXT) | instid1(VALU_DEP_1)
	v_dual_mov_b32 v21, v16 :: v_dual_lshlrev_b32 v28, 2, v9
	v_lshlrev_b64 v[20:21], 3, v[20:21]
	s_delay_alu instid0(VALU_DEP_2) | instskip(NEXT) | instid1(VALU_DEP_2)
	v_lshlrev_b64 v[28:29], 3, v[28:29]
	v_add_co_u32 v30, vcc_lo, s8, v20
	s_delay_alu instid0(VALU_DEP_3) | instskip(NEXT) | instid1(VALU_DEP_3)
	v_add_co_ci_u32_e32 v31, vcc_lo, s9, v21, vcc_lo
	v_add_co_u32 v32, vcc_lo, s10, v28
	s_delay_alu instid0(VALU_DEP_4)
	v_add_co_ci_u32_e32 v33, vcc_lo, s11, v29, vcc_lo
	s_clause 0x3
	global_load_b128 v[20:23], v[24:25], off offset:16
	global_load_b128 v[24:27], v[24:25], off
	global_load_b64 v[17:18], v[17:18], off
	global_load_b64 v[36:37], v[30:31], off
	s_clause 0x1
	global_load_b128 v[28:31], v[32:33], off
	global_load_b128 v[32:35], v[32:33], off offset:16
	v_add_co_u32 v38, vcc_lo, s8, v38
	v_add_co_ci_u32_e32 v39, vcc_lo, s9, v39, vcc_lo
	v_add_co_u32 v40, vcc_lo, s8, v40
	v_add_co_ci_u32_e32 v41, vcc_lo, s9, v41, vcc_lo
	s_clause 0x1
	global_load_b64 v[38:39], v[38:39], off
	global_load_b64 v[40:41], v[40:41], off
	v_add_co_u32 v42, vcc_lo, s8, v42
	v_add_co_ci_u32_e32 v43, vcc_lo, s9, v43, vcc_lo
	v_add_co_u32 v44, vcc_lo, s8, v44
	v_add_co_ci_u32_e32 v45, vcc_lo, s9, v45, vcc_lo
	s_clause 0x1
	global_load_b64 v[42:43], v[42:43], off
	global_load_b64 v[44:45], v[44:45], off
	;; [unrolled: 7-line block ×3, first 2 shown]
	v_cmp_ge_i32_e32 vcc_lo, v8, v19
	s_or_b32 s2, vcc_lo, s2
	s_waitcnt vmcnt(7)
	v_fma_f64 v[6:7], v[24:25], v[28:29], v[6:7]
	v_fma_f64 v[12:13], v[17:18], v[28:29], v[12:13]
	v_fma_f64 v[9:10], v[36:37], v[28:29], v[10:11]
	s_delay_alu instid0(VALU_DEP_3) | instskip(SKIP_1) | instid1(VALU_DEP_3)
	v_fma_f64 v[6:7], v[26:27], v[30:31], v[6:7]
	s_waitcnt vmcnt(5)
	v_fma_f64 v[11:12], v[38:39], v[30:31], v[12:13]
	s_waitcnt vmcnt(4)
	s_delay_alu instid0(VALU_DEP_3) | instskip(NEXT) | instid1(VALU_DEP_3)
	v_fma_f64 v[9:10], v[40:41], v[30:31], v[9:10]
	v_fma_f64 v[6:7], v[20:21], v[32:33], v[6:7]
	s_waitcnt vmcnt(3)
	s_delay_alu instid0(VALU_DEP_3) | instskip(SKIP_1) | instid1(VALU_DEP_3)
	v_fma_f64 v[11:12], v[42:43], v[32:33], v[11:12]
	s_waitcnt vmcnt(2)
	v_fma_f64 v[9:10], v[44:45], v[32:33], v[9:10]
	s_delay_alu instid0(VALU_DEP_3) | instskip(SKIP_1) | instid1(VALU_DEP_3)
	v_fma_f64 v[6:7], v[22:23], v[34:35], v[6:7]
	s_waitcnt vmcnt(1)
	v_fma_f64 v[12:13], v[48:49], v[34:35], v[11:12]
	s_waitcnt vmcnt(0)
	s_delay_alu instid0(VALU_DEP_3)
	v_fma_f64 v[10:11], v[46:47], v[34:35], v[9:10]
	s_and_not1_b32 exec_lo, exec_lo, s2
	s_cbranch_execnz .LBB47_15
; %bb.16:
	s_or_b32 exec_lo, exec_lo, s2
.LBB47_17:
	s_delay_alu instid0(SALU_CYCLE_1)
	s_or_b32 exec_lo, exec_lo, s3
.LBB47_18:
	v_mbcnt_lo_u32_b32 v18, -1, 0
	s_delay_alu instid0(VALU_DEP_1) | instskip(NEXT) | instid1(VALU_DEP_1)
	v_xor_b32_e32 v8, 2, v18
	v_cmp_gt_i32_e32 vcc_lo, 32, v8
	v_cndmask_b32_e32 v8, v18, v8, vcc_lo
	s_delay_alu instid0(VALU_DEP_1)
	v_lshlrev_b32_e32 v17, 2, v8
	ds_bpermute_b32 v8, v17, v6
	ds_bpermute_b32 v9, v17, v7
	;; [unrolled: 1-line block ×6, first 2 shown]
	s_waitcnt lgkmcnt(4)
	v_add_f64 v[8:9], v[6:7], v[8:9]
	s_waitcnt lgkmcnt(2)
	v_add_f64 v[6:7], v[12:13], v[14:15]
	;; [unrolled: 2-line block ×3, first 2 shown]
	v_xor_b32_e32 v10, 1, v18
	s_delay_alu instid0(VALU_DEP_1) | instskip(SKIP_2) | instid1(VALU_DEP_2)
	v_cmp_gt_i32_e32 vcc_lo, 32, v10
	v_cndmask_b32_e32 v10, v18, v10, vcc_lo
	v_cmp_eq_u32_e32 vcc_lo, 3, v0
	v_lshlrev_b32_e32 v15, 2, v10
	ds_bpermute_b32 v10, v15, v8
	ds_bpermute_b32 v11, v15, v9
	;; [unrolled: 1-line block ×6, first 2 shown]
	s_and_b32 exec_lo, exec_lo, vcc_lo
	s_cbranch_execz .LBB47_23
; %bb.19:
	s_waitcnt lgkmcnt(4)
	v_add_f64 v[10:11], v[8:9], v[10:11]
	s_waitcnt lgkmcnt(2)
	v_add_f64 v[8:9], v[6:7], v[16:17]
	;; [unrolled: 2-line block ×3, first 2 shown]
	s_load_b64 s[0:1], s[0:1], 0x38
	s_mov_b32 s2, exec_lo
	v_cmpx_eq_f64_e32 0, v[3:4]
	s_xor_b32 s2, exec_lo, s2
	s_cbranch_execz .LBB47_21
; %bb.20:
	s_delay_alu instid0(VALU_DEP_4) | instskip(NEXT) | instid1(VALU_DEP_4)
	v_mul_f64 v[10:11], v[1:2], v[10:11]
	v_mul_f64 v[12:13], v[1:2], v[8:9]
	s_delay_alu instid0(VALU_DEP_4) | instskip(SKIP_1) | instid1(VALU_DEP_1)
	v_mul_f64 v[0:1], v[1:2], v[6:7]
	v_lshl_add_u32 v2, v5, 1, v5
                                        ; implicit-def: $vgpr5
                                        ; implicit-def: $vgpr8_vgpr9
                                        ; implicit-def: $vgpr6_vgpr7
	v_ashrrev_i32_e32 v3, 31, v2
	s_delay_alu instid0(VALU_DEP_1) | instskip(SKIP_1) | instid1(VALU_DEP_1)
	v_lshlrev_b64 v[2:3], 3, v[2:3]
	s_waitcnt lgkmcnt(0)
	v_add_co_u32 v2, vcc_lo, s0, v2
	s_delay_alu instid0(VALU_DEP_2)
	v_add_co_ci_u32_e32 v3, vcc_lo, s1, v3, vcc_lo
	s_clause 0x1
	global_store_b128 v[2:3], v[10:13], off
	global_store_b64 v[2:3], v[0:1], off offset:16
                                        ; implicit-def: $vgpr1_vgpr2
                                        ; implicit-def: $vgpr10_vgpr11
                                        ; implicit-def: $vgpr3_vgpr4
.LBB47_21:
	s_and_not1_saveexec_b32 s2, s2
	s_cbranch_execz .LBB47_23
; %bb.22:
	v_lshl_add_u32 v12, v5, 1, v5
	v_mul_f64 v[10:11], v[1:2], v[10:11]
	v_mul_f64 v[8:9], v[1:2], v[8:9]
	;; [unrolled: 1-line block ×3, first 2 shown]
	s_delay_alu instid0(VALU_DEP_4) | instskip(NEXT) | instid1(VALU_DEP_1)
	v_ashrrev_i32_e32 v13, 31, v12
	v_lshlrev_b64 v[12:13], 3, v[12:13]
	s_waitcnt lgkmcnt(0)
	s_delay_alu instid0(VALU_DEP_1) | instskip(NEXT) | instid1(VALU_DEP_2)
	v_add_co_u32 v16, vcc_lo, s0, v12
	v_add_co_ci_u32_e32 v17, vcc_lo, s1, v13, vcc_lo
	s_clause 0x1
	global_load_b128 v[12:15], v[16:17], off
	global_load_b64 v[18:19], v[16:17], off offset:16
	s_waitcnt vmcnt(1)
	v_fma_f64 v[5:6], v[3:4], v[12:13], v[10:11]
	v_fma_f64 v[7:8], v[3:4], v[14:15], v[8:9]
	s_waitcnt vmcnt(0)
	v_fma_f64 v[0:1], v[3:4], v[18:19], v[0:1]
	s_clause 0x1
	global_store_b128 v[16:17], v[5:8], off
	global_store_b64 v[16:17], v[0:1], off offset:16
.LBB47_23:
	s_nop 0
	s_sendmsg sendmsg(MSG_DEALLOC_VGPRS)
	s_endpgm
	.section	.rodata,"a",@progbits
	.p2align	6, 0x0
	.amdhsa_kernel _ZN9rocsparseL19gebsrmvn_3xn_kernelILj128ELj4ELj4EdEEvi20rocsparse_direction_NS_24const_host_device_scalarIT2_EEPKiS6_PKS3_S8_S4_PS3_21rocsparse_index_base_b
		.amdhsa_group_segment_fixed_size 0
		.amdhsa_private_segment_fixed_size 0
		.amdhsa_kernarg_size 72
		.amdhsa_user_sgpr_count 15
		.amdhsa_user_sgpr_dispatch_ptr 0
		.amdhsa_user_sgpr_queue_ptr 0
		.amdhsa_user_sgpr_kernarg_segment_ptr 1
		.amdhsa_user_sgpr_dispatch_id 0
		.amdhsa_user_sgpr_private_segment_size 0
		.amdhsa_wavefront_size32 1
		.amdhsa_uses_dynamic_stack 0
		.amdhsa_enable_private_segment 0
		.amdhsa_system_sgpr_workgroup_id_x 1
		.amdhsa_system_sgpr_workgroup_id_y 0
		.amdhsa_system_sgpr_workgroup_id_z 0
		.amdhsa_system_sgpr_workgroup_info 0
		.amdhsa_system_vgpr_workitem_id 0
		.amdhsa_next_free_vgpr 52
		.amdhsa_next_free_sgpr 16
		.amdhsa_reserve_vcc 1
		.amdhsa_float_round_mode_32 0
		.amdhsa_float_round_mode_16_64 0
		.amdhsa_float_denorm_mode_32 3
		.amdhsa_float_denorm_mode_16_64 3
		.amdhsa_dx10_clamp 1
		.amdhsa_ieee_mode 1
		.amdhsa_fp16_overflow 0
		.amdhsa_workgroup_processor_mode 1
		.amdhsa_memory_ordered 1
		.amdhsa_forward_progress 0
		.amdhsa_shared_vgpr_count 0
		.amdhsa_exception_fp_ieee_invalid_op 0
		.amdhsa_exception_fp_denorm_src 0
		.amdhsa_exception_fp_ieee_div_zero 0
		.amdhsa_exception_fp_ieee_overflow 0
		.amdhsa_exception_fp_ieee_underflow 0
		.amdhsa_exception_fp_ieee_inexact 0
		.amdhsa_exception_int_div_zero 0
	.end_amdhsa_kernel
	.section	.text._ZN9rocsparseL19gebsrmvn_3xn_kernelILj128ELj4ELj4EdEEvi20rocsparse_direction_NS_24const_host_device_scalarIT2_EEPKiS6_PKS3_S8_S4_PS3_21rocsparse_index_base_b,"axG",@progbits,_ZN9rocsparseL19gebsrmvn_3xn_kernelILj128ELj4ELj4EdEEvi20rocsparse_direction_NS_24const_host_device_scalarIT2_EEPKiS6_PKS3_S8_S4_PS3_21rocsparse_index_base_b,comdat
.Lfunc_end47:
	.size	_ZN9rocsparseL19gebsrmvn_3xn_kernelILj128ELj4ELj4EdEEvi20rocsparse_direction_NS_24const_host_device_scalarIT2_EEPKiS6_PKS3_S8_S4_PS3_21rocsparse_index_base_b, .Lfunc_end47-_ZN9rocsparseL19gebsrmvn_3xn_kernelILj128ELj4ELj4EdEEvi20rocsparse_direction_NS_24const_host_device_scalarIT2_EEPKiS6_PKS3_S8_S4_PS3_21rocsparse_index_base_b
                                        ; -- End function
	.section	.AMDGPU.csdata,"",@progbits
; Kernel info:
; codeLenInByte = 2212
; NumSgprs: 18
; NumVgprs: 52
; ScratchSize: 0
; MemoryBound: 0
; FloatMode: 240
; IeeeMode: 1
; LDSByteSize: 0 bytes/workgroup (compile time only)
; SGPRBlocks: 2
; VGPRBlocks: 6
; NumSGPRsForWavesPerEU: 18
; NumVGPRsForWavesPerEU: 52
; Occupancy: 16
; WaveLimiterHint : 1
; COMPUTE_PGM_RSRC2:SCRATCH_EN: 0
; COMPUTE_PGM_RSRC2:USER_SGPR: 15
; COMPUTE_PGM_RSRC2:TRAP_HANDLER: 0
; COMPUTE_PGM_RSRC2:TGID_X_EN: 1
; COMPUTE_PGM_RSRC2:TGID_Y_EN: 0
; COMPUTE_PGM_RSRC2:TGID_Z_EN: 0
; COMPUTE_PGM_RSRC2:TIDIG_COMP_CNT: 0
	.section	.text._ZN9rocsparseL19gebsrmvn_3xn_kernelILj128ELj4ELj8EdEEvi20rocsparse_direction_NS_24const_host_device_scalarIT2_EEPKiS6_PKS3_S8_S4_PS3_21rocsparse_index_base_b,"axG",@progbits,_ZN9rocsparseL19gebsrmvn_3xn_kernelILj128ELj4ELj8EdEEvi20rocsparse_direction_NS_24const_host_device_scalarIT2_EEPKiS6_PKS3_S8_S4_PS3_21rocsparse_index_base_b,comdat
	.globl	_ZN9rocsparseL19gebsrmvn_3xn_kernelILj128ELj4ELj8EdEEvi20rocsparse_direction_NS_24const_host_device_scalarIT2_EEPKiS6_PKS3_S8_S4_PS3_21rocsparse_index_base_b ; -- Begin function _ZN9rocsparseL19gebsrmvn_3xn_kernelILj128ELj4ELj8EdEEvi20rocsparse_direction_NS_24const_host_device_scalarIT2_EEPKiS6_PKS3_S8_S4_PS3_21rocsparse_index_base_b
	.p2align	8
	.type	_ZN9rocsparseL19gebsrmvn_3xn_kernelILj128ELj4ELj8EdEEvi20rocsparse_direction_NS_24const_host_device_scalarIT2_EEPKiS6_PKS3_S8_S4_PS3_21rocsparse_index_base_b,@function
_ZN9rocsparseL19gebsrmvn_3xn_kernelILj128ELj4ELj8EdEEvi20rocsparse_direction_NS_24const_host_device_scalarIT2_EEPKiS6_PKS3_S8_S4_PS3_21rocsparse_index_base_b: ; @_ZN9rocsparseL19gebsrmvn_3xn_kernelILj128ELj4ELj8EdEEvi20rocsparse_direction_NS_24const_host_device_scalarIT2_EEPKiS6_PKS3_S8_S4_PS3_21rocsparse_index_base_b
; %bb.0:
	s_clause 0x2
	s_load_b64 s[12:13], s[0:1], 0x40
	s_load_b64 s[4:5], s[0:1], 0x8
	;; [unrolled: 1-line block ×3, first 2 shown]
	s_waitcnt lgkmcnt(0)
	s_bitcmp1_b32 s13, 0
	v_dual_mov_b32 v1, s4 :: v_dual_mov_b32 v2, s5
	s_cselect_b32 s6, -1, 0
	s_delay_alu instid0(SALU_CYCLE_1)
	s_and_b32 vcc_lo, exec_lo, s6
	s_xor_b32 s6, s6, -1
	s_cbranch_vccnz .LBB48_2
; %bb.1:
	v_dual_mov_b32 v1, s4 :: v_dual_mov_b32 v2, s5
	flat_load_b64 v[1:2], v[1:2]
.LBB48_2:
	v_dual_mov_b32 v4, s3 :: v_dual_mov_b32 v3, s2
	s_and_not1_b32 vcc_lo, exec_lo, s6
	s_cbranch_vccnz .LBB48_4
; %bb.3:
	v_dual_mov_b32 v4, s3 :: v_dual_mov_b32 v3, s2
	flat_load_b64 v[3:4], v[3:4]
.LBB48_4:
	s_waitcnt vmcnt(0) lgkmcnt(0)
	v_cmp_neq_f64_e32 vcc_lo, 0, v[1:2]
	v_cmp_neq_f64_e64 s2, 1.0, v[3:4]
	s_delay_alu instid0(VALU_DEP_1) | instskip(NEXT) | instid1(SALU_CYCLE_1)
	s_or_b32 s2, vcc_lo, s2
	s_and_saveexec_b32 s3, s2
	s_cbranch_execz .LBB48_23
; %bb.5:
	s_load_b64 s[2:3], s[0:1], 0x0
	v_lshrrev_b32_e32 v5, 3, v0
	s_delay_alu instid0(VALU_DEP_1) | instskip(SKIP_1) | instid1(VALU_DEP_1)
	v_lshl_or_b32 v5, s15, 4, v5
	s_waitcnt lgkmcnt(0)
	v_cmp_gt_i32_e32 vcc_lo, s2, v5
	s_and_b32 exec_lo, exec_lo, vcc_lo
	s_cbranch_execz .LBB48_23
; %bb.6:
	s_load_b256 s[4:11], s[0:1], 0x10
	v_ashrrev_i32_e32 v6, 31, v5
	v_and_b32_e32 v0, 7, v0
	s_cmp_lg_u32 s3, 0
	s_delay_alu instid0(VALU_DEP_2) | instskip(SKIP_1) | instid1(VALU_DEP_1)
	v_lshlrev_b64 v[6:7], 2, v[5:6]
	s_waitcnt lgkmcnt(0)
	v_add_co_u32 v6, vcc_lo, s4, v6
	s_delay_alu instid0(VALU_DEP_2) | instskip(SKIP_4) | instid1(VALU_DEP_2)
	v_add_co_ci_u32_e32 v7, vcc_lo, s5, v7, vcc_lo
	global_load_b64 v[6:7], v[6:7], off
	s_waitcnt vmcnt(0)
	v_subrev_nc_u32_e32 v6, s12, v6
	v_subrev_nc_u32_e32 v18, s12, v7
	v_add_nc_u32_e32 v12, v6, v0
	s_delay_alu instid0(VALU_DEP_1)
	v_cmp_lt_i32_e64 s2, v12, v18
	s_cbranch_scc0 .LBB48_12
; %bb.7:
	v_mov_b32_e32 v6, 0
	v_mov_b32_e32 v7, 0
	s_delay_alu instid0(VALU_DEP_1)
	v_dual_mov_b32 v9, v7 :: v_dual_mov_b32 v8, v6
	v_dual_mov_b32 v11, v7 :: v_dual_mov_b32 v10, v6
	s_and_saveexec_b32 s3, s2
	s_cbranch_execz .LBB48_11
; %bb.8:
	v_dual_mov_b32 v6, 0 :: v_dual_mov_b32 v15, 0
	v_dual_mov_b32 v7, 0 :: v_dual_mov_b32 v16, v12
	v_mad_u64_u32 v[13:14], null, v12, 12, 11
	s_mov_b32 s4, 0
	s_delay_alu instid0(VALU_DEP_2)
	v_dual_mov_b32 v9, v7 :: v_dual_mov_b32 v8, v6
	v_dual_mov_b32 v11, v7 :: v_dual_mov_b32 v10, v6
.LBB48_9:                               ; =>This Inner Loop Header: Depth=1
	v_ashrrev_i32_e32 v17, 31, v16
	s_delay_alu instid0(VALU_DEP_4) | instskip(NEXT) | instid1(VALU_DEP_2)
	v_add_nc_u32_e32 v14, -11, v13
	v_lshlrev_b64 v[19:20], 2, v[16:17]
	s_delay_alu instid0(VALU_DEP_2) | instskip(SKIP_1) | instid1(VALU_DEP_3)
	v_lshlrev_b64 v[21:22], 3, v[14:15]
	v_add_nc_u32_e32 v16, 8, v16
	v_add_co_u32 v19, vcc_lo, s6, v19
	s_delay_alu instid0(VALU_DEP_4) | instskip(NEXT) | instid1(VALU_DEP_4)
	v_add_co_ci_u32_e32 v20, vcc_lo, s7, v20, vcc_lo
	v_add_co_u32 v23, vcc_lo, s8, v21
	v_add_co_ci_u32_e32 v24, vcc_lo, s9, v22, vcc_lo
	global_load_b32 v17, v[19:20], off
	s_waitcnt vmcnt(0)
	v_subrev_nc_u32_e32 v14, s12, v17
	s_delay_alu instid0(VALU_DEP_1) | instskip(SKIP_1) | instid1(VALU_DEP_2)
	v_dual_mov_b32 v20, v15 :: v_dual_lshlrev_b32 v19, 2, v14
	v_add_nc_u32_e32 v14, -7, v13
	v_lshlrev_b64 v[19:20], 3, v[19:20]
	s_delay_alu instid0(VALU_DEP_2) | instskip(SKIP_1) | instid1(VALU_DEP_3)
	v_lshlrev_b64 v[35:36], 3, v[14:15]
	v_add_nc_u32_e32 v14, -6, v13
	v_add_co_u32 v31, vcc_lo, s10, v19
	s_delay_alu instid0(VALU_DEP_4)
	v_add_co_ci_u32_e32 v32, vcc_lo, s11, v20, vcc_lo
	s_clause 0x1
	global_load_b128 v[19:22], v[23:24], off offset:16
	global_load_b128 v[23:26], v[23:24], off
	s_clause 0x1
	global_load_b128 v[27:30], v[31:32], off
	global_load_b128 v[31:34], v[31:32], off offset:16
	v_lshlrev_b64 v[37:38], 3, v[14:15]
	v_add_co_u32 v35, vcc_lo, s8, v35
	v_add_co_ci_u32_e32 v36, vcc_lo, s9, v36, vcc_lo
	v_add_nc_u32_e32 v14, -5, v13
	s_delay_alu instid0(VALU_DEP_4)
	v_add_co_u32 v37, vcc_lo, s8, v37
	v_add_co_ci_u32_e32 v38, vcc_lo, s9, v38, vcc_lo
	s_clause 0x1
	global_load_b64 v[35:36], v[35:36], off
	global_load_b64 v[37:38], v[37:38], off
	v_lshlrev_b64 v[39:40], 3, v[14:15]
	v_add_nc_u32_e32 v14, -4, v13
	s_delay_alu instid0(VALU_DEP_1) | instskip(SKIP_1) | instid1(VALU_DEP_4)
	v_lshlrev_b64 v[41:42], 3, v[14:15]
	v_add_nc_u32_e32 v14, -3, v13
	v_add_co_u32 v39, vcc_lo, s8, v39
	v_add_co_ci_u32_e32 v40, vcc_lo, s9, v40, vcc_lo
	s_delay_alu instid0(VALU_DEP_3) | instskip(SKIP_3) | instid1(VALU_DEP_4)
	v_lshlrev_b64 v[43:44], 3, v[14:15]
	v_add_co_u32 v41, vcc_lo, s8, v41
	v_add_co_ci_u32_e32 v42, vcc_lo, s9, v42, vcc_lo
	v_mov_b32_e32 v14, v15
	v_add_co_u32 v43, vcc_lo, s8, v43
	v_add_co_ci_u32_e32 v44, vcc_lo, s9, v44, vcc_lo
	s_clause 0x2
	global_load_b64 v[39:40], v[39:40], off
	global_load_b64 v[41:42], v[41:42], off
	;; [unrolled: 1-line block ×3, first 2 shown]
	v_lshlrev_b64 v[45:46], 3, v[13:14]
	v_add_nc_u32_e32 v14, -2, v13
	s_delay_alu instid0(VALU_DEP_1) | instskip(SKIP_4) | instid1(VALU_DEP_4)
	v_lshlrev_b64 v[47:48], 3, v[14:15]
	v_add_nc_u32_e32 v14, -1, v13
	v_add_nc_u32_e32 v13, 0x60, v13
	v_add_co_u32 v45, vcc_lo, s8, v45
	v_add_co_ci_u32_e32 v46, vcc_lo, s9, v46, vcc_lo
	v_lshlrev_b64 v[49:50], 3, v[14:15]
	v_add_co_u32 v47, vcc_lo, s8, v47
	v_add_co_ci_u32_e32 v48, vcc_lo, s9, v48, vcc_lo
	s_delay_alu instid0(VALU_DEP_3) | instskip(NEXT) | instid1(VALU_DEP_4)
	v_add_co_u32 v49, vcc_lo, s8, v49
	v_add_co_ci_u32_e32 v50, vcc_lo, s9, v50, vcc_lo
	s_clause 0x2
	global_load_b64 v[47:48], v[47:48], off
	global_load_b64 v[49:50], v[49:50], off
	;; [unrolled: 1-line block ×3, first 2 shown]
	v_cmp_ge_i32_e32 vcc_lo, v16, v18
	s_or_b32 s4, vcc_lo, s4
	s_waitcnt vmcnt(9)
	v_fma_f64 v[6:7], v[23:24], v[27:28], v[6:7]
	v_fma_f64 v[10:11], v[25:26], v[27:28], v[10:11]
	;; [unrolled: 1-line block ×3, first 2 shown]
	s_delay_alu instid0(VALU_DEP_3) | instskip(SKIP_1) | instid1(VALU_DEP_3)
	v_fma_f64 v[6:7], v[21:22], v[29:30], v[6:7]
	s_waitcnt vmcnt(7)
	v_fma_f64 v[10:11], v[35:36], v[29:30], v[10:11]
	s_waitcnt vmcnt(6)
	s_delay_alu instid0(VALU_DEP_3) | instskip(SKIP_1) | instid1(VALU_DEP_3)
	v_fma_f64 v[8:9], v[37:38], v[29:30], v[8:9]
	s_waitcnt vmcnt(5)
	v_fma_f64 v[6:7], v[39:40], v[31:32], v[6:7]
	s_waitcnt vmcnt(4)
	;; [unrolled: 5-line block ×4, first 2 shown]
	s_delay_alu instid0(VALU_DEP_3)
	v_fma_f64 v[8:9], v[45:46], v[33:34], v[8:9]
	s_and_not1_b32 exec_lo, exec_lo, s4
	s_cbranch_execnz .LBB48_9
; %bb.10:
	s_or_b32 exec_lo, exec_lo, s4
.LBB48_11:
	s_delay_alu instid0(SALU_CYCLE_1)
	s_or_b32 exec_lo, exec_lo, s3
	s_cbranch_execz .LBB48_13
	s_branch .LBB48_18
.LBB48_12:
                                        ; implicit-def: $vgpr6_vgpr7
                                        ; implicit-def: $vgpr8_vgpr9
                                        ; implicit-def: $vgpr10_vgpr11
.LBB48_13:
	v_mov_b32_e32 v6, 0
	v_mov_b32_e32 v7, 0
	s_delay_alu instid0(VALU_DEP_1)
	v_dual_mov_b32 v9, v7 :: v_dual_mov_b32 v8, v6
	v_dual_mov_b32 v11, v7 :: v_dual_mov_b32 v10, v6
	s_and_saveexec_b32 s3, s2
	s_cbranch_execz .LBB48_17
; %bb.14:
	v_mov_b32_e32 v6, 0
	v_dual_mov_b32 v7, 0 :: v_dual_mov_b32 v16, 0
	v_mad_u64_u32 v[14:15], null, v12, 12, 11
	s_mov_b32 s2, 0
	s_delay_alu instid0(VALU_DEP_2)
	v_dual_mov_b32 v9, v7 :: v_dual_mov_b32 v8, v6
	v_dual_mov_b32 v11, v7 :: v_dual_mov_b32 v10, v6
.LBB48_15:                              ; =>This Inner Loop Header: Depth=1
	v_ashrrev_i32_e32 v13, 31, v12
	s_delay_alu instid0(VALU_DEP_4) | instskip(SKIP_1) | instid1(VALU_DEP_3)
	v_dual_mov_b32 v28, v16 :: v_dual_add_nc_u32 v15, -11, v14
	v_dual_mov_b32 v22, v16 :: v_dual_add_nc_u32 v21, -3, v14
	v_lshlrev_b64 v[19:20], 2, v[12:13]
	s_delay_alu instid0(VALU_DEP_3)
	v_lshlrev_b64 v[23:24], 3, v[15:16]
	v_add_nc_u32_e32 v15, -6, v14
	v_add_nc_u32_e32 v12, 8, v12
	v_lshlrev_b64 v[21:22], 3, v[21:22]
	v_add_co_u32 v19, vcc_lo, s6, v19
	v_add_co_ci_u32_e32 v20, vcc_lo, s7, v20, vcc_lo
	v_add_co_u32 v23, vcc_lo, s8, v23
	v_add_co_ci_u32_e32 v24, vcc_lo, s9, v24, vcc_lo
	global_load_b32 v13, v[19:20], off
	v_dual_mov_b32 v20, v16 :: v_dual_add_nc_u32 v19, -7, v14
	v_lshlrev_b64 v[39:40], 3, v[15:16]
	v_add_nc_u32_e32 v15, -2, v14
	s_delay_alu instid0(VALU_DEP_3) | instskip(NEXT) | instid1(VALU_DEP_2)
	v_lshlrev_b64 v[19:20], 3, v[19:20]
	v_lshlrev_b64 v[41:42], 3, v[15:16]
	v_add_nc_u32_e32 v15, -5, v14
	s_delay_alu instid0(VALU_DEP_3) | instskip(NEXT) | instid1(VALU_DEP_4)
	v_add_co_u32 v29, vcc_lo, s8, v19
	v_add_co_ci_u32_e32 v30, vcc_lo, s9, v20, vcc_lo
	v_add_co_u32 v31, vcc_lo, s8, v21
	v_add_co_ci_u32_e32 v32, vcc_lo, s9, v22, vcc_lo
	s_clause 0x1
	global_load_b128 v[19:22], v[23:24], off offset:16
	global_load_b128 v[23:26], v[23:24], off
	v_lshlrev_b64 v[43:44], 3, v[15:16]
	v_add_nc_u32_e32 v15, -1, v14
	s_delay_alu instid0(VALU_DEP_1) | instskip(SKIP_1) | instid1(VALU_DEP_1)
	v_lshlrev_b64 v[45:46], 3, v[15:16]
	v_mov_b32_e32 v15, v16
	v_lshlrev_b64 v[47:48], 3, v[14:15]
	v_add_nc_u32_e32 v15, -4, v14
	v_add_nc_u32_e32 v14, 0x60, v14
	s_delay_alu instid0(VALU_DEP_2) | instskip(SKIP_2) | instid1(VALU_DEP_1)
	v_lshlrev_b64 v[49:50], 3, v[15:16]
	s_waitcnt vmcnt(2)
	v_subrev_nc_u32_e32 v13, s12, v13
	v_lshlrev_b32_e32 v27, 2, v13
	s_delay_alu instid0(VALU_DEP_1) | instskip(NEXT) | instid1(VALU_DEP_1)
	v_lshlrev_b64 v[27:28], 3, v[27:28]
	v_add_co_u32 v33, vcc_lo, s10, v27
	s_delay_alu instid0(VALU_DEP_2)
	v_add_co_ci_u32_e32 v34, vcc_lo, s11, v28, vcc_lo
	s_clause 0x1
	global_load_b64 v[35:36], v[29:30], off
	global_load_b64 v[37:38], v[31:32], off
	s_clause 0x1
	global_load_b128 v[27:30], v[33:34], off
	global_load_b128 v[31:34], v[33:34], off offset:16
	v_add_co_u32 v39, vcc_lo, s8, v39
	v_add_co_ci_u32_e32 v40, vcc_lo, s9, v40, vcc_lo
	v_add_co_u32 v41, vcc_lo, s8, v41
	v_add_co_ci_u32_e32 v42, vcc_lo, s9, v42, vcc_lo
	s_clause 0x1
	global_load_b64 v[39:40], v[39:40], off
	global_load_b64 v[41:42], v[41:42], off
	v_add_co_u32 v43, vcc_lo, s8, v43
	v_add_co_ci_u32_e32 v44, vcc_lo, s9, v44, vcc_lo
	v_add_co_u32 v45, vcc_lo, s8, v45
	v_add_co_ci_u32_e32 v46, vcc_lo, s9, v46, vcc_lo
	s_clause 0x1
	global_load_b64 v[43:44], v[43:44], off
	global_load_b64 v[45:46], v[45:46], off
	v_add_co_u32 v47, vcc_lo, s8, v47
	v_add_co_ci_u32_e32 v48, vcc_lo, s9, v48, vcc_lo
	v_add_co_u32 v49, vcc_lo, s8, v49
	v_add_co_ci_u32_e32 v50, vcc_lo, s9, v50, vcc_lo
	s_clause 0x1
	global_load_b64 v[49:50], v[49:50], off
	global_load_b64 v[47:48], v[47:48], off
	v_cmp_ge_i32_e32 vcc_lo, v12, v18
	s_or_b32 s2, vcc_lo, s2
	s_waitcnt vmcnt(7)
	v_fma_f64 v[6:7], v[23:24], v[27:28], v[6:7]
	v_fma_f64 v[10:11], v[35:36], v[27:28], v[10:11]
	;; [unrolled: 1-line block ×3, first 2 shown]
	s_delay_alu instid0(VALU_DEP_3) | instskip(SKIP_1) | instid1(VALU_DEP_3)
	v_fma_f64 v[6:7], v[25:26], v[29:30], v[6:7]
	s_waitcnt vmcnt(5)
	v_fma_f64 v[10:11], v[39:40], v[29:30], v[10:11]
	s_waitcnt vmcnt(4)
	s_delay_alu instid0(VALU_DEP_3) | instskip(NEXT) | instid1(VALU_DEP_3)
	v_fma_f64 v[8:9], v[41:42], v[29:30], v[8:9]
	v_fma_f64 v[6:7], v[19:20], v[31:32], v[6:7]
	s_waitcnt vmcnt(3)
	s_delay_alu instid0(VALU_DEP_3) | instskip(SKIP_1) | instid1(VALU_DEP_3)
	v_fma_f64 v[10:11], v[43:44], v[31:32], v[10:11]
	s_waitcnt vmcnt(2)
	v_fma_f64 v[8:9], v[45:46], v[31:32], v[8:9]
	s_delay_alu instid0(VALU_DEP_3) | instskip(SKIP_1) | instid1(VALU_DEP_3)
	v_fma_f64 v[6:7], v[21:22], v[33:34], v[6:7]
	s_waitcnt vmcnt(1)
	v_fma_f64 v[10:11], v[49:50], v[33:34], v[10:11]
	s_waitcnt vmcnt(0)
	s_delay_alu instid0(VALU_DEP_3)
	v_fma_f64 v[8:9], v[47:48], v[33:34], v[8:9]
	s_and_not1_b32 exec_lo, exec_lo, s2
	s_cbranch_execnz .LBB48_15
; %bb.16:
	s_or_b32 exec_lo, exec_lo, s2
.LBB48_17:
	s_delay_alu instid0(SALU_CYCLE_1)
	s_or_b32 exec_lo, exec_lo, s3
.LBB48_18:
	v_mbcnt_lo_u32_b32 v18, -1, 0
	s_delay_alu instid0(VALU_DEP_1) | instskip(NEXT) | instid1(VALU_DEP_1)
	v_xor_b32_e32 v12, 4, v18
	v_cmp_gt_i32_e32 vcc_lo, 32, v12
	v_cndmask_b32_e32 v12, v18, v12, vcc_lo
	s_delay_alu instid0(VALU_DEP_1)
	v_lshlrev_b32_e32 v17, 2, v12
	ds_bpermute_b32 v12, v17, v6
	ds_bpermute_b32 v13, v17, v7
	;; [unrolled: 1-line block ×6, first 2 shown]
	s_waitcnt lgkmcnt(4)
	v_add_f64 v[6:7], v[6:7], v[12:13]
	s_waitcnt lgkmcnt(2)
	v_add_f64 v[10:11], v[10:11], v[14:15]
	;; [unrolled: 2-line block ×3, first 2 shown]
	v_xor_b32_e32 v8, 2, v18
	s_delay_alu instid0(VALU_DEP_1) | instskip(SKIP_1) | instid1(VALU_DEP_1)
	v_cmp_gt_i32_e32 vcc_lo, 32, v8
	v_cndmask_b32_e32 v8, v18, v8, vcc_lo
	v_lshlrev_b32_e32 v17, 2, v8
	ds_bpermute_b32 v8, v17, v6
	ds_bpermute_b32 v9, v17, v7
	;; [unrolled: 1-line block ×6, first 2 shown]
	s_waitcnt lgkmcnt(4)
	v_add_f64 v[8:9], v[6:7], v[8:9]
	s_waitcnt lgkmcnt(2)
	v_add_f64 v[6:7], v[10:11], v[14:15]
	v_xor_b32_e32 v10, 1, v18
	s_waitcnt lgkmcnt(0)
	v_add_f64 v[12:13], v[12:13], v[16:17]
	s_delay_alu instid0(VALU_DEP_2) | instskip(SKIP_2) | instid1(VALU_DEP_2)
	v_cmp_gt_i32_e32 vcc_lo, 32, v10
	v_cndmask_b32_e32 v10, v18, v10, vcc_lo
	v_cmp_eq_u32_e32 vcc_lo, 7, v0
	v_lshlrev_b32_e32 v15, 2, v10
	ds_bpermute_b32 v10, v15, v8
	ds_bpermute_b32 v11, v15, v9
	;; [unrolled: 1-line block ×6, first 2 shown]
	s_and_b32 exec_lo, exec_lo, vcc_lo
	s_cbranch_execz .LBB48_23
; %bb.19:
	s_waitcnt lgkmcnt(4)
	v_add_f64 v[10:11], v[8:9], v[10:11]
	s_waitcnt lgkmcnt(2)
	v_add_f64 v[8:9], v[6:7], v[16:17]
	;; [unrolled: 2-line block ×3, first 2 shown]
	s_load_b64 s[0:1], s[0:1], 0x38
	s_mov_b32 s2, exec_lo
	v_cmpx_eq_f64_e32 0, v[3:4]
	s_xor_b32 s2, exec_lo, s2
	s_cbranch_execz .LBB48_21
; %bb.20:
	s_delay_alu instid0(VALU_DEP_4) | instskip(NEXT) | instid1(VALU_DEP_4)
	v_mul_f64 v[10:11], v[1:2], v[10:11]
	v_mul_f64 v[12:13], v[1:2], v[8:9]
	s_delay_alu instid0(VALU_DEP_4) | instskip(SKIP_1) | instid1(VALU_DEP_1)
	v_mul_f64 v[0:1], v[1:2], v[6:7]
	v_lshl_add_u32 v2, v5, 1, v5
                                        ; implicit-def: $vgpr5
                                        ; implicit-def: $vgpr8_vgpr9
                                        ; implicit-def: $vgpr6_vgpr7
	v_ashrrev_i32_e32 v3, 31, v2
	s_delay_alu instid0(VALU_DEP_1) | instskip(SKIP_1) | instid1(VALU_DEP_1)
	v_lshlrev_b64 v[2:3], 3, v[2:3]
	s_waitcnt lgkmcnt(0)
	v_add_co_u32 v2, vcc_lo, s0, v2
	s_delay_alu instid0(VALU_DEP_2)
	v_add_co_ci_u32_e32 v3, vcc_lo, s1, v3, vcc_lo
	s_clause 0x1
	global_store_b128 v[2:3], v[10:13], off
	global_store_b64 v[2:3], v[0:1], off offset:16
                                        ; implicit-def: $vgpr1_vgpr2
                                        ; implicit-def: $vgpr10_vgpr11
                                        ; implicit-def: $vgpr3_vgpr4
.LBB48_21:
	s_and_not1_saveexec_b32 s2, s2
	s_cbranch_execz .LBB48_23
; %bb.22:
	v_lshl_add_u32 v12, v5, 1, v5
	v_mul_f64 v[10:11], v[1:2], v[10:11]
	v_mul_f64 v[8:9], v[1:2], v[8:9]
	;; [unrolled: 1-line block ×3, first 2 shown]
	s_delay_alu instid0(VALU_DEP_4) | instskip(NEXT) | instid1(VALU_DEP_1)
	v_ashrrev_i32_e32 v13, 31, v12
	v_lshlrev_b64 v[12:13], 3, v[12:13]
	s_waitcnt lgkmcnt(0)
	s_delay_alu instid0(VALU_DEP_1) | instskip(NEXT) | instid1(VALU_DEP_2)
	v_add_co_u32 v16, vcc_lo, s0, v12
	v_add_co_ci_u32_e32 v17, vcc_lo, s1, v13, vcc_lo
	s_clause 0x1
	global_load_b128 v[12:15], v[16:17], off
	global_load_b64 v[18:19], v[16:17], off offset:16
	s_waitcnt vmcnt(1)
	v_fma_f64 v[5:6], v[3:4], v[12:13], v[10:11]
	v_fma_f64 v[7:8], v[3:4], v[14:15], v[8:9]
	s_waitcnt vmcnt(0)
	v_fma_f64 v[0:1], v[3:4], v[18:19], v[0:1]
	s_clause 0x1
	global_store_b128 v[16:17], v[5:8], off
	global_store_b64 v[16:17], v[0:1], off offset:16
.LBB48_23:
	s_nop 0
	s_sendmsg sendmsg(MSG_DEALLOC_VGPRS)
	s_endpgm
	.section	.rodata,"a",@progbits
	.p2align	6, 0x0
	.amdhsa_kernel _ZN9rocsparseL19gebsrmvn_3xn_kernelILj128ELj4ELj8EdEEvi20rocsparse_direction_NS_24const_host_device_scalarIT2_EEPKiS6_PKS3_S8_S4_PS3_21rocsparse_index_base_b
		.amdhsa_group_segment_fixed_size 0
		.amdhsa_private_segment_fixed_size 0
		.amdhsa_kernarg_size 72
		.amdhsa_user_sgpr_count 15
		.amdhsa_user_sgpr_dispatch_ptr 0
		.amdhsa_user_sgpr_queue_ptr 0
		.amdhsa_user_sgpr_kernarg_segment_ptr 1
		.amdhsa_user_sgpr_dispatch_id 0
		.amdhsa_user_sgpr_private_segment_size 0
		.amdhsa_wavefront_size32 1
		.amdhsa_uses_dynamic_stack 0
		.amdhsa_enable_private_segment 0
		.amdhsa_system_sgpr_workgroup_id_x 1
		.amdhsa_system_sgpr_workgroup_id_y 0
		.amdhsa_system_sgpr_workgroup_id_z 0
		.amdhsa_system_sgpr_workgroup_info 0
		.amdhsa_system_vgpr_workitem_id 0
		.amdhsa_next_free_vgpr 51
		.amdhsa_next_free_sgpr 16
		.amdhsa_reserve_vcc 1
		.amdhsa_float_round_mode_32 0
		.amdhsa_float_round_mode_16_64 0
		.amdhsa_float_denorm_mode_32 3
		.amdhsa_float_denorm_mode_16_64 3
		.amdhsa_dx10_clamp 1
		.amdhsa_ieee_mode 1
		.amdhsa_fp16_overflow 0
		.amdhsa_workgroup_processor_mode 1
		.amdhsa_memory_ordered 1
		.amdhsa_forward_progress 0
		.amdhsa_shared_vgpr_count 0
		.amdhsa_exception_fp_ieee_invalid_op 0
		.amdhsa_exception_fp_denorm_src 0
		.amdhsa_exception_fp_ieee_div_zero 0
		.amdhsa_exception_fp_ieee_overflow 0
		.amdhsa_exception_fp_ieee_underflow 0
		.amdhsa_exception_fp_ieee_inexact 0
		.amdhsa_exception_int_div_zero 0
	.end_amdhsa_kernel
	.section	.text._ZN9rocsparseL19gebsrmvn_3xn_kernelILj128ELj4ELj8EdEEvi20rocsparse_direction_NS_24const_host_device_scalarIT2_EEPKiS6_PKS3_S8_S4_PS3_21rocsparse_index_base_b,"axG",@progbits,_ZN9rocsparseL19gebsrmvn_3xn_kernelILj128ELj4ELj8EdEEvi20rocsparse_direction_NS_24const_host_device_scalarIT2_EEPKiS6_PKS3_S8_S4_PS3_21rocsparse_index_base_b,comdat
.Lfunc_end48:
	.size	_ZN9rocsparseL19gebsrmvn_3xn_kernelILj128ELj4ELj8EdEEvi20rocsparse_direction_NS_24const_host_device_scalarIT2_EEPKiS6_PKS3_S8_S4_PS3_21rocsparse_index_base_b, .Lfunc_end48-_ZN9rocsparseL19gebsrmvn_3xn_kernelILj128ELj4ELj8EdEEvi20rocsparse_direction_NS_24const_host_device_scalarIT2_EEPKiS6_PKS3_S8_S4_PS3_21rocsparse_index_base_b
                                        ; -- End function
	.section	.AMDGPU.csdata,"",@progbits
; Kernel info:
; codeLenInByte = 2328
; NumSgprs: 18
; NumVgprs: 51
; ScratchSize: 0
; MemoryBound: 0
; FloatMode: 240
; IeeeMode: 1
; LDSByteSize: 0 bytes/workgroup (compile time only)
; SGPRBlocks: 2
; VGPRBlocks: 6
; NumSGPRsForWavesPerEU: 18
; NumVGPRsForWavesPerEU: 51
; Occupancy: 16
; WaveLimiterHint : 1
; COMPUTE_PGM_RSRC2:SCRATCH_EN: 0
; COMPUTE_PGM_RSRC2:USER_SGPR: 15
; COMPUTE_PGM_RSRC2:TRAP_HANDLER: 0
; COMPUTE_PGM_RSRC2:TGID_X_EN: 1
; COMPUTE_PGM_RSRC2:TGID_Y_EN: 0
; COMPUTE_PGM_RSRC2:TGID_Z_EN: 0
; COMPUTE_PGM_RSRC2:TIDIG_COMP_CNT: 0
	.section	.text._ZN9rocsparseL19gebsrmvn_3xn_kernelILj128ELj4ELj16EdEEvi20rocsparse_direction_NS_24const_host_device_scalarIT2_EEPKiS6_PKS3_S8_S4_PS3_21rocsparse_index_base_b,"axG",@progbits,_ZN9rocsparseL19gebsrmvn_3xn_kernelILj128ELj4ELj16EdEEvi20rocsparse_direction_NS_24const_host_device_scalarIT2_EEPKiS6_PKS3_S8_S4_PS3_21rocsparse_index_base_b,comdat
	.globl	_ZN9rocsparseL19gebsrmvn_3xn_kernelILj128ELj4ELj16EdEEvi20rocsparse_direction_NS_24const_host_device_scalarIT2_EEPKiS6_PKS3_S8_S4_PS3_21rocsparse_index_base_b ; -- Begin function _ZN9rocsparseL19gebsrmvn_3xn_kernelILj128ELj4ELj16EdEEvi20rocsparse_direction_NS_24const_host_device_scalarIT2_EEPKiS6_PKS3_S8_S4_PS3_21rocsparse_index_base_b
	.p2align	8
	.type	_ZN9rocsparseL19gebsrmvn_3xn_kernelILj128ELj4ELj16EdEEvi20rocsparse_direction_NS_24const_host_device_scalarIT2_EEPKiS6_PKS3_S8_S4_PS3_21rocsparse_index_base_b,@function
_ZN9rocsparseL19gebsrmvn_3xn_kernelILj128ELj4ELj16EdEEvi20rocsparse_direction_NS_24const_host_device_scalarIT2_EEPKiS6_PKS3_S8_S4_PS3_21rocsparse_index_base_b: ; @_ZN9rocsparseL19gebsrmvn_3xn_kernelILj128ELj4ELj16EdEEvi20rocsparse_direction_NS_24const_host_device_scalarIT2_EEPKiS6_PKS3_S8_S4_PS3_21rocsparse_index_base_b
; %bb.0:
	s_clause 0x2
	s_load_b64 s[12:13], s[0:1], 0x40
	s_load_b64 s[4:5], s[0:1], 0x8
	;; [unrolled: 1-line block ×3, first 2 shown]
	s_waitcnt lgkmcnt(0)
	s_bitcmp1_b32 s13, 0
	v_dual_mov_b32 v1, s4 :: v_dual_mov_b32 v2, s5
	s_cselect_b32 s6, -1, 0
	s_delay_alu instid0(SALU_CYCLE_1)
	s_and_b32 vcc_lo, exec_lo, s6
	s_xor_b32 s6, s6, -1
	s_cbranch_vccnz .LBB49_2
; %bb.1:
	v_dual_mov_b32 v1, s4 :: v_dual_mov_b32 v2, s5
	flat_load_b64 v[1:2], v[1:2]
.LBB49_2:
	v_dual_mov_b32 v4, s3 :: v_dual_mov_b32 v3, s2
	s_and_not1_b32 vcc_lo, exec_lo, s6
	s_cbranch_vccnz .LBB49_4
; %bb.3:
	v_dual_mov_b32 v4, s3 :: v_dual_mov_b32 v3, s2
	flat_load_b64 v[3:4], v[3:4]
.LBB49_4:
	s_waitcnt vmcnt(0) lgkmcnt(0)
	v_cmp_neq_f64_e32 vcc_lo, 0, v[1:2]
	v_cmp_neq_f64_e64 s2, 1.0, v[3:4]
	s_delay_alu instid0(VALU_DEP_1) | instskip(NEXT) | instid1(SALU_CYCLE_1)
	s_or_b32 s2, vcc_lo, s2
	s_and_saveexec_b32 s3, s2
	s_cbranch_execz .LBB49_23
; %bb.5:
	s_load_b64 s[2:3], s[0:1], 0x0
	v_lshrrev_b32_e32 v5, 4, v0
	s_delay_alu instid0(VALU_DEP_1) | instskip(SKIP_1) | instid1(VALU_DEP_1)
	v_lshl_or_b32 v5, s15, 3, v5
	s_waitcnt lgkmcnt(0)
	v_cmp_gt_i32_e32 vcc_lo, s2, v5
	s_and_b32 exec_lo, exec_lo, vcc_lo
	s_cbranch_execz .LBB49_23
; %bb.6:
	s_load_b256 s[4:11], s[0:1], 0x10
	v_ashrrev_i32_e32 v6, 31, v5
	v_and_b32_e32 v0, 15, v0
	s_cmp_lg_u32 s3, 0
	s_delay_alu instid0(VALU_DEP_2) | instskip(SKIP_1) | instid1(VALU_DEP_1)
	v_lshlrev_b64 v[6:7], 2, v[5:6]
	s_waitcnt lgkmcnt(0)
	v_add_co_u32 v6, vcc_lo, s4, v6
	s_delay_alu instid0(VALU_DEP_2) | instskip(SKIP_4) | instid1(VALU_DEP_2)
	v_add_co_ci_u32_e32 v7, vcc_lo, s5, v7, vcc_lo
	global_load_b64 v[6:7], v[6:7], off
	s_waitcnt vmcnt(0)
	v_subrev_nc_u32_e32 v6, s12, v6
	v_subrev_nc_u32_e32 v18, s12, v7
	v_add_nc_u32_e32 v12, v6, v0
	s_delay_alu instid0(VALU_DEP_1)
	v_cmp_lt_i32_e64 s2, v12, v18
	s_cbranch_scc0 .LBB49_12
; %bb.7:
	v_mov_b32_e32 v6, 0
	v_mov_b32_e32 v7, 0
	s_delay_alu instid0(VALU_DEP_1)
	v_dual_mov_b32 v9, v7 :: v_dual_mov_b32 v8, v6
	v_dual_mov_b32 v11, v7 :: v_dual_mov_b32 v10, v6
	s_and_saveexec_b32 s3, s2
	s_cbranch_execz .LBB49_11
; %bb.8:
	v_dual_mov_b32 v6, 0 :: v_dual_mov_b32 v15, 0
	v_dual_mov_b32 v7, 0 :: v_dual_mov_b32 v16, v12
	v_mad_u64_u32 v[13:14], null, v12, 12, 11
	s_mov_b32 s4, 0
	s_delay_alu instid0(VALU_DEP_2)
	v_dual_mov_b32 v9, v7 :: v_dual_mov_b32 v8, v6
	v_dual_mov_b32 v11, v7 :: v_dual_mov_b32 v10, v6
.LBB49_9:                               ; =>This Inner Loop Header: Depth=1
	v_ashrrev_i32_e32 v17, 31, v16
	s_delay_alu instid0(VALU_DEP_4) | instskip(NEXT) | instid1(VALU_DEP_2)
	v_add_nc_u32_e32 v14, -11, v13
	v_lshlrev_b64 v[19:20], 2, v[16:17]
	s_delay_alu instid0(VALU_DEP_2) | instskip(SKIP_1) | instid1(VALU_DEP_3)
	v_lshlrev_b64 v[21:22], 3, v[14:15]
	v_add_nc_u32_e32 v16, 16, v16
	v_add_co_u32 v19, vcc_lo, s6, v19
	s_delay_alu instid0(VALU_DEP_4) | instskip(NEXT) | instid1(VALU_DEP_4)
	v_add_co_ci_u32_e32 v20, vcc_lo, s7, v20, vcc_lo
	v_add_co_u32 v23, vcc_lo, s8, v21
	v_add_co_ci_u32_e32 v24, vcc_lo, s9, v22, vcc_lo
	global_load_b32 v17, v[19:20], off
	s_waitcnt vmcnt(0)
	v_subrev_nc_u32_e32 v14, s12, v17
	s_delay_alu instid0(VALU_DEP_1) | instskip(SKIP_1) | instid1(VALU_DEP_2)
	v_dual_mov_b32 v20, v15 :: v_dual_lshlrev_b32 v19, 2, v14
	v_add_nc_u32_e32 v14, -7, v13
	v_lshlrev_b64 v[19:20], 3, v[19:20]
	s_delay_alu instid0(VALU_DEP_2) | instskip(SKIP_1) | instid1(VALU_DEP_3)
	v_lshlrev_b64 v[35:36], 3, v[14:15]
	v_add_nc_u32_e32 v14, -6, v13
	v_add_co_u32 v31, vcc_lo, s10, v19
	s_delay_alu instid0(VALU_DEP_4)
	v_add_co_ci_u32_e32 v32, vcc_lo, s11, v20, vcc_lo
	s_clause 0x1
	global_load_b128 v[19:22], v[23:24], off offset:16
	global_load_b128 v[23:26], v[23:24], off
	s_clause 0x1
	global_load_b128 v[27:30], v[31:32], off
	global_load_b128 v[31:34], v[31:32], off offset:16
	v_lshlrev_b64 v[37:38], 3, v[14:15]
	v_add_co_u32 v35, vcc_lo, s8, v35
	v_add_co_ci_u32_e32 v36, vcc_lo, s9, v36, vcc_lo
	v_add_nc_u32_e32 v14, -5, v13
	s_delay_alu instid0(VALU_DEP_4)
	v_add_co_u32 v37, vcc_lo, s8, v37
	v_add_co_ci_u32_e32 v38, vcc_lo, s9, v38, vcc_lo
	s_clause 0x1
	global_load_b64 v[35:36], v[35:36], off
	global_load_b64 v[37:38], v[37:38], off
	v_lshlrev_b64 v[39:40], 3, v[14:15]
	v_add_nc_u32_e32 v14, -4, v13
	s_delay_alu instid0(VALU_DEP_1) | instskip(SKIP_1) | instid1(VALU_DEP_4)
	v_lshlrev_b64 v[41:42], 3, v[14:15]
	v_add_nc_u32_e32 v14, -3, v13
	v_add_co_u32 v39, vcc_lo, s8, v39
	v_add_co_ci_u32_e32 v40, vcc_lo, s9, v40, vcc_lo
	s_delay_alu instid0(VALU_DEP_3) | instskip(SKIP_3) | instid1(VALU_DEP_4)
	v_lshlrev_b64 v[43:44], 3, v[14:15]
	v_add_co_u32 v41, vcc_lo, s8, v41
	v_add_co_ci_u32_e32 v42, vcc_lo, s9, v42, vcc_lo
	v_mov_b32_e32 v14, v15
	v_add_co_u32 v43, vcc_lo, s8, v43
	v_add_co_ci_u32_e32 v44, vcc_lo, s9, v44, vcc_lo
	s_clause 0x2
	global_load_b64 v[39:40], v[39:40], off
	global_load_b64 v[41:42], v[41:42], off
	global_load_b64 v[43:44], v[43:44], off
	v_lshlrev_b64 v[45:46], 3, v[13:14]
	v_add_nc_u32_e32 v14, -2, v13
	s_delay_alu instid0(VALU_DEP_1) | instskip(SKIP_4) | instid1(VALU_DEP_4)
	v_lshlrev_b64 v[47:48], 3, v[14:15]
	v_add_nc_u32_e32 v14, -1, v13
	v_add_nc_u32_e32 v13, 0xc0, v13
	v_add_co_u32 v45, vcc_lo, s8, v45
	v_add_co_ci_u32_e32 v46, vcc_lo, s9, v46, vcc_lo
	v_lshlrev_b64 v[49:50], 3, v[14:15]
	v_add_co_u32 v47, vcc_lo, s8, v47
	v_add_co_ci_u32_e32 v48, vcc_lo, s9, v48, vcc_lo
	s_delay_alu instid0(VALU_DEP_3) | instskip(NEXT) | instid1(VALU_DEP_4)
	v_add_co_u32 v49, vcc_lo, s8, v49
	v_add_co_ci_u32_e32 v50, vcc_lo, s9, v50, vcc_lo
	s_clause 0x2
	global_load_b64 v[47:48], v[47:48], off
	global_load_b64 v[49:50], v[49:50], off
	;; [unrolled: 1-line block ×3, first 2 shown]
	v_cmp_ge_i32_e32 vcc_lo, v16, v18
	s_or_b32 s4, vcc_lo, s4
	s_waitcnt vmcnt(9)
	v_fma_f64 v[6:7], v[23:24], v[27:28], v[6:7]
	v_fma_f64 v[10:11], v[25:26], v[27:28], v[10:11]
	;; [unrolled: 1-line block ×3, first 2 shown]
	s_delay_alu instid0(VALU_DEP_3) | instskip(SKIP_1) | instid1(VALU_DEP_3)
	v_fma_f64 v[6:7], v[21:22], v[29:30], v[6:7]
	s_waitcnt vmcnt(7)
	v_fma_f64 v[10:11], v[35:36], v[29:30], v[10:11]
	s_waitcnt vmcnt(6)
	s_delay_alu instid0(VALU_DEP_3) | instskip(SKIP_1) | instid1(VALU_DEP_3)
	v_fma_f64 v[8:9], v[37:38], v[29:30], v[8:9]
	s_waitcnt vmcnt(5)
	v_fma_f64 v[6:7], v[39:40], v[31:32], v[6:7]
	s_waitcnt vmcnt(4)
	;; [unrolled: 5-line block ×4, first 2 shown]
	s_delay_alu instid0(VALU_DEP_3)
	v_fma_f64 v[8:9], v[45:46], v[33:34], v[8:9]
	s_and_not1_b32 exec_lo, exec_lo, s4
	s_cbranch_execnz .LBB49_9
; %bb.10:
	s_or_b32 exec_lo, exec_lo, s4
.LBB49_11:
	s_delay_alu instid0(SALU_CYCLE_1)
	s_or_b32 exec_lo, exec_lo, s3
	s_cbranch_execz .LBB49_13
	s_branch .LBB49_18
.LBB49_12:
                                        ; implicit-def: $vgpr6_vgpr7
                                        ; implicit-def: $vgpr8_vgpr9
                                        ; implicit-def: $vgpr10_vgpr11
.LBB49_13:
	v_mov_b32_e32 v6, 0
	v_mov_b32_e32 v7, 0
	s_delay_alu instid0(VALU_DEP_1)
	v_dual_mov_b32 v9, v7 :: v_dual_mov_b32 v8, v6
	v_dual_mov_b32 v11, v7 :: v_dual_mov_b32 v10, v6
	s_and_saveexec_b32 s3, s2
	s_cbranch_execz .LBB49_17
; %bb.14:
	v_mov_b32_e32 v6, 0
	v_dual_mov_b32 v7, 0 :: v_dual_mov_b32 v16, 0
	v_mad_u64_u32 v[14:15], null, v12, 12, 11
	s_mov_b32 s2, 0
	s_delay_alu instid0(VALU_DEP_2)
	v_dual_mov_b32 v9, v7 :: v_dual_mov_b32 v8, v6
	v_dual_mov_b32 v11, v7 :: v_dual_mov_b32 v10, v6
.LBB49_15:                              ; =>This Inner Loop Header: Depth=1
	v_ashrrev_i32_e32 v13, 31, v12
	s_delay_alu instid0(VALU_DEP_4) | instskip(SKIP_1) | instid1(VALU_DEP_3)
	v_dual_mov_b32 v28, v16 :: v_dual_add_nc_u32 v15, -11, v14
	v_dual_mov_b32 v22, v16 :: v_dual_add_nc_u32 v21, -3, v14
	v_lshlrev_b64 v[19:20], 2, v[12:13]
	s_delay_alu instid0(VALU_DEP_3)
	v_lshlrev_b64 v[23:24], 3, v[15:16]
	v_add_nc_u32_e32 v15, -6, v14
	v_add_nc_u32_e32 v12, 16, v12
	v_lshlrev_b64 v[21:22], 3, v[21:22]
	v_add_co_u32 v19, vcc_lo, s6, v19
	v_add_co_ci_u32_e32 v20, vcc_lo, s7, v20, vcc_lo
	v_add_co_u32 v23, vcc_lo, s8, v23
	v_add_co_ci_u32_e32 v24, vcc_lo, s9, v24, vcc_lo
	global_load_b32 v13, v[19:20], off
	v_dual_mov_b32 v20, v16 :: v_dual_add_nc_u32 v19, -7, v14
	v_lshlrev_b64 v[39:40], 3, v[15:16]
	v_add_nc_u32_e32 v15, -2, v14
	s_delay_alu instid0(VALU_DEP_3) | instskip(NEXT) | instid1(VALU_DEP_2)
	v_lshlrev_b64 v[19:20], 3, v[19:20]
	v_lshlrev_b64 v[41:42], 3, v[15:16]
	v_add_nc_u32_e32 v15, -5, v14
	s_delay_alu instid0(VALU_DEP_3) | instskip(NEXT) | instid1(VALU_DEP_4)
	v_add_co_u32 v29, vcc_lo, s8, v19
	v_add_co_ci_u32_e32 v30, vcc_lo, s9, v20, vcc_lo
	v_add_co_u32 v31, vcc_lo, s8, v21
	v_add_co_ci_u32_e32 v32, vcc_lo, s9, v22, vcc_lo
	s_clause 0x1
	global_load_b128 v[19:22], v[23:24], off offset:16
	global_load_b128 v[23:26], v[23:24], off
	v_lshlrev_b64 v[43:44], 3, v[15:16]
	v_add_nc_u32_e32 v15, -1, v14
	s_delay_alu instid0(VALU_DEP_1) | instskip(SKIP_1) | instid1(VALU_DEP_1)
	v_lshlrev_b64 v[45:46], 3, v[15:16]
	v_mov_b32_e32 v15, v16
	v_lshlrev_b64 v[47:48], 3, v[14:15]
	v_add_nc_u32_e32 v15, -4, v14
	v_add_nc_u32_e32 v14, 0xc0, v14
	s_delay_alu instid0(VALU_DEP_2) | instskip(SKIP_2) | instid1(VALU_DEP_1)
	v_lshlrev_b64 v[49:50], 3, v[15:16]
	s_waitcnt vmcnt(2)
	v_subrev_nc_u32_e32 v13, s12, v13
	v_lshlrev_b32_e32 v27, 2, v13
	s_delay_alu instid0(VALU_DEP_1) | instskip(NEXT) | instid1(VALU_DEP_1)
	v_lshlrev_b64 v[27:28], 3, v[27:28]
	v_add_co_u32 v33, vcc_lo, s10, v27
	s_delay_alu instid0(VALU_DEP_2)
	v_add_co_ci_u32_e32 v34, vcc_lo, s11, v28, vcc_lo
	s_clause 0x1
	global_load_b64 v[35:36], v[29:30], off
	global_load_b64 v[37:38], v[31:32], off
	s_clause 0x1
	global_load_b128 v[27:30], v[33:34], off
	global_load_b128 v[31:34], v[33:34], off offset:16
	v_add_co_u32 v39, vcc_lo, s8, v39
	v_add_co_ci_u32_e32 v40, vcc_lo, s9, v40, vcc_lo
	v_add_co_u32 v41, vcc_lo, s8, v41
	v_add_co_ci_u32_e32 v42, vcc_lo, s9, v42, vcc_lo
	s_clause 0x1
	global_load_b64 v[39:40], v[39:40], off
	global_load_b64 v[41:42], v[41:42], off
	v_add_co_u32 v43, vcc_lo, s8, v43
	v_add_co_ci_u32_e32 v44, vcc_lo, s9, v44, vcc_lo
	v_add_co_u32 v45, vcc_lo, s8, v45
	v_add_co_ci_u32_e32 v46, vcc_lo, s9, v46, vcc_lo
	s_clause 0x1
	global_load_b64 v[43:44], v[43:44], off
	global_load_b64 v[45:46], v[45:46], off
	v_add_co_u32 v47, vcc_lo, s8, v47
	v_add_co_ci_u32_e32 v48, vcc_lo, s9, v48, vcc_lo
	v_add_co_u32 v49, vcc_lo, s8, v49
	v_add_co_ci_u32_e32 v50, vcc_lo, s9, v50, vcc_lo
	s_clause 0x1
	global_load_b64 v[49:50], v[49:50], off
	global_load_b64 v[47:48], v[47:48], off
	v_cmp_ge_i32_e32 vcc_lo, v12, v18
	s_or_b32 s2, vcc_lo, s2
	s_waitcnt vmcnt(7)
	v_fma_f64 v[6:7], v[23:24], v[27:28], v[6:7]
	v_fma_f64 v[10:11], v[35:36], v[27:28], v[10:11]
	;; [unrolled: 1-line block ×3, first 2 shown]
	s_delay_alu instid0(VALU_DEP_3) | instskip(SKIP_1) | instid1(VALU_DEP_3)
	v_fma_f64 v[6:7], v[25:26], v[29:30], v[6:7]
	s_waitcnt vmcnt(5)
	v_fma_f64 v[10:11], v[39:40], v[29:30], v[10:11]
	s_waitcnt vmcnt(4)
	s_delay_alu instid0(VALU_DEP_3) | instskip(NEXT) | instid1(VALU_DEP_3)
	v_fma_f64 v[8:9], v[41:42], v[29:30], v[8:9]
	v_fma_f64 v[6:7], v[19:20], v[31:32], v[6:7]
	s_waitcnt vmcnt(3)
	s_delay_alu instid0(VALU_DEP_3) | instskip(SKIP_1) | instid1(VALU_DEP_3)
	v_fma_f64 v[10:11], v[43:44], v[31:32], v[10:11]
	s_waitcnt vmcnt(2)
	v_fma_f64 v[8:9], v[45:46], v[31:32], v[8:9]
	s_delay_alu instid0(VALU_DEP_3) | instskip(SKIP_1) | instid1(VALU_DEP_3)
	v_fma_f64 v[6:7], v[21:22], v[33:34], v[6:7]
	s_waitcnt vmcnt(1)
	v_fma_f64 v[10:11], v[49:50], v[33:34], v[10:11]
	s_waitcnt vmcnt(0)
	s_delay_alu instid0(VALU_DEP_3)
	v_fma_f64 v[8:9], v[47:48], v[33:34], v[8:9]
	s_and_not1_b32 exec_lo, exec_lo, s2
	s_cbranch_execnz .LBB49_15
; %bb.16:
	s_or_b32 exec_lo, exec_lo, s2
.LBB49_17:
	s_delay_alu instid0(SALU_CYCLE_1)
	s_or_b32 exec_lo, exec_lo, s3
.LBB49_18:
	v_mbcnt_lo_u32_b32 v18, -1, 0
	s_delay_alu instid0(VALU_DEP_1) | instskip(NEXT) | instid1(VALU_DEP_1)
	v_xor_b32_e32 v12, 8, v18
	v_cmp_gt_i32_e32 vcc_lo, 32, v12
	v_cndmask_b32_e32 v12, v18, v12, vcc_lo
	s_delay_alu instid0(VALU_DEP_1)
	v_lshlrev_b32_e32 v17, 2, v12
	ds_bpermute_b32 v12, v17, v6
	ds_bpermute_b32 v13, v17, v7
	;; [unrolled: 1-line block ×6, first 2 shown]
	s_waitcnt lgkmcnt(4)
	v_add_f64 v[6:7], v[6:7], v[12:13]
	v_xor_b32_e32 v12, 4, v18
	s_waitcnt lgkmcnt(2)
	v_add_f64 v[10:11], v[10:11], v[14:15]
	s_waitcnt lgkmcnt(0)
	v_add_f64 v[8:9], v[8:9], v[16:17]
	v_cmp_gt_i32_e32 vcc_lo, 32, v12
	v_cndmask_b32_e32 v12, v18, v12, vcc_lo
	s_delay_alu instid0(VALU_DEP_1)
	v_lshlrev_b32_e32 v17, 2, v12
	ds_bpermute_b32 v12, v17, v6
	ds_bpermute_b32 v13, v17, v7
	;; [unrolled: 1-line block ×6, first 2 shown]
	s_waitcnt lgkmcnt(4)
	v_add_f64 v[6:7], v[6:7], v[12:13]
	s_waitcnt lgkmcnt(2)
	v_add_f64 v[10:11], v[10:11], v[14:15]
	;; [unrolled: 2-line block ×3, first 2 shown]
	v_xor_b32_e32 v8, 2, v18
	s_delay_alu instid0(VALU_DEP_1) | instskip(SKIP_1) | instid1(VALU_DEP_1)
	v_cmp_gt_i32_e32 vcc_lo, 32, v8
	v_cndmask_b32_e32 v8, v18, v8, vcc_lo
	v_lshlrev_b32_e32 v17, 2, v8
	ds_bpermute_b32 v8, v17, v6
	ds_bpermute_b32 v9, v17, v7
	;; [unrolled: 1-line block ×6, first 2 shown]
	s_waitcnt lgkmcnt(4)
	v_add_f64 v[8:9], v[6:7], v[8:9]
	s_waitcnt lgkmcnt(2)
	v_add_f64 v[6:7], v[10:11], v[14:15]
	v_xor_b32_e32 v10, 1, v18
	s_waitcnt lgkmcnt(0)
	v_add_f64 v[12:13], v[12:13], v[16:17]
	s_delay_alu instid0(VALU_DEP_2) | instskip(SKIP_2) | instid1(VALU_DEP_2)
	v_cmp_gt_i32_e32 vcc_lo, 32, v10
	v_cndmask_b32_e32 v10, v18, v10, vcc_lo
	v_cmp_eq_u32_e32 vcc_lo, 15, v0
	v_lshlrev_b32_e32 v15, 2, v10
	ds_bpermute_b32 v10, v15, v8
	ds_bpermute_b32 v11, v15, v9
	;; [unrolled: 1-line block ×6, first 2 shown]
	s_and_b32 exec_lo, exec_lo, vcc_lo
	s_cbranch_execz .LBB49_23
; %bb.19:
	s_waitcnt lgkmcnt(4)
	v_add_f64 v[10:11], v[8:9], v[10:11]
	s_waitcnt lgkmcnt(2)
	v_add_f64 v[8:9], v[6:7], v[16:17]
	;; [unrolled: 2-line block ×3, first 2 shown]
	s_load_b64 s[0:1], s[0:1], 0x38
	s_mov_b32 s2, exec_lo
	v_cmpx_eq_f64_e32 0, v[3:4]
	s_xor_b32 s2, exec_lo, s2
	s_cbranch_execz .LBB49_21
; %bb.20:
	s_delay_alu instid0(VALU_DEP_4) | instskip(NEXT) | instid1(VALU_DEP_4)
	v_mul_f64 v[10:11], v[1:2], v[10:11]
	v_mul_f64 v[12:13], v[1:2], v[8:9]
	s_delay_alu instid0(VALU_DEP_4) | instskip(SKIP_1) | instid1(VALU_DEP_1)
	v_mul_f64 v[0:1], v[1:2], v[6:7]
	v_lshl_add_u32 v2, v5, 1, v5
                                        ; implicit-def: $vgpr5
                                        ; implicit-def: $vgpr8_vgpr9
                                        ; implicit-def: $vgpr6_vgpr7
	v_ashrrev_i32_e32 v3, 31, v2
	s_delay_alu instid0(VALU_DEP_1) | instskip(SKIP_1) | instid1(VALU_DEP_1)
	v_lshlrev_b64 v[2:3], 3, v[2:3]
	s_waitcnt lgkmcnt(0)
	v_add_co_u32 v2, vcc_lo, s0, v2
	s_delay_alu instid0(VALU_DEP_2)
	v_add_co_ci_u32_e32 v3, vcc_lo, s1, v3, vcc_lo
	s_clause 0x1
	global_store_b128 v[2:3], v[10:13], off
	global_store_b64 v[2:3], v[0:1], off offset:16
                                        ; implicit-def: $vgpr1_vgpr2
                                        ; implicit-def: $vgpr10_vgpr11
                                        ; implicit-def: $vgpr3_vgpr4
.LBB49_21:
	s_and_not1_saveexec_b32 s2, s2
	s_cbranch_execz .LBB49_23
; %bb.22:
	v_lshl_add_u32 v12, v5, 1, v5
	v_mul_f64 v[10:11], v[1:2], v[10:11]
	v_mul_f64 v[8:9], v[1:2], v[8:9]
	;; [unrolled: 1-line block ×3, first 2 shown]
	s_delay_alu instid0(VALU_DEP_4) | instskip(NEXT) | instid1(VALU_DEP_1)
	v_ashrrev_i32_e32 v13, 31, v12
	v_lshlrev_b64 v[12:13], 3, v[12:13]
	s_waitcnt lgkmcnt(0)
	s_delay_alu instid0(VALU_DEP_1) | instskip(NEXT) | instid1(VALU_DEP_2)
	v_add_co_u32 v16, vcc_lo, s0, v12
	v_add_co_ci_u32_e32 v17, vcc_lo, s1, v13, vcc_lo
	s_clause 0x1
	global_load_b128 v[12:15], v[16:17], off
	global_load_b64 v[18:19], v[16:17], off offset:16
	s_waitcnt vmcnt(1)
	v_fma_f64 v[5:6], v[3:4], v[12:13], v[10:11]
	v_fma_f64 v[7:8], v[3:4], v[14:15], v[8:9]
	s_waitcnt vmcnt(0)
	v_fma_f64 v[0:1], v[3:4], v[18:19], v[0:1]
	s_clause 0x1
	global_store_b128 v[16:17], v[5:8], off
	global_store_b64 v[16:17], v[0:1], off offset:16
.LBB49_23:
	s_nop 0
	s_sendmsg sendmsg(MSG_DEALLOC_VGPRS)
	s_endpgm
	.section	.rodata,"a",@progbits
	.p2align	6, 0x0
	.amdhsa_kernel _ZN9rocsparseL19gebsrmvn_3xn_kernelILj128ELj4ELj16EdEEvi20rocsparse_direction_NS_24const_host_device_scalarIT2_EEPKiS6_PKS3_S8_S4_PS3_21rocsparse_index_base_b
		.amdhsa_group_segment_fixed_size 0
		.amdhsa_private_segment_fixed_size 0
		.amdhsa_kernarg_size 72
		.amdhsa_user_sgpr_count 15
		.amdhsa_user_sgpr_dispatch_ptr 0
		.amdhsa_user_sgpr_queue_ptr 0
		.amdhsa_user_sgpr_kernarg_segment_ptr 1
		.amdhsa_user_sgpr_dispatch_id 0
		.amdhsa_user_sgpr_private_segment_size 0
		.amdhsa_wavefront_size32 1
		.amdhsa_uses_dynamic_stack 0
		.amdhsa_enable_private_segment 0
		.amdhsa_system_sgpr_workgroup_id_x 1
		.amdhsa_system_sgpr_workgroup_id_y 0
		.amdhsa_system_sgpr_workgroup_id_z 0
		.amdhsa_system_sgpr_workgroup_info 0
		.amdhsa_system_vgpr_workitem_id 0
		.amdhsa_next_free_vgpr 51
		.amdhsa_next_free_sgpr 16
		.amdhsa_reserve_vcc 1
		.amdhsa_float_round_mode_32 0
		.amdhsa_float_round_mode_16_64 0
		.amdhsa_float_denorm_mode_32 3
		.amdhsa_float_denorm_mode_16_64 3
		.amdhsa_dx10_clamp 1
		.amdhsa_ieee_mode 1
		.amdhsa_fp16_overflow 0
		.amdhsa_workgroup_processor_mode 1
		.amdhsa_memory_ordered 1
		.amdhsa_forward_progress 0
		.amdhsa_shared_vgpr_count 0
		.amdhsa_exception_fp_ieee_invalid_op 0
		.amdhsa_exception_fp_denorm_src 0
		.amdhsa_exception_fp_ieee_div_zero 0
		.amdhsa_exception_fp_ieee_overflow 0
		.amdhsa_exception_fp_ieee_underflow 0
		.amdhsa_exception_fp_ieee_inexact 0
		.amdhsa_exception_int_div_zero 0
	.end_amdhsa_kernel
	.section	.text._ZN9rocsparseL19gebsrmvn_3xn_kernelILj128ELj4ELj16EdEEvi20rocsparse_direction_NS_24const_host_device_scalarIT2_EEPKiS6_PKS3_S8_S4_PS3_21rocsparse_index_base_b,"axG",@progbits,_ZN9rocsparseL19gebsrmvn_3xn_kernelILj128ELj4ELj16EdEEvi20rocsparse_direction_NS_24const_host_device_scalarIT2_EEPKiS6_PKS3_S8_S4_PS3_21rocsparse_index_base_b,comdat
.Lfunc_end49:
	.size	_ZN9rocsparseL19gebsrmvn_3xn_kernelILj128ELj4ELj16EdEEvi20rocsparse_direction_NS_24const_host_device_scalarIT2_EEPKiS6_PKS3_S8_S4_PS3_21rocsparse_index_base_b, .Lfunc_end49-_ZN9rocsparseL19gebsrmvn_3xn_kernelILj128ELj4ELj16EdEEvi20rocsparse_direction_NS_24const_host_device_scalarIT2_EEPKiS6_PKS3_S8_S4_PS3_21rocsparse_index_base_b
                                        ; -- End function
	.section	.AMDGPU.csdata,"",@progbits
; Kernel info:
; codeLenInByte = 2432
; NumSgprs: 18
; NumVgprs: 51
; ScratchSize: 0
; MemoryBound: 0
; FloatMode: 240
; IeeeMode: 1
; LDSByteSize: 0 bytes/workgroup (compile time only)
; SGPRBlocks: 2
; VGPRBlocks: 6
; NumSGPRsForWavesPerEU: 18
; NumVGPRsForWavesPerEU: 51
; Occupancy: 16
; WaveLimiterHint : 1
; COMPUTE_PGM_RSRC2:SCRATCH_EN: 0
; COMPUTE_PGM_RSRC2:USER_SGPR: 15
; COMPUTE_PGM_RSRC2:TRAP_HANDLER: 0
; COMPUTE_PGM_RSRC2:TGID_X_EN: 1
; COMPUTE_PGM_RSRC2:TGID_Y_EN: 0
; COMPUTE_PGM_RSRC2:TGID_Z_EN: 0
; COMPUTE_PGM_RSRC2:TIDIG_COMP_CNT: 0
	.section	.text._ZN9rocsparseL19gebsrmvn_3xn_kernelILj128ELj4ELj32EdEEvi20rocsparse_direction_NS_24const_host_device_scalarIT2_EEPKiS6_PKS3_S8_S4_PS3_21rocsparse_index_base_b,"axG",@progbits,_ZN9rocsparseL19gebsrmvn_3xn_kernelILj128ELj4ELj32EdEEvi20rocsparse_direction_NS_24const_host_device_scalarIT2_EEPKiS6_PKS3_S8_S4_PS3_21rocsparse_index_base_b,comdat
	.globl	_ZN9rocsparseL19gebsrmvn_3xn_kernelILj128ELj4ELj32EdEEvi20rocsparse_direction_NS_24const_host_device_scalarIT2_EEPKiS6_PKS3_S8_S4_PS3_21rocsparse_index_base_b ; -- Begin function _ZN9rocsparseL19gebsrmvn_3xn_kernelILj128ELj4ELj32EdEEvi20rocsparse_direction_NS_24const_host_device_scalarIT2_EEPKiS6_PKS3_S8_S4_PS3_21rocsparse_index_base_b
	.p2align	8
	.type	_ZN9rocsparseL19gebsrmvn_3xn_kernelILj128ELj4ELj32EdEEvi20rocsparse_direction_NS_24const_host_device_scalarIT2_EEPKiS6_PKS3_S8_S4_PS3_21rocsparse_index_base_b,@function
_ZN9rocsparseL19gebsrmvn_3xn_kernelILj128ELj4ELj32EdEEvi20rocsparse_direction_NS_24const_host_device_scalarIT2_EEPKiS6_PKS3_S8_S4_PS3_21rocsparse_index_base_b: ; @_ZN9rocsparseL19gebsrmvn_3xn_kernelILj128ELj4ELj32EdEEvi20rocsparse_direction_NS_24const_host_device_scalarIT2_EEPKiS6_PKS3_S8_S4_PS3_21rocsparse_index_base_b
; %bb.0:
	s_clause 0x2
	s_load_b64 s[12:13], s[0:1], 0x40
	s_load_b64 s[4:5], s[0:1], 0x8
	;; [unrolled: 1-line block ×3, first 2 shown]
	s_waitcnt lgkmcnt(0)
	s_bitcmp1_b32 s13, 0
	v_dual_mov_b32 v1, s4 :: v_dual_mov_b32 v2, s5
	s_cselect_b32 s6, -1, 0
	s_delay_alu instid0(SALU_CYCLE_1)
	s_and_b32 vcc_lo, exec_lo, s6
	s_xor_b32 s6, s6, -1
	s_cbranch_vccnz .LBB50_2
; %bb.1:
	v_dual_mov_b32 v1, s4 :: v_dual_mov_b32 v2, s5
	flat_load_b64 v[1:2], v[1:2]
.LBB50_2:
	v_dual_mov_b32 v4, s3 :: v_dual_mov_b32 v3, s2
	s_and_not1_b32 vcc_lo, exec_lo, s6
	s_cbranch_vccnz .LBB50_4
; %bb.3:
	v_dual_mov_b32 v4, s3 :: v_dual_mov_b32 v3, s2
	flat_load_b64 v[3:4], v[3:4]
.LBB50_4:
	s_waitcnt vmcnt(0) lgkmcnt(0)
	v_cmp_neq_f64_e32 vcc_lo, 0, v[1:2]
	v_cmp_neq_f64_e64 s2, 1.0, v[3:4]
	s_delay_alu instid0(VALU_DEP_1) | instskip(NEXT) | instid1(SALU_CYCLE_1)
	s_or_b32 s2, vcc_lo, s2
	s_and_saveexec_b32 s3, s2
	s_cbranch_execz .LBB50_23
; %bb.5:
	s_load_b64 s[2:3], s[0:1], 0x0
	v_lshrrev_b32_e32 v5, 5, v0
	s_delay_alu instid0(VALU_DEP_1) | instskip(SKIP_1) | instid1(VALU_DEP_1)
	v_lshl_or_b32 v5, s15, 2, v5
	s_waitcnt lgkmcnt(0)
	v_cmp_gt_i32_e32 vcc_lo, s2, v5
	s_and_b32 exec_lo, exec_lo, vcc_lo
	s_cbranch_execz .LBB50_23
; %bb.6:
	s_load_b256 s[4:11], s[0:1], 0x10
	v_ashrrev_i32_e32 v6, 31, v5
	v_and_b32_e32 v0, 31, v0
	s_cmp_lg_u32 s3, 0
	s_delay_alu instid0(VALU_DEP_2) | instskip(SKIP_1) | instid1(VALU_DEP_1)
	v_lshlrev_b64 v[6:7], 2, v[5:6]
	s_waitcnt lgkmcnt(0)
	v_add_co_u32 v6, vcc_lo, s4, v6
	s_delay_alu instid0(VALU_DEP_2) | instskip(SKIP_4) | instid1(VALU_DEP_2)
	v_add_co_ci_u32_e32 v7, vcc_lo, s5, v7, vcc_lo
	global_load_b64 v[6:7], v[6:7], off
	s_waitcnt vmcnt(0)
	v_subrev_nc_u32_e32 v6, s12, v6
	v_subrev_nc_u32_e32 v18, s12, v7
	v_add_nc_u32_e32 v12, v6, v0
	s_delay_alu instid0(VALU_DEP_1)
	v_cmp_lt_i32_e64 s2, v12, v18
	s_cbranch_scc0 .LBB50_12
; %bb.7:
	v_mov_b32_e32 v6, 0
	v_mov_b32_e32 v7, 0
	s_delay_alu instid0(VALU_DEP_1)
	v_dual_mov_b32 v9, v7 :: v_dual_mov_b32 v8, v6
	v_dual_mov_b32 v11, v7 :: v_dual_mov_b32 v10, v6
	s_and_saveexec_b32 s3, s2
	s_cbranch_execz .LBB50_11
; %bb.8:
	v_dual_mov_b32 v6, 0 :: v_dual_mov_b32 v15, 0
	v_dual_mov_b32 v7, 0 :: v_dual_mov_b32 v16, v12
	v_mad_u64_u32 v[13:14], null, v12, 12, 11
	s_mov_b32 s4, 0
	s_delay_alu instid0(VALU_DEP_2)
	v_dual_mov_b32 v9, v7 :: v_dual_mov_b32 v8, v6
	v_dual_mov_b32 v11, v7 :: v_dual_mov_b32 v10, v6
.LBB50_9:                               ; =>This Inner Loop Header: Depth=1
	v_ashrrev_i32_e32 v17, 31, v16
	s_delay_alu instid0(VALU_DEP_4) | instskip(NEXT) | instid1(VALU_DEP_2)
	v_add_nc_u32_e32 v14, -11, v13
	v_lshlrev_b64 v[19:20], 2, v[16:17]
	s_delay_alu instid0(VALU_DEP_2) | instskip(SKIP_1) | instid1(VALU_DEP_3)
	v_lshlrev_b64 v[21:22], 3, v[14:15]
	v_add_nc_u32_e32 v16, 32, v16
	v_add_co_u32 v19, vcc_lo, s6, v19
	s_delay_alu instid0(VALU_DEP_4) | instskip(NEXT) | instid1(VALU_DEP_4)
	v_add_co_ci_u32_e32 v20, vcc_lo, s7, v20, vcc_lo
	v_add_co_u32 v23, vcc_lo, s8, v21
	v_add_co_ci_u32_e32 v24, vcc_lo, s9, v22, vcc_lo
	global_load_b32 v17, v[19:20], off
	s_waitcnt vmcnt(0)
	v_subrev_nc_u32_e32 v14, s12, v17
	s_delay_alu instid0(VALU_DEP_1) | instskip(SKIP_1) | instid1(VALU_DEP_2)
	v_dual_mov_b32 v20, v15 :: v_dual_lshlrev_b32 v19, 2, v14
	v_add_nc_u32_e32 v14, -7, v13
	v_lshlrev_b64 v[19:20], 3, v[19:20]
	s_delay_alu instid0(VALU_DEP_2) | instskip(SKIP_1) | instid1(VALU_DEP_3)
	v_lshlrev_b64 v[35:36], 3, v[14:15]
	v_add_nc_u32_e32 v14, -6, v13
	v_add_co_u32 v31, vcc_lo, s10, v19
	s_delay_alu instid0(VALU_DEP_4)
	v_add_co_ci_u32_e32 v32, vcc_lo, s11, v20, vcc_lo
	s_clause 0x1
	global_load_b128 v[19:22], v[23:24], off offset:16
	global_load_b128 v[23:26], v[23:24], off
	s_clause 0x1
	global_load_b128 v[27:30], v[31:32], off
	global_load_b128 v[31:34], v[31:32], off offset:16
	v_lshlrev_b64 v[37:38], 3, v[14:15]
	v_add_co_u32 v35, vcc_lo, s8, v35
	v_add_co_ci_u32_e32 v36, vcc_lo, s9, v36, vcc_lo
	v_add_nc_u32_e32 v14, -5, v13
	s_delay_alu instid0(VALU_DEP_4)
	v_add_co_u32 v37, vcc_lo, s8, v37
	v_add_co_ci_u32_e32 v38, vcc_lo, s9, v38, vcc_lo
	s_clause 0x1
	global_load_b64 v[35:36], v[35:36], off
	global_load_b64 v[37:38], v[37:38], off
	v_lshlrev_b64 v[39:40], 3, v[14:15]
	v_add_nc_u32_e32 v14, -4, v13
	s_delay_alu instid0(VALU_DEP_1) | instskip(SKIP_1) | instid1(VALU_DEP_4)
	v_lshlrev_b64 v[41:42], 3, v[14:15]
	v_add_nc_u32_e32 v14, -3, v13
	v_add_co_u32 v39, vcc_lo, s8, v39
	v_add_co_ci_u32_e32 v40, vcc_lo, s9, v40, vcc_lo
	s_delay_alu instid0(VALU_DEP_3) | instskip(SKIP_3) | instid1(VALU_DEP_4)
	v_lshlrev_b64 v[43:44], 3, v[14:15]
	v_add_co_u32 v41, vcc_lo, s8, v41
	v_add_co_ci_u32_e32 v42, vcc_lo, s9, v42, vcc_lo
	v_mov_b32_e32 v14, v15
	v_add_co_u32 v43, vcc_lo, s8, v43
	v_add_co_ci_u32_e32 v44, vcc_lo, s9, v44, vcc_lo
	s_clause 0x2
	global_load_b64 v[39:40], v[39:40], off
	global_load_b64 v[41:42], v[41:42], off
	;; [unrolled: 1-line block ×3, first 2 shown]
	v_lshlrev_b64 v[45:46], 3, v[13:14]
	v_add_nc_u32_e32 v14, -2, v13
	s_delay_alu instid0(VALU_DEP_1) | instskip(SKIP_4) | instid1(VALU_DEP_4)
	v_lshlrev_b64 v[47:48], 3, v[14:15]
	v_add_nc_u32_e32 v14, -1, v13
	v_add_nc_u32_e32 v13, 0x180, v13
	v_add_co_u32 v45, vcc_lo, s8, v45
	v_add_co_ci_u32_e32 v46, vcc_lo, s9, v46, vcc_lo
	v_lshlrev_b64 v[49:50], 3, v[14:15]
	v_add_co_u32 v47, vcc_lo, s8, v47
	v_add_co_ci_u32_e32 v48, vcc_lo, s9, v48, vcc_lo
	s_delay_alu instid0(VALU_DEP_3) | instskip(NEXT) | instid1(VALU_DEP_4)
	v_add_co_u32 v49, vcc_lo, s8, v49
	v_add_co_ci_u32_e32 v50, vcc_lo, s9, v50, vcc_lo
	s_clause 0x2
	global_load_b64 v[47:48], v[47:48], off
	global_load_b64 v[49:50], v[49:50], off
	;; [unrolled: 1-line block ×3, first 2 shown]
	v_cmp_ge_i32_e32 vcc_lo, v16, v18
	s_or_b32 s4, vcc_lo, s4
	s_waitcnt vmcnt(9)
	v_fma_f64 v[6:7], v[23:24], v[27:28], v[6:7]
	v_fma_f64 v[10:11], v[25:26], v[27:28], v[10:11]
	;; [unrolled: 1-line block ×3, first 2 shown]
	s_delay_alu instid0(VALU_DEP_3) | instskip(SKIP_1) | instid1(VALU_DEP_3)
	v_fma_f64 v[6:7], v[21:22], v[29:30], v[6:7]
	s_waitcnt vmcnt(7)
	v_fma_f64 v[10:11], v[35:36], v[29:30], v[10:11]
	s_waitcnt vmcnt(6)
	s_delay_alu instid0(VALU_DEP_3) | instskip(SKIP_1) | instid1(VALU_DEP_3)
	v_fma_f64 v[8:9], v[37:38], v[29:30], v[8:9]
	s_waitcnt vmcnt(5)
	v_fma_f64 v[6:7], v[39:40], v[31:32], v[6:7]
	s_waitcnt vmcnt(4)
	;; [unrolled: 5-line block ×4, first 2 shown]
	s_delay_alu instid0(VALU_DEP_3)
	v_fma_f64 v[8:9], v[45:46], v[33:34], v[8:9]
	s_and_not1_b32 exec_lo, exec_lo, s4
	s_cbranch_execnz .LBB50_9
; %bb.10:
	s_or_b32 exec_lo, exec_lo, s4
.LBB50_11:
	s_delay_alu instid0(SALU_CYCLE_1)
	s_or_b32 exec_lo, exec_lo, s3
	s_cbranch_execz .LBB50_13
	s_branch .LBB50_18
.LBB50_12:
                                        ; implicit-def: $vgpr6_vgpr7
                                        ; implicit-def: $vgpr8_vgpr9
                                        ; implicit-def: $vgpr10_vgpr11
.LBB50_13:
	v_mov_b32_e32 v6, 0
	v_mov_b32_e32 v7, 0
	s_delay_alu instid0(VALU_DEP_1)
	v_dual_mov_b32 v9, v7 :: v_dual_mov_b32 v8, v6
	v_dual_mov_b32 v11, v7 :: v_dual_mov_b32 v10, v6
	s_and_saveexec_b32 s3, s2
	s_cbranch_execz .LBB50_17
; %bb.14:
	v_mov_b32_e32 v6, 0
	v_dual_mov_b32 v7, 0 :: v_dual_mov_b32 v16, 0
	v_mad_u64_u32 v[14:15], null, v12, 12, 11
	s_mov_b32 s2, 0
	s_delay_alu instid0(VALU_DEP_2)
	v_dual_mov_b32 v9, v7 :: v_dual_mov_b32 v8, v6
	v_dual_mov_b32 v11, v7 :: v_dual_mov_b32 v10, v6
.LBB50_15:                              ; =>This Inner Loop Header: Depth=1
	v_ashrrev_i32_e32 v13, 31, v12
	s_delay_alu instid0(VALU_DEP_4) | instskip(SKIP_1) | instid1(VALU_DEP_3)
	v_dual_mov_b32 v28, v16 :: v_dual_add_nc_u32 v15, -11, v14
	v_dual_mov_b32 v22, v16 :: v_dual_add_nc_u32 v21, -3, v14
	v_lshlrev_b64 v[19:20], 2, v[12:13]
	s_delay_alu instid0(VALU_DEP_3)
	v_lshlrev_b64 v[23:24], 3, v[15:16]
	v_add_nc_u32_e32 v15, -6, v14
	v_add_nc_u32_e32 v12, 32, v12
	v_lshlrev_b64 v[21:22], 3, v[21:22]
	v_add_co_u32 v19, vcc_lo, s6, v19
	v_add_co_ci_u32_e32 v20, vcc_lo, s7, v20, vcc_lo
	v_add_co_u32 v23, vcc_lo, s8, v23
	v_add_co_ci_u32_e32 v24, vcc_lo, s9, v24, vcc_lo
	global_load_b32 v13, v[19:20], off
	v_dual_mov_b32 v20, v16 :: v_dual_add_nc_u32 v19, -7, v14
	v_lshlrev_b64 v[39:40], 3, v[15:16]
	v_add_nc_u32_e32 v15, -2, v14
	s_delay_alu instid0(VALU_DEP_3) | instskip(NEXT) | instid1(VALU_DEP_2)
	v_lshlrev_b64 v[19:20], 3, v[19:20]
	v_lshlrev_b64 v[41:42], 3, v[15:16]
	v_add_nc_u32_e32 v15, -5, v14
	s_delay_alu instid0(VALU_DEP_3) | instskip(NEXT) | instid1(VALU_DEP_4)
	v_add_co_u32 v29, vcc_lo, s8, v19
	v_add_co_ci_u32_e32 v30, vcc_lo, s9, v20, vcc_lo
	v_add_co_u32 v31, vcc_lo, s8, v21
	v_add_co_ci_u32_e32 v32, vcc_lo, s9, v22, vcc_lo
	s_clause 0x1
	global_load_b128 v[19:22], v[23:24], off offset:16
	global_load_b128 v[23:26], v[23:24], off
	v_lshlrev_b64 v[43:44], 3, v[15:16]
	v_add_nc_u32_e32 v15, -1, v14
	s_delay_alu instid0(VALU_DEP_1) | instskip(SKIP_1) | instid1(VALU_DEP_1)
	v_lshlrev_b64 v[45:46], 3, v[15:16]
	v_mov_b32_e32 v15, v16
	v_lshlrev_b64 v[47:48], 3, v[14:15]
	v_add_nc_u32_e32 v15, -4, v14
	v_add_nc_u32_e32 v14, 0x180, v14
	s_delay_alu instid0(VALU_DEP_2) | instskip(SKIP_2) | instid1(VALU_DEP_1)
	v_lshlrev_b64 v[49:50], 3, v[15:16]
	s_waitcnt vmcnt(2)
	v_subrev_nc_u32_e32 v13, s12, v13
	v_lshlrev_b32_e32 v27, 2, v13
	s_delay_alu instid0(VALU_DEP_1) | instskip(NEXT) | instid1(VALU_DEP_1)
	v_lshlrev_b64 v[27:28], 3, v[27:28]
	v_add_co_u32 v33, vcc_lo, s10, v27
	s_delay_alu instid0(VALU_DEP_2)
	v_add_co_ci_u32_e32 v34, vcc_lo, s11, v28, vcc_lo
	s_clause 0x1
	global_load_b64 v[35:36], v[29:30], off
	global_load_b64 v[37:38], v[31:32], off
	s_clause 0x1
	global_load_b128 v[27:30], v[33:34], off
	global_load_b128 v[31:34], v[33:34], off offset:16
	v_add_co_u32 v39, vcc_lo, s8, v39
	v_add_co_ci_u32_e32 v40, vcc_lo, s9, v40, vcc_lo
	v_add_co_u32 v41, vcc_lo, s8, v41
	v_add_co_ci_u32_e32 v42, vcc_lo, s9, v42, vcc_lo
	s_clause 0x1
	global_load_b64 v[39:40], v[39:40], off
	global_load_b64 v[41:42], v[41:42], off
	v_add_co_u32 v43, vcc_lo, s8, v43
	v_add_co_ci_u32_e32 v44, vcc_lo, s9, v44, vcc_lo
	v_add_co_u32 v45, vcc_lo, s8, v45
	v_add_co_ci_u32_e32 v46, vcc_lo, s9, v46, vcc_lo
	s_clause 0x1
	global_load_b64 v[43:44], v[43:44], off
	global_load_b64 v[45:46], v[45:46], off
	;; [unrolled: 7-line block ×3, first 2 shown]
	v_cmp_ge_i32_e32 vcc_lo, v12, v18
	s_or_b32 s2, vcc_lo, s2
	s_waitcnt vmcnt(7)
	v_fma_f64 v[6:7], v[23:24], v[27:28], v[6:7]
	v_fma_f64 v[10:11], v[35:36], v[27:28], v[10:11]
	;; [unrolled: 1-line block ×3, first 2 shown]
	s_delay_alu instid0(VALU_DEP_3) | instskip(SKIP_1) | instid1(VALU_DEP_3)
	v_fma_f64 v[6:7], v[25:26], v[29:30], v[6:7]
	s_waitcnt vmcnt(5)
	v_fma_f64 v[10:11], v[39:40], v[29:30], v[10:11]
	s_waitcnt vmcnt(4)
	s_delay_alu instid0(VALU_DEP_3) | instskip(NEXT) | instid1(VALU_DEP_3)
	v_fma_f64 v[8:9], v[41:42], v[29:30], v[8:9]
	v_fma_f64 v[6:7], v[19:20], v[31:32], v[6:7]
	s_waitcnt vmcnt(3)
	s_delay_alu instid0(VALU_DEP_3) | instskip(SKIP_1) | instid1(VALU_DEP_3)
	v_fma_f64 v[10:11], v[43:44], v[31:32], v[10:11]
	s_waitcnt vmcnt(2)
	v_fma_f64 v[8:9], v[45:46], v[31:32], v[8:9]
	s_delay_alu instid0(VALU_DEP_3) | instskip(SKIP_1) | instid1(VALU_DEP_3)
	v_fma_f64 v[6:7], v[21:22], v[33:34], v[6:7]
	s_waitcnt vmcnt(1)
	v_fma_f64 v[10:11], v[49:50], v[33:34], v[10:11]
	s_waitcnt vmcnt(0)
	s_delay_alu instid0(VALU_DEP_3)
	v_fma_f64 v[8:9], v[47:48], v[33:34], v[8:9]
	s_and_not1_b32 exec_lo, exec_lo, s2
	s_cbranch_execnz .LBB50_15
; %bb.16:
	s_or_b32 exec_lo, exec_lo, s2
.LBB50_17:
	s_delay_alu instid0(SALU_CYCLE_1)
	s_or_b32 exec_lo, exec_lo, s3
.LBB50_18:
	v_mbcnt_lo_u32_b32 v18, -1, 0
	s_delay_alu instid0(VALU_DEP_1) | instskip(NEXT) | instid1(VALU_DEP_1)
	v_xor_b32_e32 v12, 16, v18
	v_cmp_gt_i32_e32 vcc_lo, 32, v12
	v_cndmask_b32_e32 v12, v18, v12, vcc_lo
	s_delay_alu instid0(VALU_DEP_1)
	v_lshlrev_b32_e32 v17, 2, v12
	ds_bpermute_b32 v12, v17, v6
	ds_bpermute_b32 v13, v17, v7
	;; [unrolled: 1-line block ×6, first 2 shown]
	s_waitcnt lgkmcnt(4)
	v_add_f64 v[6:7], v[6:7], v[12:13]
	v_xor_b32_e32 v12, 8, v18
	s_waitcnt lgkmcnt(2)
	v_add_f64 v[10:11], v[10:11], v[14:15]
	s_waitcnt lgkmcnt(0)
	v_add_f64 v[8:9], v[8:9], v[16:17]
	v_cmp_gt_i32_e32 vcc_lo, 32, v12
	v_cndmask_b32_e32 v12, v18, v12, vcc_lo
	s_delay_alu instid0(VALU_DEP_1)
	v_lshlrev_b32_e32 v17, 2, v12
	ds_bpermute_b32 v12, v17, v6
	ds_bpermute_b32 v13, v17, v7
	;; [unrolled: 1-line block ×6, first 2 shown]
	s_waitcnt lgkmcnt(4)
	v_add_f64 v[6:7], v[6:7], v[12:13]
	v_xor_b32_e32 v12, 4, v18
	s_waitcnt lgkmcnt(2)
	v_add_f64 v[10:11], v[10:11], v[14:15]
	s_waitcnt lgkmcnt(0)
	v_add_f64 v[8:9], v[8:9], v[16:17]
	v_cmp_gt_i32_e32 vcc_lo, 32, v12
	v_cndmask_b32_e32 v12, v18, v12, vcc_lo
	s_delay_alu instid0(VALU_DEP_1)
	v_lshlrev_b32_e32 v17, 2, v12
	ds_bpermute_b32 v12, v17, v6
	ds_bpermute_b32 v13, v17, v7
	;; [unrolled: 1-line block ×6, first 2 shown]
	s_waitcnt lgkmcnt(4)
	v_add_f64 v[6:7], v[6:7], v[12:13]
	s_waitcnt lgkmcnt(2)
	v_add_f64 v[10:11], v[10:11], v[14:15]
	;; [unrolled: 2-line block ×3, first 2 shown]
	v_xor_b32_e32 v8, 2, v18
	s_delay_alu instid0(VALU_DEP_1) | instskip(SKIP_1) | instid1(VALU_DEP_1)
	v_cmp_gt_i32_e32 vcc_lo, 32, v8
	v_cndmask_b32_e32 v8, v18, v8, vcc_lo
	v_lshlrev_b32_e32 v17, 2, v8
	ds_bpermute_b32 v8, v17, v6
	ds_bpermute_b32 v9, v17, v7
	;; [unrolled: 1-line block ×6, first 2 shown]
	s_waitcnt lgkmcnt(4)
	v_add_f64 v[8:9], v[6:7], v[8:9]
	s_waitcnt lgkmcnt(2)
	v_add_f64 v[6:7], v[10:11], v[14:15]
	v_xor_b32_e32 v10, 1, v18
	s_waitcnt lgkmcnt(0)
	v_add_f64 v[12:13], v[12:13], v[16:17]
	s_delay_alu instid0(VALU_DEP_2) | instskip(SKIP_2) | instid1(VALU_DEP_2)
	v_cmp_gt_i32_e32 vcc_lo, 32, v10
	v_cndmask_b32_e32 v10, v18, v10, vcc_lo
	v_cmp_eq_u32_e32 vcc_lo, 31, v0
	v_lshlrev_b32_e32 v15, 2, v10
	ds_bpermute_b32 v10, v15, v8
	ds_bpermute_b32 v11, v15, v9
	ds_bpermute_b32 v16, v15, v6
	ds_bpermute_b32 v17, v15, v7
	ds_bpermute_b32 v14, v15, v12
	ds_bpermute_b32 v15, v15, v13
	s_and_b32 exec_lo, exec_lo, vcc_lo
	s_cbranch_execz .LBB50_23
; %bb.19:
	s_waitcnt lgkmcnt(4)
	v_add_f64 v[10:11], v[8:9], v[10:11]
	s_waitcnt lgkmcnt(2)
	v_add_f64 v[8:9], v[6:7], v[16:17]
	;; [unrolled: 2-line block ×3, first 2 shown]
	s_load_b64 s[0:1], s[0:1], 0x38
	s_mov_b32 s2, exec_lo
	v_cmpx_eq_f64_e32 0, v[3:4]
	s_xor_b32 s2, exec_lo, s2
	s_cbranch_execz .LBB50_21
; %bb.20:
	s_delay_alu instid0(VALU_DEP_4) | instskip(NEXT) | instid1(VALU_DEP_4)
	v_mul_f64 v[10:11], v[1:2], v[10:11]
	v_mul_f64 v[12:13], v[1:2], v[8:9]
	s_delay_alu instid0(VALU_DEP_4) | instskip(SKIP_1) | instid1(VALU_DEP_1)
	v_mul_f64 v[0:1], v[1:2], v[6:7]
	v_lshl_add_u32 v2, v5, 1, v5
                                        ; implicit-def: $vgpr5
                                        ; implicit-def: $vgpr8_vgpr9
                                        ; implicit-def: $vgpr6_vgpr7
	v_ashrrev_i32_e32 v3, 31, v2
	s_delay_alu instid0(VALU_DEP_1) | instskip(SKIP_1) | instid1(VALU_DEP_1)
	v_lshlrev_b64 v[2:3], 3, v[2:3]
	s_waitcnt lgkmcnt(0)
	v_add_co_u32 v2, vcc_lo, s0, v2
	s_delay_alu instid0(VALU_DEP_2)
	v_add_co_ci_u32_e32 v3, vcc_lo, s1, v3, vcc_lo
	s_clause 0x1
	global_store_b128 v[2:3], v[10:13], off
	global_store_b64 v[2:3], v[0:1], off offset:16
                                        ; implicit-def: $vgpr1_vgpr2
                                        ; implicit-def: $vgpr10_vgpr11
                                        ; implicit-def: $vgpr3_vgpr4
.LBB50_21:
	s_and_not1_saveexec_b32 s2, s2
	s_cbranch_execz .LBB50_23
; %bb.22:
	v_lshl_add_u32 v12, v5, 1, v5
	v_mul_f64 v[10:11], v[1:2], v[10:11]
	v_mul_f64 v[8:9], v[1:2], v[8:9]
	;; [unrolled: 1-line block ×3, first 2 shown]
	s_delay_alu instid0(VALU_DEP_4) | instskip(NEXT) | instid1(VALU_DEP_1)
	v_ashrrev_i32_e32 v13, 31, v12
	v_lshlrev_b64 v[12:13], 3, v[12:13]
	s_waitcnt lgkmcnt(0)
	s_delay_alu instid0(VALU_DEP_1) | instskip(NEXT) | instid1(VALU_DEP_2)
	v_add_co_u32 v16, vcc_lo, s0, v12
	v_add_co_ci_u32_e32 v17, vcc_lo, s1, v13, vcc_lo
	s_clause 0x1
	global_load_b128 v[12:15], v[16:17], off
	global_load_b64 v[18:19], v[16:17], off offset:16
	s_waitcnt vmcnt(1)
	v_fma_f64 v[5:6], v[3:4], v[12:13], v[10:11]
	v_fma_f64 v[7:8], v[3:4], v[14:15], v[8:9]
	s_waitcnt vmcnt(0)
	v_fma_f64 v[0:1], v[3:4], v[18:19], v[0:1]
	s_clause 0x1
	global_store_b128 v[16:17], v[5:8], off
	global_store_b64 v[16:17], v[0:1], off offset:16
.LBB50_23:
	s_nop 0
	s_sendmsg sendmsg(MSG_DEALLOC_VGPRS)
	s_endpgm
	.section	.rodata,"a",@progbits
	.p2align	6, 0x0
	.amdhsa_kernel _ZN9rocsparseL19gebsrmvn_3xn_kernelILj128ELj4ELj32EdEEvi20rocsparse_direction_NS_24const_host_device_scalarIT2_EEPKiS6_PKS3_S8_S4_PS3_21rocsparse_index_base_b
		.amdhsa_group_segment_fixed_size 0
		.amdhsa_private_segment_fixed_size 0
		.amdhsa_kernarg_size 72
		.amdhsa_user_sgpr_count 15
		.amdhsa_user_sgpr_dispatch_ptr 0
		.amdhsa_user_sgpr_queue_ptr 0
		.amdhsa_user_sgpr_kernarg_segment_ptr 1
		.amdhsa_user_sgpr_dispatch_id 0
		.amdhsa_user_sgpr_private_segment_size 0
		.amdhsa_wavefront_size32 1
		.amdhsa_uses_dynamic_stack 0
		.amdhsa_enable_private_segment 0
		.amdhsa_system_sgpr_workgroup_id_x 1
		.amdhsa_system_sgpr_workgroup_id_y 0
		.amdhsa_system_sgpr_workgroup_id_z 0
		.amdhsa_system_sgpr_workgroup_info 0
		.amdhsa_system_vgpr_workitem_id 0
		.amdhsa_next_free_vgpr 51
		.amdhsa_next_free_sgpr 16
		.amdhsa_reserve_vcc 1
		.amdhsa_float_round_mode_32 0
		.amdhsa_float_round_mode_16_64 0
		.amdhsa_float_denorm_mode_32 3
		.amdhsa_float_denorm_mode_16_64 3
		.amdhsa_dx10_clamp 1
		.amdhsa_ieee_mode 1
		.amdhsa_fp16_overflow 0
		.amdhsa_workgroup_processor_mode 1
		.amdhsa_memory_ordered 1
		.amdhsa_forward_progress 0
		.amdhsa_shared_vgpr_count 0
		.amdhsa_exception_fp_ieee_invalid_op 0
		.amdhsa_exception_fp_denorm_src 0
		.amdhsa_exception_fp_ieee_div_zero 0
		.amdhsa_exception_fp_ieee_overflow 0
		.amdhsa_exception_fp_ieee_underflow 0
		.amdhsa_exception_fp_ieee_inexact 0
		.amdhsa_exception_int_div_zero 0
	.end_amdhsa_kernel
	.section	.text._ZN9rocsparseL19gebsrmvn_3xn_kernelILj128ELj4ELj32EdEEvi20rocsparse_direction_NS_24const_host_device_scalarIT2_EEPKiS6_PKS3_S8_S4_PS3_21rocsparse_index_base_b,"axG",@progbits,_ZN9rocsparseL19gebsrmvn_3xn_kernelILj128ELj4ELj32EdEEvi20rocsparse_direction_NS_24const_host_device_scalarIT2_EEPKiS6_PKS3_S8_S4_PS3_21rocsparse_index_base_b,comdat
.Lfunc_end50:
	.size	_ZN9rocsparseL19gebsrmvn_3xn_kernelILj128ELj4ELj32EdEEvi20rocsparse_direction_NS_24const_host_device_scalarIT2_EEPKiS6_PKS3_S8_S4_PS3_21rocsparse_index_base_b, .Lfunc_end50-_ZN9rocsparseL19gebsrmvn_3xn_kernelILj128ELj4ELj32EdEEvi20rocsparse_direction_NS_24const_host_device_scalarIT2_EEPKiS6_PKS3_S8_S4_PS3_21rocsparse_index_base_b
                                        ; -- End function
	.section	.AMDGPU.csdata,"",@progbits
; Kernel info:
; codeLenInByte = 2536
; NumSgprs: 18
; NumVgprs: 51
; ScratchSize: 0
; MemoryBound: 0
; FloatMode: 240
; IeeeMode: 1
; LDSByteSize: 0 bytes/workgroup (compile time only)
; SGPRBlocks: 2
; VGPRBlocks: 6
; NumSGPRsForWavesPerEU: 18
; NumVGPRsForWavesPerEU: 51
; Occupancy: 16
; WaveLimiterHint : 1
; COMPUTE_PGM_RSRC2:SCRATCH_EN: 0
; COMPUTE_PGM_RSRC2:USER_SGPR: 15
; COMPUTE_PGM_RSRC2:TRAP_HANDLER: 0
; COMPUTE_PGM_RSRC2:TGID_X_EN: 1
; COMPUTE_PGM_RSRC2:TGID_Y_EN: 0
; COMPUTE_PGM_RSRC2:TGID_Z_EN: 0
; COMPUTE_PGM_RSRC2:TIDIG_COMP_CNT: 0
	.section	.text._ZN9rocsparseL19gebsrmvn_3xn_kernelILj128ELj4ELj64EdEEvi20rocsparse_direction_NS_24const_host_device_scalarIT2_EEPKiS6_PKS3_S8_S4_PS3_21rocsparse_index_base_b,"axG",@progbits,_ZN9rocsparseL19gebsrmvn_3xn_kernelILj128ELj4ELj64EdEEvi20rocsparse_direction_NS_24const_host_device_scalarIT2_EEPKiS6_PKS3_S8_S4_PS3_21rocsparse_index_base_b,comdat
	.globl	_ZN9rocsparseL19gebsrmvn_3xn_kernelILj128ELj4ELj64EdEEvi20rocsparse_direction_NS_24const_host_device_scalarIT2_EEPKiS6_PKS3_S8_S4_PS3_21rocsparse_index_base_b ; -- Begin function _ZN9rocsparseL19gebsrmvn_3xn_kernelILj128ELj4ELj64EdEEvi20rocsparse_direction_NS_24const_host_device_scalarIT2_EEPKiS6_PKS3_S8_S4_PS3_21rocsparse_index_base_b
	.p2align	8
	.type	_ZN9rocsparseL19gebsrmvn_3xn_kernelILj128ELj4ELj64EdEEvi20rocsparse_direction_NS_24const_host_device_scalarIT2_EEPKiS6_PKS3_S8_S4_PS3_21rocsparse_index_base_b,@function
_ZN9rocsparseL19gebsrmvn_3xn_kernelILj128ELj4ELj64EdEEvi20rocsparse_direction_NS_24const_host_device_scalarIT2_EEPKiS6_PKS3_S8_S4_PS3_21rocsparse_index_base_b: ; @_ZN9rocsparseL19gebsrmvn_3xn_kernelILj128ELj4ELj64EdEEvi20rocsparse_direction_NS_24const_host_device_scalarIT2_EEPKiS6_PKS3_S8_S4_PS3_21rocsparse_index_base_b
; %bb.0:
	s_clause 0x2
	s_load_b64 s[12:13], s[0:1], 0x40
	s_load_b64 s[4:5], s[0:1], 0x8
	;; [unrolled: 1-line block ×3, first 2 shown]
	s_waitcnt lgkmcnt(0)
	s_bitcmp1_b32 s13, 0
	v_dual_mov_b32 v1, s4 :: v_dual_mov_b32 v2, s5
	s_cselect_b32 s6, -1, 0
	s_delay_alu instid0(SALU_CYCLE_1)
	s_and_b32 vcc_lo, exec_lo, s6
	s_xor_b32 s6, s6, -1
	s_cbranch_vccnz .LBB51_2
; %bb.1:
	v_dual_mov_b32 v1, s4 :: v_dual_mov_b32 v2, s5
	flat_load_b64 v[1:2], v[1:2]
.LBB51_2:
	v_dual_mov_b32 v4, s3 :: v_dual_mov_b32 v3, s2
	s_and_not1_b32 vcc_lo, exec_lo, s6
	s_cbranch_vccnz .LBB51_4
; %bb.3:
	v_dual_mov_b32 v4, s3 :: v_dual_mov_b32 v3, s2
	flat_load_b64 v[3:4], v[3:4]
.LBB51_4:
	s_waitcnt vmcnt(0) lgkmcnt(0)
	v_cmp_neq_f64_e32 vcc_lo, 0, v[1:2]
	v_cmp_neq_f64_e64 s2, 1.0, v[3:4]
	s_delay_alu instid0(VALU_DEP_1) | instskip(NEXT) | instid1(SALU_CYCLE_1)
	s_or_b32 s2, vcc_lo, s2
	s_and_saveexec_b32 s3, s2
	s_cbranch_execz .LBB51_23
; %bb.5:
	s_load_b64 s[2:3], s[0:1], 0x0
	v_lshrrev_b32_e32 v5, 6, v0
	s_delay_alu instid0(VALU_DEP_1) | instskip(SKIP_1) | instid1(VALU_DEP_1)
	v_lshl_or_b32 v5, s15, 1, v5
	s_waitcnt lgkmcnt(0)
	v_cmp_gt_i32_e32 vcc_lo, s2, v5
	s_and_b32 exec_lo, exec_lo, vcc_lo
	s_cbranch_execz .LBB51_23
; %bb.6:
	s_load_b256 s[4:11], s[0:1], 0x10
	v_ashrrev_i32_e32 v6, 31, v5
	v_and_b32_e32 v0, 63, v0
	s_cmp_lg_u32 s3, 0
	s_delay_alu instid0(VALU_DEP_2) | instskip(SKIP_1) | instid1(VALU_DEP_1)
	v_lshlrev_b64 v[6:7], 2, v[5:6]
	s_waitcnt lgkmcnt(0)
	v_add_co_u32 v6, vcc_lo, s4, v6
	s_delay_alu instid0(VALU_DEP_2) | instskip(SKIP_4) | instid1(VALU_DEP_2)
	v_add_co_ci_u32_e32 v7, vcc_lo, s5, v7, vcc_lo
	global_load_b64 v[6:7], v[6:7], off
	s_waitcnt vmcnt(0)
	v_subrev_nc_u32_e32 v6, s12, v6
	v_subrev_nc_u32_e32 v18, s12, v7
	v_add_nc_u32_e32 v12, v6, v0
	s_delay_alu instid0(VALU_DEP_1)
	v_cmp_lt_i32_e64 s2, v12, v18
	s_cbranch_scc0 .LBB51_12
; %bb.7:
	v_mov_b32_e32 v6, 0
	v_mov_b32_e32 v7, 0
	s_delay_alu instid0(VALU_DEP_1)
	v_dual_mov_b32 v9, v7 :: v_dual_mov_b32 v8, v6
	v_dual_mov_b32 v11, v7 :: v_dual_mov_b32 v10, v6
	s_and_saveexec_b32 s3, s2
	s_cbranch_execz .LBB51_11
; %bb.8:
	v_dual_mov_b32 v6, 0 :: v_dual_mov_b32 v15, 0
	v_dual_mov_b32 v7, 0 :: v_dual_mov_b32 v16, v12
	v_mad_u64_u32 v[13:14], null, v12, 12, 11
	s_mov_b32 s4, 0
	s_delay_alu instid0(VALU_DEP_2)
	v_dual_mov_b32 v9, v7 :: v_dual_mov_b32 v8, v6
	v_dual_mov_b32 v11, v7 :: v_dual_mov_b32 v10, v6
.LBB51_9:                               ; =>This Inner Loop Header: Depth=1
	v_ashrrev_i32_e32 v17, 31, v16
	s_delay_alu instid0(VALU_DEP_4) | instskip(NEXT) | instid1(VALU_DEP_2)
	v_add_nc_u32_e32 v14, -11, v13
	v_lshlrev_b64 v[19:20], 2, v[16:17]
	s_delay_alu instid0(VALU_DEP_2) | instskip(SKIP_1) | instid1(VALU_DEP_3)
	v_lshlrev_b64 v[21:22], 3, v[14:15]
	v_add_nc_u32_e32 v16, 64, v16
	v_add_co_u32 v19, vcc_lo, s6, v19
	s_delay_alu instid0(VALU_DEP_4) | instskip(NEXT) | instid1(VALU_DEP_4)
	v_add_co_ci_u32_e32 v20, vcc_lo, s7, v20, vcc_lo
	v_add_co_u32 v23, vcc_lo, s8, v21
	v_add_co_ci_u32_e32 v24, vcc_lo, s9, v22, vcc_lo
	global_load_b32 v17, v[19:20], off
	s_waitcnt vmcnt(0)
	v_subrev_nc_u32_e32 v14, s12, v17
	s_delay_alu instid0(VALU_DEP_1) | instskip(SKIP_1) | instid1(VALU_DEP_2)
	v_dual_mov_b32 v20, v15 :: v_dual_lshlrev_b32 v19, 2, v14
	v_add_nc_u32_e32 v14, -7, v13
	v_lshlrev_b64 v[19:20], 3, v[19:20]
	s_delay_alu instid0(VALU_DEP_2) | instskip(SKIP_1) | instid1(VALU_DEP_3)
	v_lshlrev_b64 v[35:36], 3, v[14:15]
	v_add_nc_u32_e32 v14, -6, v13
	v_add_co_u32 v31, vcc_lo, s10, v19
	s_delay_alu instid0(VALU_DEP_4)
	v_add_co_ci_u32_e32 v32, vcc_lo, s11, v20, vcc_lo
	s_clause 0x1
	global_load_b128 v[19:22], v[23:24], off offset:16
	global_load_b128 v[23:26], v[23:24], off
	s_clause 0x1
	global_load_b128 v[27:30], v[31:32], off
	global_load_b128 v[31:34], v[31:32], off offset:16
	v_lshlrev_b64 v[37:38], 3, v[14:15]
	v_add_co_u32 v35, vcc_lo, s8, v35
	v_add_co_ci_u32_e32 v36, vcc_lo, s9, v36, vcc_lo
	v_add_nc_u32_e32 v14, -5, v13
	s_delay_alu instid0(VALU_DEP_4)
	v_add_co_u32 v37, vcc_lo, s8, v37
	v_add_co_ci_u32_e32 v38, vcc_lo, s9, v38, vcc_lo
	s_clause 0x1
	global_load_b64 v[35:36], v[35:36], off
	global_load_b64 v[37:38], v[37:38], off
	v_lshlrev_b64 v[39:40], 3, v[14:15]
	v_add_nc_u32_e32 v14, -4, v13
	s_delay_alu instid0(VALU_DEP_1) | instskip(SKIP_1) | instid1(VALU_DEP_4)
	v_lshlrev_b64 v[41:42], 3, v[14:15]
	v_add_nc_u32_e32 v14, -3, v13
	v_add_co_u32 v39, vcc_lo, s8, v39
	v_add_co_ci_u32_e32 v40, vcc_lo, s9, v40, vcc_lo
	s_delay_alu instid0(VALU_DEP_3) | instskip(SKIP_3) | instid1(VALU_DEP_4)
	v_lshlrev_b64 v[43:44], 3, v[14:15]
	v_add_co_u32 v41, vcc_lo, s8, v41
	v_add_co_ci_u32_e32 v42, vcc_lo, s9, v42, vcc_lo
	v_mov_b32_e32 v14, v15
	v_add_co_u32 v43, vcc_lo, s8, v43
	v_add_co_ci_u32_e32 v44, vcc_lo, s9, v44, vcc_lo
	s_clause 0x2
	global_load_b64 v[39:40], v[39:40], off
	global_load_b64 v[41:42], v[41:42], off
	;; [unrolled: 1-line block ×3, first 2 shown]
	v_lshlrev_b64 v[45:46], 3, v[13:14]
	v_add_nc_u32_e32 v14, -2, v13
	s_delay_alu instid0(VALU_DEP_1) | instskip(SKIP_4) | instid1(VALU_DEP_4)
	v_lshlrev_b64 v[47:48], 3, v[14:15]
	v_add_nc_u32_e32 v14, -1, v13
	v_add_nc_u32_e32 v13, 0x300, v13
	v_add_co_u32 v45, vcc_lo, s8, v45
	v_add_co_ci_u32_e32 v46, vcc_lo, s9, v46, vcc_lo
	v_lshlrev_b64 v[49:50], 3, v[14:15]
	v_add_co_u32 v47, vcc_lo, s8, v47
	v_add_co_ci_u32_e32 v48, vcc_lo, s9, v48, vcc_lo
	s_delay_alu instid0(VALU_DEP_3) | instskip(NEXT) | instid1(VALU_DEP_4)
	v_add_co_u32 v49, vcc_lo, s8, v49
	v_add_co_ci_u32_e32 v50, vcc_lo, s9, v50, vcc_lo
	s_clause 0x2
	global_load_b64 v[47:48], v[47:48], off
	global_load_b64 v[49:50], v[49:50], off
	;; [unrolled: 1-line block ×3, first 2 shown]
	v_cmp_ge_i32_e32 vcc_lo, v16, v18
	s_or_b32 s4, vcc_lo, s4
	s_waitcnt vmcnt(9)
	v_fma_f64 v[6:7], v[23:24], v[27:28], v[6:7]
	v_fma_f64 v[10:11], v[25:26], v[27:28], v[10:11]
	v_fma_f64 v[8:9], v[19:20], v[27:28], v[8:9]
	s_delay_alu instid0(VALU_DEP_3) | instskip(SKIP_1) | instid1(VALU_DEP_3)
	v_fma_f64 v[6:7], v[21:22], v[29:30], v[6:7]
	s_waitcnt vmcnt(7)
	v_fma_f64 v[10:11], v[35:36], v[29:30], v[10:11]
	s_waitcnt vmcnt(6)
	s_delay_alu instid0(VALU_DEP_3) | instskip(SKIP_1) | instid1(VALU_DEP_3)
	v_fma_f64 v[8:9], v[37:38], v[29:30], v[8:9]
	s_waitcnt vmcnt(5)
	v_fma_f64 v[6:7], v[39:40], v[31:32], v[6:7]
	s_waitcnt vmcnt(4)
	s_delay_alu instid0(VALU_DEP_3) | instskip(SKIP_1) | instid1(VALU_DEP_3)
	v_fma_f64 v[10:11], v[41:42], v[31:32], v[10:11]
	s_waitcnt vmcnt(3)
	v_fma_f64 v[8:9], v[43:44], v[31:32], v[8:9]
	s_waitcnt vmcnt(2)
	s_delay_alu instid0(VALU_DEP_3) | instskip(SKIP_1) | instid1(VALU_DEP_3)
	v_fma_f64 v[6:7], v[47:48], v[33:34], v[6:7]
	s_waitcnt vmcnt(1)
	v_fma_f64 v[10:11], v[49:50], v[33:34], v[10:11]
	s_waitcnt vmcnt(0)
	s_delay_alu instid0(VALU_DEP_3)
	v_fma_f64 v[8:9], v[45:46], v[33:34], v[8:9]
	s_and_not1_b32 exec_lo, exec_lo, s4
	s_cbranch_execnz .LBB51_9
; %bb.10:
	s_or_b32 exec_lo, exec_lo, s4
.LBB51_11:
	s_delay_alu instid0(SALU_CYCLE_1)
	s_or_b32 exec_lo, exec_lo, s3
	s_cbranch_execz .LBB51_13
	s_branch .LBB51_18
.LBB51_12:
                                        ; implicit-def: $vgpr6_vgpr7
                                        ; implicit-def: $vgpr8_vgpr9
                                        ; implicit-def: $vgpr10_vgpr11
.LBB51_13:
	v_mov_b32_e32 v6, 0
	v_mov_b32_e32 v7, 0
	s_delay_alu instid0(VALU_DEP_1)
	v_dual_mov_b32 v9, v7 :: v_dual_mov_b32 v8, v6
	v_dual_mov_b32 v11, v7 :: v_dual_mov_b32 v10, v6
	s_and_saveexec_b32 s3, s2
	s_cbranch_execz .LBB51_17
; %bb.14:
	v_mov_b32_e32 v6, 0
	v_dual_mov_b32 v7, 0 :: v_dual_mov_b32 v16, 0
	v_mad_u64_u32 v[14:15], null, v12, 12, 11
	s_mov_b32 s2, 0
	s_delay_alu instid0(VALU_DEP_2)
	v_dual_mov_b32 v9, v7 :: v_dual_mov_b32 v8, v6
	v_dual_mov_b32 v11, v7 :: v_dual_mov_b32 v10, v6
.LBB51_15:                              ; =>This Inner Loop Header: Depth=1
	v_ashrrev_i32_e32 v13, 31, v12
	s_delay_alu instid0(VALU_DEP_4) | instskip(SKIP_1) | instid1(VALU_DEP_3)
	v_dual_mov_b32 v28, v16 :: v_dual_add_nc_u32 v15, -11, v14
	v_dual_mov_b32 v22, v16 :: v_dual_add_nc_u32 v21, -3, v14
	v_lshlrev_b64 v[19:20], 2, v[12:13]
	s_delay_alu instid0(VALU_DEP_3)
	v_lshlrev_b64 v[23:24], 3, v[15:16]
	v_add_nc_u32_e32 v15, -6, v14
	v_add_nc_u32_e32 v12, 64, v12
	v_lshlrev_b64 v[21:22], 3, v[21:22]
	v_add_co_u32 v19, vcc_lo, s6, v19
	v_add_co_ci_u32_e32 v20, vcc_lo, s7, v20, vcc_lo
	v_add_co_u32 v23, vcc_lo, s8, v23
	v_add_co_ci_u32_e32 v24, vcc_lo, s9, v24, vcc_lo
	global_load_b32 v13, v[19:20], off
	v_dual_mov_b32 v20, v16 :: v_dual_add_nc_u32 v19, -7, v14
	v_lshlrev_b64 v[39:40], 3, v[15:16]
	v_add_nc_u32_e32 v15, -2, v14
	s_delay_alu instid0(VALU_DEP_3) | instskip(NEXT) | instid1(VALU_DEP_2)
	v_lshlrev_b64 v[19:20], 3, v[19:20]
	v_lshlrev_b64 v[41:42], 3, v[15:16]
	v_add_nc_u32_e32 v15, -5, v14
	s_delay_alu instid0(VALU_DEP_3) | instskip(NEXT) | instid1(VALU_DEP_4)
	v_add_co_u32 v29, vcc_lo, s8, v19
	v_add_co_ci_u32_e32 v30, vcc_lo, s9, v20, vcc_lo
	v_add_co_u32 v31, vcc_lo, s8, v21
	v_add_co_ci_u32_e32 v32, vcc_lo, s9, v22, vcc_lo
	s_clause 0x1
	global_load_b128 v[19:22], v[23:24], off offset:16
	global_load_b128 v[23:26], v[23:24], off
	v_lshlrev_b64 v[43:44], 3, v[15:16]
	v_add_nc_u32_e32 v15, -1, v14
	s_delay_alu instid0(VALU_DEP_1) | instskip(SKIP_1) | instid1(VALU_DEP_1)
	v_lshlrev_b64 v[45:46], 3, v[15:16]
	v_mov_b32_e32 v15, v16
	v_lshlrev_b64 v[47:48], 3, v[14:15]
	v_add_nc_u32_e32 v15, -4, v14
	v_add_nc_u32_e32 v14, 0x300, v14
	s_delay_alu instid0(VALU_DEP_2) | instskip(SKIP_2) | instid1(VALU_DEP_1)
	v_lshlrev_b64 v[49:50], 3, v[15:16]
	s_waitcnt vmcnt(2)
	v_subrev_nc_u32_e32 v13, s12, v13
	v_lshlrev_b32_e32 v27, 2, v13
	s_delay_alu instid0(VALU_DEP_1) | instskip(NEXT) | instid1(VALU_DEP_1)
	v_lshlrev_b64 v[27:28], 3, v[27:28]
	v_add_co_u32 v33, vcc_lo, s10, v27
	s_delay_alu instid0(VALU_DEP_2)
	v_add_co_ci_u32_e32 v34, vcc_lo, s11, v28, vcc_lo
	s_clause 0x1
	global_load_b64 v[35:36], v[29:30], off
	global_load_b64 v[37:38], v[31:32], off
	s_clause 0x1
	global_load_b128 v[27:30], v[33:34], off
	global_load_b128 v[31:34], v[33:34], off offset:16
	v_add_co_u32 v39, vcc_lo, s8, v39
	v_add_co_ci_u32_e32 v40, vcc_lo, s9, v40, vcc_lo
	v_add_co_u32 v41, vcc_lo, s8, v41
	v_add_co_ci_u32_e32 v42, vcc_lo, s9, v42, vcc_lo
	s_clause 0x1
	global_load_b64 v[39:40], v[39:40], off
	global_load_b64 v[41:42], v[41:42], off
	v_add_co_u32 v43, vcc_lo, s8, v43
	v_add_co_ci_u32_e32 v44, vcc_lo, s9, v44, vcc_lo
	v_add_co_u32 v45, vcc_lo, s8, v45
	v_add_co_ci_u32_e32 v46, vcc_lo, s9, v46, vcc_lo
	s_clause 0x1
	global_load_b64 v[43:44], v[43:44], off
	global_load_b64 v[45:46], v[45:46], off
	;; [unrolled: 7-line block ×3, first 2 shown]
	v_cmp_ge_i32_e32 vcc_lo, v12, v18
	s_or_b32 s2, vcc_lo, s2
	s_waitcnt vmcnt(7)
	v_fma_f64 v[6:7], v[23:24], v[27:28], v[6:7]
	v_fma_f64 v[10:11], v[35:36], v[27:28], v[10:11]
	;; [unrolled: 1-line block ×3, first 2 shown]
	s_delay_alu instid0(VALU_DEP_3) | instskip(SKIP_1) | instid1(VALU_DEP_3)
	v_fma_f64 v[6:7], v[25:26], v[29:30], v[6:7]
	s_waitcnt vmcnt(5)
	v_fma_f64 v[10:11], v[39:40], v[29:30], v[10:11]
	s_waitcnt vmcnt(4)
	s_delay_alu instid0(VALU_DEP_3) | instskip(NEXT) | instid1(VALU_DEP_3)
	v_fma_f64 v[8:9], v[41:42], v[29:30], v[8:9]
	v_fma_f64 v[6:7], v[19:20], v[31:32], v[6:7]
	s_waitcnt vmcnt(3)
	s_delay_alu instid0(VALU_DEP_3) | instskip(SKIP_1) | instid1(VALU_DEP_3)
	v_fma_f64 v[10:11], v[43:44], v[31:32], v[10:11]
	s_waitcnt vmcnt(2)
	v_fma_f64 v[8:9], v[45:46], v[31:32], v[8:9]
	s_delay_alu instid0(VALU_DEP_3) | instskip(SKIP_1) | instid1(VALU_DEP_3)
	v_fma_f64 v[6:7], v[21:22], v[33:34], v[6:7]
	s_waitcnt vmcnt(1)
	v_fma_f64 v[10:11], v[49:50], v[33:34], v[10:11]
	s_waitcnt vmcnt(0)
	s_delay_alu instid0(VALU_DEP_3)
	v_fma_f64 v[8:9], v[47:48], v[33:34], v[8:9]
	s_and_not1_b32 exec_lo, exec_lo, s2
	s_cbranch_execnz .LBB51_15
; %bb.16:
	s_or_b32 exec_lo, exec_lo, s2
.LBB51_17:
	s_delay_alu instid0(SALU_CYCLE_1)
	s_or_b32 exec_lo, exec_lo, s3
.LBB51_18:
	v_mbcnt_lo_u32_b32 v18, -1, 0
	s_delay_alu instid0(VALU_DEP_1) | instskip(NEXT) | instid1(VALU_DEP_1)
	v_or_b32_e32 v12, 32, v18
	v_cmp_gt_i32_e32 vcc_lo, 32, v12
	v_cndmask_b32_e32 v12, v18, v12, vcc_lo
	s_delay_alu instid0(VALU_DEP_1)
	v_lshlrev_b32_e32 v17, 2, v12
	ds_bpermute_b32 v12, v17, v6
	ds_bpermute_b32 v13, v17, v7
	ds_bpermute_b32 v14, v17, v10
	ds_bpermute_b32 v15, v17, v11
	ds_bpermute_b32 v16, v17, v8
	ds_bpermute_b32 v17, v17, v9
	s_waitcnt lgkmcnt(4)
	v_add_f64 v[6:7], v[6:7], v[12:13]
	v_xor_b32_e32 v12, 16, v18
	s_waitcnt lgkmcnt(2)
	v_add_f64 v[10:11], v[10:11], v[14:15]
	s_waitcnt lgkmcnt(0)
	v_add_f64 v[8:9], v[8:9], v[16:17]
	v_cmp_gt_i32_e32 vcc_lo, 32, v12
	v_cndmask_b32_e32 v12, v18, v12, vcc_lo
	s_delay_alu instid0(VALU_DEP_1)
	v_lshlrev_b32_e32 v17, 2, v12
	ds_bpermute_b32 v12, v17, v6
	ds_bpermute_b32 v13, v17, v7
	ds_bpermute_b32 v14, v17, v10
	ds_bpermute_b32 v15, v17, v11
	ds_bpermute_b32 v16, v17, v8
	ds_bpermute_b32 v17, v17, v9
	s_waitcnt lgkmcnt(4)
	v_add_f64 v[6:7], v[6:7], v[12:13]
	v_xor_b32_e32 v12, 8, v18
	s_waitcnt lgkmcnt(2)
	v_add_f64 v[10:11], v[10:11], v[14:15]
	s_waitcnt lgkmcnt(0)
	v_add_f64 v[8:9], v[8:9], v[16:17]
	;; [unrolled: 17-line block ×3, first 2 shown]
	v_cmp_gt_i32_e32 vcc_lo, 32, v12
	v_cndmask_b32_e32 v12, v18, v12, vcc_lo
	s_delay_alu instid0(VALU_DEP_1)
	v_lshlrev_b32_e32 v17, 2, v12
	ds_bpermute_b32 v12, v17, v6
	ds_bpermute_b32 v13, v17, v7
	;; [unrolled: 1-line block ×6, first 2 shown]
	s_waitcnt lgkmcnt(4)
	v_add_f64 v[6:7], v[6:7], v[12:13]
	s_waitcnt lgkmcnt(2)
	v_add_f64 v[10:11], v[10:11], v[14:15]
	;; [unrolled: 2-line block ×3, first 2 shown]
	v_xor_b32_e32 v8, 2, v18
	s_delay_alu instid0(VALU_DEP_1) | instskip(SKIP_1) | instid1(VALU_DEP_1)
	v_cmp_gt_i32_e32 vcc_lo, 32, v8
	v_cndmask_b32_e32 v8, v18, v8, vcc_lo
	v_lshlrev_b32_e32 v17, 2, v8
	ds_bpermute_b32 v8, v17, v6
	ds_bpermute_b32 v9, v17, v7
	;; [unrolled: 1-line block ×6, first 2 shown]
	s_waitcnt lgkmcnt(4)
	v_add_f64 v[8:9], v[6:7], v[8:9]
	s_waitcnt lgkmcnt(2)
	v_add_f64 v[6:7], v[10:11], v[14:15]
	v_xor_b32_e32 v10, 1, v18
	s_waitcnt lgkmcnt(0)
	v_add_f64 v[12:13], v[12:13], v[16:17]
	s_delay_alu instid0(VALU_DEP_2) | instskip(SKIP_2) | instid1(VALU_DEP_2)
	v_cmp_gt_i32_e32 vcc_lo, 32, v10
	v_cndmask_b32_e32 v10, v18, v10, vcc_lo
	v_cmp_eq_u32_e32 vcc_lo, 63, v0
	v_lshlrev_b32_e32 v15, 2, v10
	ds_bpermute_b32 v10, v15, v8
	ds_bpermute_b32 v11, v15, v9
	;; [unrolled: 1-line block ×6, first 2 shown]
	s_and_b32 exec_lo, exec_lo, vcc_lo
	s_cbranch_execz .LBB51_23
; %bb.19:
	s_waitcnt lgkmcnt(4)
	v_add_f64 v[10:11], v[8:9], v[10:11]
	s_waitcnt lgkmcnt(2)
	v_add_f64 v[8:9], v[6:7], v[16:17]
	;; [unrolled: 2-line block ×3, first 2 shown]
	s_load_b64 s[0:1], s[0:1], 0x38
	s_mov_b32 s2, exec_lo
	v_cmpx_eq_f64_e32 0, v[3:4]
	s_xor_b32 s2, exec_lo, s2
	s_cbranch_execz .LBB51_21
; %bb.20:
	s_delay_alu instid0(VALU_DEP_4) | instskip(NEXT) | instid1(VALU_DEP_4)
	v_mul_f64 v[10:11], v[1:2], v[10:11]
	v_mul_f64 v[12:13], v[1:2], v[8:9]
	s_delay_alu instid0(VALU_DEP_4) | instskip(SKIP_1) | instid1(VALU_DEP_1)
	v_mul_f64 v[0:1], v[1:2], v[6:7]
	v_lshl_add_u32 v2, v5, 1, v5
                                        ; implicit-def: $vgpr5
                                        ; implicit-def: $vgpr8_vgpr9
                                        ; implicit-def: $vgpr6_vgpr7
	v_ashrrev_i32_e32 v3, 31, v2
	s_delay_alu instid0(VALU_DEP_1) | instskip(SKIP_1) | instid1(VALU_DEP_1)
	v_lshlrev_b64 v[2:3], 3, v[2:3]
	s_waitcnt lgkmcnt(0)
	v_add_co_u32 v2, vcc_lo, s0, v2
	s_delay_alu instid0(VALU_DEP_2)
	v_add_co_ci_u32_e32 v3, vcc_lo, s1, v3, vcc_lo
	s_clause 0x1
	global_store_b128 v[2:3], v[10:13], off
	global_store_b64 v[2:3], v[0:1], off offset:16
                                        ; implicit-def: $vgpr1_vgpr2
                                        ; implicit-def: $vgpr10_vgpr11
                                        ; implicit-def: $vgpr3_vgpr4
.LBB51_21:
	s_and_not1_saveexec_b32 s2, s2
	s_cbranch_execz .LBB51_23
; %bb.22:
	v_lshl_add_u32 v12, v5, 1, v5
	v_mul_f64 v[10:11], v[1:2], v[10:11]
	v_mul_f64 v[8:9], v[1:2], v[8:9]
	;; [unrolled: 1-line block ×3, first 2 shown]
	s_delay_alu instid0(VALU_DEP_4) | instskip(NEXT) | instid1(VALU_DEP_1)
	v_ashrrev_i32_e32 v13, 31, v12
	v_lshlrev_b64 v[12:13], 3, v[12:13]
	s_waitcnt lgkmcnt(0)
	s_delay_alu instid0(VALU_DEP_1) | instskip(NEXT) | instid1(VALU_DEP_2)
	v_add_co_u32 v16, vcc_lo, s0, v12
	v_add_co_ci_u32_e32 v17, vcc_lo, s1, v13, vcc_lo
	s_clause 0x1
	global_load_b128 v[12:15], v[16:17], off
	global_load_b64 v[18:19], v[16:17], off offset:16
	s_waitcnt vmcnt(1)
	v_fma_f64 v[5:6], v[3:4], v[12:13], v[10:11]
	v_fma_f64 v[7:8], v[3:4], v[14:15], v[8:9]
	s_waitcnt vmcnt(0)
	v_fma_f64 v[0:1], v[3:4], v[18:19], v[0:1]
	s_clause 0x1
	global_store_b128 v[16:17], v[5:8], off
	global_store_b64 v[16:17], v[0:1], off offset:16
.LBB51_23:
	s_nop 0
	s_sendmsg sendmsg(MSG_DEALLOC_VGPRS)
	s_endpgm
	.section	.rodata,"a",@progbits
	.p2align	6, 0x0
	.amdhsa_kernel _ZN9rocsparseL19gebsrmvn_3xn_kernelILj128ELj4ELj64EdEEvi20rocsparse_direction_NS_24const_host_device_scalarIT2_EEPKiS6_PKS3_S8_S4_PS3_21rocsparse_index_base_b
		.amdhsa_group_segment_fixed_size 0
		.amdhsa_private_segment_fixed_size 0
		.amdhsa_kernarg_size 72
		.amdhsa_user_sgpr_count 15
		.amdhsa_user_sgpr_dispatch_ptr 0
		.amdhsa_user_sgpr_queue_ptr 0
		.amdhsa_user_sgpr_kernarg_segment_ptr 1
		.amdhsa_user_sgpr_dispatch_id 0
		.amdhsa_user_sgpr_private_segment_size 0
		.amdhsa_wavefront_size32 1
		.amdhsa_uses_dynamic_stack 0
		.amdhsa_enable_private_segment 0
		.amdhsa_system_sgpr_workgroup_id_x 1
		.amdhsa_system_sgpr_workgroup_id_y 0
		.amdhsa_system_sgpr_workgroup_id_z 0
		.amdhsa_system_sgpr_workgroup_info 0
		.amdhsa_system_vgpr_workitem_id 0
		.amdhsa_next_free_vgpr 51
		.amdhsa_next_free_sgpr 16
		.amdhsa_reserve_vcc 1
		.amdhsa_float_round_mode_32 0
		.amdhsa_float_round_mode_16_64 0
		.amdhsa_float_denorm_mode_32 3
		.amdhsa_float_denorm_mode_16_64 3
		.amdhsa_dx10_clamp 1
		.amdhsa_ieee_mode 1
		.amdhsa_fp16_overflow 0
		.amdhsa_workgroup_processor_mode 1
		.amdhsa_memory_ordered 1
		.amdhsa_forward_progress 0
		.amdhsa_shared_vgpr_count 0
		.amdhsa_exception_fp_ieee_invalid_op 0
		.amdhsa_exception_fp_denorm_src 0
		.amdhsa_exception_fp_ieee_div_zero 0
		.amdhsa_exception_fp_ieee_overflow 0
		.amdhsa_exception_fp_ieee_underflow 0
		.amdhsa_exception_fp_ieee_inexact 0
		.amdhsa_exception_int_div_zero 0
	.end_amdhsa_kernel
	.section	.text._ZN9rocsparseL19gebsrmvn_3xn_kernelILj128ELj4ELj64EdEEvi20rocsparse_direction_NS_24const_host_device_scalarIT2_EEPKiS6_PKS3_S8_S4_PS3_21rocsparse_index_base_b,"axG",@progbits,_ZN9rocsparseL19gebsrmvn_3xn_kernelILj128ELj4ELj64EdEEvi20rocsparse_direction_NS_24const_host_device_scalarIT2_EEPKiS6_PKS3_S8_S4_PS3_21rocsparse_index_base_b,comdat
.Lfunc_end51:
	.size	_ZN9rocsparseL19gebsrmvn_3xn_kernelILj128ELj4ELj64EdEEvi20rocsparse_direction_NS_24const_host_device_scalarIT2_EEPKiS6_PKS3_S8_S4_PS3_21rocsparse_index_base_b, .Lfunc_end51-_ZN9rocsparseL19gebsrmvn_3xn_kernelILj128ELj4ELj64EdEEvi20rocsparse_direction_NS_24const_host_device_scalarIT2_EEPKiS6_PKS3_S8_S4_PS3_21rocsparse_index_base_b
                                        ; -- End function
	.section	.AMDGPU.csdata,"",@progbits
; Kernel info:
; codeLenInByte = 2640
; NumSgprs: 18
; NumVgprs: 51
; ScratchSize: 0
; MemoryBound: 0
; FloatMode: 240
; IeeeMode: 1
; LDSByteSize: 0 bytes/workgroup (compile time only)
; SGPRBlocks: 2
; VGPRBlocks: 6
; NumSGPRsForWavesPerEU: 18
; NumVGPRsForWavesPerEU: 51
; Occupancy: 16
; WaveLimiterHint : 1
; COMPUTE_PGM_RSRC2:SCRATCH_EN: 0
; COMPUTE_PGM_RSRC2:USER_SGPR: 15
; COMPUTE_PGM_RSRC2:TRAP_HANDLER: 0
; COMPUTE_PGM_RSRC2:TGID_X_EN: 1
; COMPUTE_PGM_RSRC2:TGID_Y_EN: 0
; COMPUTE_PGM_RSRC2:TGID_Z_EN: 0
; COMPUTE_PGM_RSRC2:TIDIG_COMP_CNT: 0
	.section	.text._ZN9rocsparseL19gebsrmvn_3xn_kernelILj128ELj5ELj4EdEEvi20rocsparse_direction_NS_24const_host_device_scalarIT2_EEPKiS6_PKS3_S8_S4_PS3_21rocsparse_index_base_b,"axG",@progbits,_ZN9rocsparseL19gebsrmvn_3xn_kernelILj128ELj5ELj4EdEEvi20rocsparse_direction_NS_24const_host_device_scalarIT2_EEPKiS6_PKS3_S8_S4_PS3_21rocsparse_index_base_b,comdat
	.globl	_ZN9rocsparseL19gebsrmvn_3xn_kernelILj128ELj5ELj4EdEEvi20rocsparse_direction_NS_24const_host_device_scalarIT2_EEPKiS6_PKS3_S8_S4_PS3_21rocsparse_index_base_b ; -- Begin function _ZN9rocsparseL19gebsrmvn_3xn_kernelILj128ELj5ELj4EdEEvi20rocsparse_direction_NS_24const_host_device_scalarIT2_EEPKiS6_PKS3_S8_S4_PS3_21rocsparse_index_base_b
	.p2align	8
	.type	_ZN9rocsparseL19gebsrmvn_3xn_kernelILj128ELj5ELj4EdEEvi20rocsparse_direction_NS_24const_host_device_scalarIT2_EEPKiS6_PKS3_S8_S4_PS3_21rocsparse_index_base_b,@function
_ZN9rocsparseL19gebsrmvn_3xn_kernelILj128ELj5ELj4EdEEvi20rocsparse_direction_NS_24const_host_device_scalarIT2_EEPKiS6_PKS3_S8_S4_PS3_21rocsparse_index_base_b: ; @_ZN9rocsparseL19gebsrmvn_3xn_kernelILj128ELj5ELj4EdEEvi20rocsparse_direction_NS_24const_host_device_scalarIT2_EEPKiS6_PKS3_S8_S4_PS3_21rocsparse_index_base_b
; %bb.0:
	s_clause 0x2
	s_load_b64 s[12:13], s[0:1], 0x40
	s_load_b64 s[4:5], s[0:1], 0x8
	;; [unrolled: 1-line block ×3, first 2 shown]
	s_waitcnt lgkmcnt(0)
	s_bitcmp1_b32 s13, 0
	v_dual_mov_b32 v1, s4 :: v_dual_mov_b32 v2, s5
	s_cselect_b32 s6, -1, 0
	s_delay_alu instid0(SALU_CYCLE_1)
	s_and_b32 vcc_lo, exec_lo, s6
	s_xor_b32 s6, s6, -1
	s_cbranch_vccnz .LBB52_2
; %bb.1:
	v_dual_mov_b32 v1, s4 :: v_dual_mov_b32 v2, s5
	flat_load_b64 v[1:2], v[1:2]
.LBB52_2:
	v_dual_mov_b32 v4, s3 :: v_dual_mov_b32 v3, s2
	s_and_not1_b32 vcc_lo, exec_lo, s6
	s_cbranch_vccnz .LBB52_4
; %bb.3:
	v_dual_mov_b32 v4, s3 :: v_dual_mov_b32 v3, s2
	flat_load_b64 v[3:4], v[3:4]
.LBB52_4:
	s_waitcnt vmcnt(0) lgkmcnt(0)
	v_cmp_neq_f64_e32 vcc_lo, 0, v[1:2]
	v_cmp_neq_f64_e64 s2, 1.0, v[3:4]
	s_delay_alu instid0(VALU_DEP_1) | instskip(NEXT) | instid1(SALU_CYCLE_1)
	s_or_b32 s2, vcc_lo, s2
	s_and_saveexec_b32 s3, s2
	s_cbranch_execz .LBB52_23
; %bb.5:
	s_load_b64 s[2:3], s[0:1], 0x0
	v_lshrrev_b32_e32 v5, 2, v0
	s_delay_alu instid0(VALU_DEP_1) | instskip(SKIP_1) | instid1(VALU_DEP_1)
	v_lshl_or_b32 v5, s15, 5, v5
	s_waitcnt lgkmcnt(0)
	v_cmp_gt_i32_e32 vcc_lo, s2, v5
	s_and_b32 exec_lo, exec_lo, vcc_lo
	s_cbranch_execz .LBB52_23
; %bb.6:
	s_load_b256 s[4:11], s[0:1], 0x10
	v_ashrrev_i32_e32 v6, 31, v5
	v_and_b32_e32 v0, 3, v0
	s_cmp_lg_u32 s3, 0
	s_delay_alu instid0(VALU_DEP_2) | instskip(SKIP_1) | instid1(VALU_DEP_1)
	v_lshlrev_b64 v[6:7], 2, v[5:6]
	s_waitcnt lgkmcnt(0)
	v_add_co_u32 v6, vcc_lo, s4, v6
	s_delay_alu instid0(VALU_DEP_2) | instskip(SKIP_4) | instid1(VALU_DEP_2)
	v_add_co_ci_u32_e32 v7, vcc_lo, s5, v7, vcc_lo
	global_load_b64 v[6:7], v[6:7], off
	s_waitcnt vmcnt(0)
	v_subrev_nc_u32_e32 v6, s12, v6
	v_subrev_nc_u32_e32 v20, s12, v7
	v_add_nc_u32_e32 v8, v6, v0
	s_delay_alu instid0(VALU_DEP_1)
	v_cmp_lt_i32_e64 s2, v8, v20
	s_cbranch_scc0 .LBB52_12
; %bb.7:
	v_mov_b32_e32 v6, 0
	v_mov_b32_e32 v7, 0
	s_delay_alu instid0(VALU_DEP_1)
	v_dual_mov_b32 v11, v7 :: v_dual_mov_b32 v10, v6
	v_dual_mov_b32 v13, v7 :: v_dual_mov_b32 v12, v6
	s_and_saveexec_b32 s3, s2
	s_cbranch_execz .LBB52_11
; %bb.8:
	v_dual_mov_b32 v6, 0 :: v_dual_mov_b32 v17, 0
	v_dual_mov_b32 v7, 0 :: v_dual_mov_b32 v18, v8
	v_mad_u64_u32 v[14:15], null, v8, 15, 14
	s_mov_b32 s4, 0
	s_delay_alu instid0(VALU_DEP_2)
	v_dual_mov_b32 v11, v7 :: v_dual_mov_b32 v10, v6
	v_dual_mov_b32 v13, v7 :: v_dual_mov_b32 v12, v6
.LBB52_9:                               ; =>This Inner Loop Header: Depth=1
	v_ashrrev_i32_e32 v19, 31, v18
	v_mov_b32_e32 v22, v17
	s_delay_alu instid0(VALU_DEP_2) | instskip(SKIP_1) | instid1(VALU_DEP_2)
	v_lshlrev_b64 v[15:16], 2, v[18:19]
	v_add_nc_u32_e32 v18, 4, v18
	v_add_co_u32 v15, vcc_lo, s6, v15
	s_delay_alu instid0(VALU_DEP_3) | instskip(SKIP_2) | instid1(VALU_DEP_1)
	v_add_co_ci_u32_e32 v16, vcc_lo, s7, v16, vcc_lo
	global_load_b32 v9, v[15:16], off
	v_dual_mov_b32 v15, v17 :: v_dual_add_nc_u32 v16, -14, v14
	v_lshlrev_b64 v[23:24], 3, v[16:17]
	v_add_nc_u32_e32 v16, -13, v14
	s_delay_alu instid0(VALU_DEP_1) | instskip(SKIP_1) | instid1(VALU_DEP_4)
	v_lshlrev_b64 v[25:26], 3, v[16:17]
	v_add_nc_u32_e32 v16, -12, v14
	v_add_co_u32 v23, vcc_lo, s8, v23
	v_add_co_ci_u32_e32 v24, vcc_lo, s9, v24, vcc_lo
	s_delay_alu instid0(VALU_DEP_3)
	v_lshlrev_b64 v[27:28], 3, v[16:17]
	v_add_co_u32 v25, vcc_lo, s8, v25
	v_add_co_ci_u32_e32 v26, vcc_lo, s9, v26, vcc_lo
	global_load_b64 v[23:24], v[23:24], off
	v_add_co_u32 v27, vcc_lo, s8, v27
	v_add_co_ci_u32_e32 v28, vcc_lo, s9, v28, vcc_lo
	v_add_nc_u32_e32 v16, -11, v14
	s_delay_alu instid0(VALU_DEP_1) | instskip(SKIP_2) | instid1(VALU_DEP_1)
	v_lshlrev_b64 v[31:32], 3, v[16:17]
	s_waitcnt vmcnt(1)
	v_subrev_nc_u32_e32 v9, s12, v9
	v_lshl_add_u32 v21, v9, 2, v9
	s_delay_alu instid0(VALU_DEP_1) | instskip(SKIP_1) | instid1(VALU_DEP_1)
	v_lshlrev_b64 v[29:30], 3, v[21:22]
	v_add_nc_u32_e32 v16, 1, v21
	v_lshlrev_b64 v[33:34], 3, v[16:17]
	s_delay_alu instid0(VALU_DEP_3) | instskip(NEXT) | instid1(VALU_DEP_4)
	v_add_co_u32 v29, vcc_lo, s10, v29
	v_add_co_ci_u32_e32 v30, vcc_lo, s11, v30, vcc_lo
	s_clause 0x1
	global_load_b64 v[25:26], v[25:26], off
	global_load_b64 v[27:28], v[27:28], off
	;; [unrolled: 1-line block ×3, first 2 shown]
	v_add_nc_u32_e32 v16, -10, v14
	v_add_co_u32 v31, vcc_lo, s8, v31
	v_add_co_ci_u32_e32 v32, vcc_lo, s9, v32, vcc_lo
	s_delay_alu instid0(VALU_DEP_3) | instskip(SKIP_3) | instid1(VALU_DEP_3)
	v_lshlrev_b64 v[35:36], 3, v[16:17]
	v_add_nc_u32_e32 v16, -9, v14
	v_add_co_u32 v33, vcc_lo, s10, v33
	v_add_co_ci_u32_e32 v34, vcc_lo, s11, v34, vcc_lo
	v_lshlrev_b64 v[37:38], 3, v[16:17]
	v_add_co_u32 v35, vcc_lo, s8, v35
	v_add_co_ci_u32_e32 v36, vcc_lo, s9, v36, vcc_lo
	global_load_b64 v[31:32], v[31:32], off
	v_add_co_u32 v37, vcc_lo, s8, v37
	v_add_co_ci_u32_e32 v38, vcc_lo, s9, v38, vcc_lo
	global_load_b64 v[33:34], v[33:34], off
	s_clause 0x1
	global_load_b64 v[35:36], v[35:36], off
	global_load_b64 v[37:38], v[37:38], off
	v_add_nc_u32_e32 v16, -8, v14
	s_delay_alu instid0(VALU_DEP_1) | instskip(SKIP_1) | instid1(VALU_DEP_1)
	v_lshlrev_b64 v[39:40], 3, v[16:17]
	v_add_nc_u32_e32 v16, 2, v21
	v_lshlrev_b64 v[41:42], 3, v[16:17]
	v_add_nc_u32_e32 v16, -7, v14
	s_delay_alu instid0(VALU_DEP_4) | instskip(SKIP_1) | instid1(VALU_DEP_3)
	v_add_co_u32 v39, vcc_lo, s8, v39
	v_add_co_ci_u32_e32 v40, vcc_lo, s9, v40, vcc_lo
	v_lshlrev_b64 v[43:44], 3, v[16:17]
	v_add_nc_u32_e32 v16, -6, v14
	v_add_co_u32 v41, vcc_lo, s10, v41
	v_add_co_ci_u32_e32 v42, vcc_lo, s11, v42, vcc_lo
	s_delay_alu instid0(VALU_DEP_3)
	v_lshlrev_b64 v[45:46], 3, v[16:17]
	v_add_co_u32 v43, vcc_lo, s8, v43
	v_add_co_ci_u32_e32 v44, vcc_lo, s9, v44, vcc_lo
	global_load_b64 v[39:40], v[39:40], off
	v_add_co_u32 v45, vcc_lo, s8, v45
	v_add_co_ci_u32_e32 v46, vcc_lo, s9, v46, vcc_lo
	global_load_b64 v[41:42], v[41:42], off
	s_clause 0x1
	global_load_b64 v[43:44], v[43:44], off
	global_load_b64 v[45:46], v[45:46], off
	v_add_nc_u32_e32 v16, -5, v14
	s_delay_alu instid0(VALU_DEP_1) | instskip(SKIP_1) | instid1(VALU_DEP_1)
	v_lshlrev_b64 v[47:48], 3, v[16:17]
	v_add_nc_u32_e32 v16, 3, v21
	v_lshlrev_b64 v[49:50], 3, v[16:17]
	v_add_nc_u32_e32 v16, -4, v14
	s_delay_alu instid0(VALU_DEP_4) | instskip(SKIP_1) | instid1(VALU_DEP_3)
	v_add_co_u32 v47, vcc_lo, s8, v47
	v_add_co_ci_u32_e32 v48, vcc_lo, s9, v48, vcc_lo
	v_lshlrev_b64 v[51:52], 3, v[16:17]
	v_add_nc_u32_e32 v16, -3, v14
	v_add_co_u32 v49, vcc_lo, s10, v49
	v_add_co_ci_u32_e32 v50, vcc_lo, s11, v50, vcc_lo
	s_delay_alu instid0(VALU_DEP_3)
	v_lshlrev_b64 v[53:54], 3, v[16:17]
	v_add_co_u32 v51, vcc_lo, s8, v51
	v_add_co_ci_u32_e32 v52, vcc_lo, s9, v52, vcc_lo
	global_load_b64 v[47:48], v[47:48], off
	v_add_co_u32 v53, vcc_lo, s8, v53
	v_add_co_ci_u32_e32 v54, vcc_lo, s9, v54, vcc_lo
	global_load_b64 v[49:50], v[49:50], off
	s_clause 0x1
	global_load_b64 v[51:52], v[51:52], off
	global_load_b64 v[53:54], v[53:54], off
	v_lshlrev_b64 v[15:16], 3, v[14:15]
	s_delay_alu instid0(VALU_DEP_1) | instskip(NEXT) | instid1(VALU_DEP_2)
	v_add_co_u32 v55, vcc_lo, s8, v15
	v_add_co_ci_u32_e32 v56, vcc_lo, s9, v16, vcc_lo
	v_add_nc_u32_e32 v16, -2, v14
	s_delay_alu instid0(VALU_DEP_1) | instskip(SKIP_1) | instid1(VALU_DEP_1)
	v_lshlrev_b64 v[57:58], 3, v[16:17]
	v_add_nc_u32_e32 v16, 4, v21
	v_lshlrev_b64 v[21:22], 3, v[16:17]
	v_add_nc_u32_e32 v16, -1, v14
	s_delay_alu instid0(VALU_DEP_4) | instskip(SKIP_1) | instid1(VALU_DEP_3)
	v_add_co_u32 v57, vcc_lo, s8, v57
	v_add_co_ci_u32_e32 v58, vcc_lo, s9, v58, vcc_lo
	v_lshlrev_b64 v[15:16], 3, v[16:17]
	v_add_co_u32 v21, vcc_lo, s10, v21
	v_add_co_ci_u32_e32 v22, vcc_lo, s11, v22, vcc_lo
	v_add_nc_u32_e32 v14, 60, v14
	s_delay_alu instid0(VALU_DEP_4)
	v_add_co_u32 v15, vcc_lo, s8, v15
	v_add_co_ci_u32_e32 v16, vcc_lo, s9, v16, vcc_lo
	global_load_b64 v[57:58], v[57:58], off
	global_load_b64 v[21:22], v[21:22], off
	s_clause 0x1
	global_load_b64 v[15:16], v[15:16], off
	global_load_b64 v[55:56], v[55:56], off
	v_cmp_ge_i32_e32 vcc_lo, v18, v20
	s_or_b32 s4, vcc_lo, s4
	s_waitcnt vmcnt(16)
	v_fma_f64 v[6:7], v[23:24], v[29:30], v[6:7]
	v_fma_f64 v[12:13], v[25:26], v[29:30], v[12:13]
	v_fma_f64 v[9:10], v[27:28], v[29:30], v[10:11]
	s_waitcnt vmcnt(14)
	s_delay_alu instid0(VALU_DEP_3) | instskip(SKIP_1) | instid1(VALU_DEP_3)
	v_fma_f64 v[6:7], v[31:32], v[33:34], v[6:7]
	s_waitcnt vmcnt(13)
	v_fma_f64 v[11:12], v[35:36], v[33:34], v[12:13]
	s_waitcnt vmcnt(12)
	s_delay_alu instid0(VALU_DEP_3) | instskip(SKIP_1) | instid1(VALU_DEP_3)
	v_fma_f64 v[9:10], v[37:38], v[33:34], v[9:10]
	s_waitcnt vmcnt(10)
	v_fma_f64 v[6:7], v[39:40], v[41:42], v[6:7]
	;; [unrolled: 5-line block ×6, first 2 shown]
	s_and_not1_b32 exec_lo, exec_lo, s4
	s_cbranch_execnz .LBB52_9
; %bb.10:
	s_or_b32 exec_lo, exec_lo, s4
.LBB52_11:
	s_delay_alu instid0(SALU_CYCLE_1)
	s_or_b32 exec_lo, exec_lo, s3
	s_cbranch_execz .LBB52_13
	s_branch .LBB52_18
.LBB52_12:
                                        ; implicit-def: $vgpr6_vgpr7
                                        ; implicit-def: $vgpr10_vgpr11
                                        ; implicit-def: $vgpr12_vgpr13
.LBB52_13:
	v_mov_b32_e32 v6, 0
	v_mov_b32_e32 v7, 0
	s_delay_alu instid0(VALU_DEP_1)
	v_dual_mov_b32 v11, v7 :: v_dual_mov_b32 v10, v6
	v_dual_mov_b32 v13, v7 :: v_dual_mov_b32 v12, v6
	s_and_saveexec_b32 s3, s2
	s_cbranch_execz .LBB52_17
; %bb.14:
	v_dual_mov_b32 v6, 0 :: v_dual_mov_b32 v17, 0
	v_mov_b32_e32 v7, 0
	v_mad_u64_u32 v[14:15], null, v8, 15, 14
	s_mov_b32 s2, 0
	s_delay_alu instid0(VALU_DEP_2)
	v_dual_mov_b32 v11, v7 :: v_dual_mov_b32 v10, v6
	v_dual_mov_b32 v13, v7 :: v_dual_mov_b32 v12, v6
.LBB52_15:                              ; =>This Inner Loop Header: Depth=1
	v_ashrrev_i32_e32 v9, 31, v8
	s_delay_alu instid0(VALU_DEP_4) | instskip(SKIP_1) | instid1(VALU_DEP_3)
	v_dual_mov_b32 v19, v17 :: v_dual_add_nc_u32 v18, -9, v14
	v_dual_mov_b32 v22, v17 :: v_dual_add_nc_u32 v21, -4, v14
	v_lshlrev_b64 v[15:16], 2, v[8:9]
	v_add_nc_u32_e32 v8, 4, v8
	s_delay_alu instid0(VALU_DEP_4)
	v_lshlrev_b64 v[18:19], 3, v[18:19]
	v_mov_b32_e32 v23, v17
	v_lshlrev_b64 v[21:22], 3, v[21:22]
	v_add_co_u32 v15, vcc_lo, s6, v15
	v_add_co_ci_u32_e32 v16, vcc_lo, s7, v16, vcc_lo
	global_load_b32 v9, v[15:16], off
	v_dual_mov_b32 v15, v17 :: v_dual_add_nc_u32 v16, -14, v14
	s_delay_alu instid0(VALU_DEP_1) | instskip(SKIP_1) | instid1(VALU_DEP_1)
	v_lshlrev_b64 v[24:25], 3, v[16:17]
	v_add_nc_u32_e32 v16, -13, v14
	v_lshlrev_b64 v[30:31], 3, v[16:17]
	s_delay_alu instid0(VALU_DEP_3) | instskip(NEXT) | instid1(VALU_DEP_4)
	v_add_co_u32 v24, vcc_lo, s8, v24
	v_add_co_ci_u32_e32 v25, vcc_lo, s9, v25, vcc_lo
	v_add_co_u32 v18, vcc_lo, s8, v18
	v_add_co_ci_u32_e32 v19, vcc_lo, s9, v19, vcc_lo
	;; [unrolled: 2-line block ×3, first 2 shown]
	global_load_b64 v[24:25], v[24:25], off
	s_waitcnt vmcnt(1)
	v_subrev_nc_u32_e32 v9, s12, v9
	s_delay_alu instid0(VALU_DEP_1) | instskip(NEXT) | instid1(VALU_DEP_1)
	v_lshl_add_u32 v22, v9, 2, v9
	v_lshlrev_b64 v[28:29], 3, v[22:23]
	v_add_nc_u32_e32 v16, 1, v22
	s_delay_alu instid0(VALU_DEP_1) | instskip(NEXT) | instid1(VALU_DEP_3)
	v_lshlrev_b64 v[32:33], 3, v[16:17]
	v_add_co_u32 v28, vcc_lo, s10, v28
	s_delay_alu instid0(VALU_DEP_4)
	v_add_co_ci_u32_e32 v29, vcc_lo, s11, v29, vcc_lo
	s_clause 0x1
	global_load_b64 v[18:19], v[18:19], off
	global_load_b64 v[26:27], v[26:27], off
	;; [unrolled: 1-line block ×3, first 2 shown]
	v_add_nc_u32_e32 v16, -8, v14
	v_add_co_u32 v30, vcc_lo, s8, v30
	v_add_co_ci_u32_e32 v31, vcc_lo, s9, v31, vcc_lo
	s_delay_alu instid0(VALU_DEP_3) | instskip(SKIP_3) | instid1(VALU_DEP_3)
	v_lshlrev_b64 v[34:35], 3, v[16:17]
	v_add_nc_u32_e32 v16, -3, v14
	v_add_co_u32 v32, vcc_lo, s10, v32
	v_add_co_ci_u32_e32 v33, vcc_lo, s11, v33, vcc_lo
	v_lshlrev_b64 v[36:37], 3, v[16:17]
	v_add_co_u32 v34, vcc_lo, s8, v34
	v_add_co_ci_u32_e32 v35, vcc_lo, s9, v35, vcc_lo
	global_load_b64 v[30:31], v[30:31], off
	v_add_co_u32 v36, vcc_lo, s8, v36
	v_add_co_ci_u32_e32 v37, vcc_lo, s9, v37, vcc_lo
	global_load_b64 v[32:33], v[32:33], off
	s_clause 0x1
	global_load_b64 v[34:35], v[34:35], off
	global_load_b64 v[36:37], v[36:37], off
	v_add_nc_u32_e32 v16, -12, v14
	s_delay_alu instid0(VALU_DEP_1) | instskip(SKIP_1) | instid1(VALU_DEP_1)
	v_lshlrev_b64 v[38:39], 3, v[16:17]
	v_add_nc_u32_e32 v16, 2, v22
	v_lshlrev_b64 v[40:41], 3, v[16:17]
	v_add_nc_u32_e32 v16, -7, v14
	s_delay_alu instid0(VALU_DEP_4) | instskip(SKIP_1) | instid1(VALU_DEP_3)
	v_add_co_u32 v38, vcc_lo, s8, v38
	v_add_co_ci_u32_e32 v39, vcc_lo, s9, v39, vcc_lo
	v_lshlrev_b64 v[42:43], 3, v[16:17]
	v_add_nc_u32_e32 v16, -2, v14
	v_add_co_u32 v40, vcc_lo, s10, v40
	v_add_co_ci_u32_e32 v41, vcc_lo, s11, v41, vcc_lo
	s_delay_alu instid0(VALU_DEP_3)
	v_lshlrev_b64 v[44:45], 3, v[16:17]
	v_add_co_u32 v42, vcc_lo, s8, v42
	v_add_co_ci_u32_e32 v43, vcc_lo, s9, v43, vcc_lo
	global_load_b64 v[38:39], v[38:39], off
	v_add_co_u32 v44, vcc_lo, s8, v44
	v_add_co_ci_u32_e32 v45, vcc_lo, s9, v45, vcc_lo
	global_load_b64 v[40:41], v[40:41], off
	s_clause 0x1
	global_load_b64 v[42:43], v[42:43], off
	global_load_b64 v[44:45], v[44:45], off
	v_add_nc_u32_e32 v16, -11, v14
	s_delay_alu instid0(VALU_DEP_1) | instskip(SKIP_1) | instid1(VALU_DEP_1)
	v_lshlrev_b64 v[46:47], 3, v[16:17]
	v_add_nc_u32_e32 v16, 3, v22
	v_lshlrev_b64 v[48:49], 3, v[16:17]
	v_add_nc_u32_e32 v16, -6, v14
	s_delay_alu instid0(VALU_DEP_4) | instskip(SKIP_1) | instid1(VALU_DEP_3)
	v_add_co_u32 v46, vcc_lo, s8, v46
	v_add_co_ci_u32_e32 v47, vcc_lo, s9, v47, vcc_lo
	v_lshlrev_b64 v[50:51], 3, v[16:17]
	v_add_nc_u32_e32 v16, -1, v14
	v_add_co_u32 v48, vcc_lo, s10, v48
	v_add_co_ci_u32_e32 v49, vcc_lo, s11, v49, vcc_lo
	s_delay_alu instid0(VALU_DEP_3)
	v_lshlrev_b64 v[52:53], 3, v[16:17]
	v_add_co_u32 v50, vcc_lo, s8, v50
	v_add_co_ci_u32_e32 v51, vcc_lo, s9, v51, vcc_lo
	global_load_b64 v[46:47], v[46:47], off
	v_add_co_u32 v52, vcc_lo, s8, v52
	v_add_co_ci_u32_e32 v53, vcc_lo, s9, v53, vcc_lo
	global_load_b64 v[48:49], v[48:49], off
	s_clause 0x1
	global_load_b64 v[50:51], v[50:51], off
	global_load_b64 v[52:53], v[52:53], off
	v_lshlrev_b64 v[15:16], 3, v[14:15]
	s_delay_alu instid0(VALU_DEP_1) | instskip(NEXT) | instid1(VALU_DEP_2)
	v_add_co_u32 v54, vcc_lo, s8, v15
	v_add_co_ci_u32_e32 v55, vcc_lo, s9, v16, vcc_lo
	v_add_nc_u32_e32 v16, -10, v14
	s_delay_alu instid0(VALU_DEP_1) | instskip(SKIP_1) | instid1(VALU_DEP_1)
	v_lshlrev_b64 v[56:57], 3, v[16:17]
	v_add_nc_u32_e32 v16, 4, v22
	v_lshlrev_b64 v[21:22], 3, v[16:17]
	v_add_nc_u32_e32 v16, -5, v14
	s_delay_alu instid0(VALU_DEP_4) | instskip(SKIP_1) | instid1(VALU_DEP_3)
	v_add_co_u32 v56, vcc_lo, s8, v56
	v_add_co_ci_u32_e32 v57, vcc_lo, s9, v57, vcc_lo
	v_lshlrev_b64 v[15:16], 3, v[16:17]
	v_add_co_u32 v21, vcc_lo, s10, v21
	v_add_co_ci_u32_e32 v22, vcc_lo, s11, v22, vcc_lo
	v_add_nc_u32_e32 v14, 60, v14
	s_delay_alu instid0(VALU_DEP_4)
	v_add_co_u32 v15, vcc_lo, s8, v15
	v_add_co_ci_u32_e32 v16, vcc_lo, s9, v16, vcc_lo
	global_load_b64 v[56:57], v[56:57], off
	global_load_b64 v[21:22], v[21:22], off
	s_clause 0x1
	global_load_b64 v[15:16], v[15:16], off
	global_load_b64 v[54:55], v[54:55], off
	v_cmp_ge_i32_e32 vcc_lo, v8, v20
	s_or_b32 s2, vcc_lo, s2
	s_waitcnt vmcnt(16)
	v_fma_f64 v[6:7], v[24:25], v[28:29], v[6:7]
	v_fma_f64 v[12:13], v[18:19], v[28:29], v[12:13]
	;; [unrolled: 1-line block ×3, first 2 shown]
	s_waitcnt vmcnt(14)
	s_delay_alu instid0(VALU_DEP_3) | instskip(SKIP_1) | instid1(VALU_DEP_3)
	v_fma_f64 v[6:7], v[30:31], v[32:33], v[6:7]
	s_waitcnt vmcnt(13)
	v_fma_f64 v[11:12], v[34:35], v[32:33], v[12:13]
	s_waitcnt vmcnt(12)
	s_delay_alu instid0(VALU_DEP_3) | instskip(SKIP_1) | instid1(VALU_DEP_3)
	v_fma_f64 v[9:10], v[36:37], v[32:33], v[9:10]
	s_waitcnt vmcnt(10)
	v_fma_f64 v[6:7], v[38:39], v[40:41], v[6:7]
	;; [unrolled: 5-line block ×6, first 2 shown]
	s_and_not1_b32 exec_lo, exec_lo, s2
	s_cbranch_execnz .LBB52_15
; %bb.16:
	s_or_b32 exec_lo, exec_lo, s2
.LBB52_17:
	s_delay_alu instid0(SALU_CYCLE_1)
	s_or_b32 exec_lo, exec_lo, s3
.LBB52_18:
	v_mbcnt_lo_u32_b32 v18, -1, 0
	s_delay_alu instid0(VALU_DEP_1) | instskip(NEXT) | instid1(VALU_DEP_1)
	v_xor_b32_e32 v8, 2, v18
	v_cmp_gt_i32_e32 vcc_lo, 32, v8
	v_cndmask_b32_e32 v8, v18, v8, vcc_lo
	s_delay_alu instid0(VALU_DEP_1)
	v_lshlrev_b32_e32 v17, 2, v8
	ds_bpermute_b32 v8, v17, v6
	ds_bpermute_b32 v9, v17, v7
	;; [unrolled: 1-line block ×6, first 2 shown]
	s_waitcnt lgkmcnt(4)
	v_add_f64 v[8:9], v[6:7], v[8:9]
	s_waitcnt lgkmcnt(2)
	v_add_f64 v[6:7], v[12:13], v[14:15]
	;; [unrolled: 2-line block ×3, first 2 shown]
	v_xor_b32_e32 v10, 1, v18
	s_delay_alu instid0(VALU_DEP_1) | instskip(SKIP_2) | instid1(VALU_DEP_2)
	v_cmp_gt_i32_e32 vcc_lo, 32, v10
	v_cndmask_b32_e32 v10, v18, v10, vcc_lo
	v_cmp_eq_u32_e32 vcc_lo, 3, v0
	v_lshlrev_b32_e32 v15, 2, v10
	ds_bpermute_b32 v10, v15, v8
	ds_bpermute_b32 v11, v15, v9
	;; [unrolled: 1-line block ×6, first 2 shown]
	s_and_b32 exec_lo, exec_lo, vcc_lo
	s_cbranch_execz .LBB52_23
; %bb.19:
	s_waitcnt lgkmcnt(4)
	v_add_f64 v[10:11], v[8:9], v[10:11]
	s_waitcnt lgkmcnt(2)
	v_add_f64 v[8:9], v[6:7], v[16:17]
	;; [unrolled: 2-line block ×3, first 2 shown]
	s_load_b64 s[0:1], s[0:1], 0x38
	s_mov_b32 s2, exec_lo
	v_cmpx_eq_f64_e32 0, v[3:4]
	s_xor_b32 s2, exec_lo, s2
	s_cbranch_execz .LBB52_21
; %bb.20:
	s_delay_alu instid0(VALU_DEP_4) | instskip(NEXT) | instid1(VALU_DEP_4)
	v_mul_f64 v[10:11], v[1:2], v[10:11]
	v_mul_f64 v[12:13], v[1:2], v[8:9]
	s_delay_alu instid0(VALU_DEP_4) | instskip(SKIP_1) | instid1(VALU_DEP_1)
	v_mul_f64 v[0:1], v[1:2], v[6:7]
	v_lshl_add_u32 v2, v5, 1, v5
                                        ; implicit-def: $vgpr5
                                        ; implicit-def: $vgpr8_vgpr9
                                        ; implicit-def: $vgpr6_vgpr7
	v_ashrrev_i32_e32 v3, 31, v2
	s_delay_alu instid0(VALU_DEP_1) | instskip(SKIP_1) | instid1(VALU_DEP_1)
	v_lshlrev_b64 v[2:3], 3, v[2:3]
	s_waitcnt lgkmcnt(0)
	v_add_co_u32 v2, vcc_lo, s0, v2
	s_delay_alu instid0(VALU_DEP_2)
	v_add_co_ci_u32_e32 v3, vcc_lo, s1, v3, vcc_lo
	s_clause 0x1
	global_store_b128 v[2:3], v[10:13], off
	global_store_b64 v[2:3], v[0:1], off offset:16
                                        ; implicit-def: $vgpr1_vgpr2
                                        ; implicit-def: $vgpr10_vgpr11
                                        ; implicit-def: $vgpr3_vgpr4
.LBB52_21:
	s_and_not1_saveexec_b32 s2, s2
	s_cbranch_execz .LBB52_23
; %bb.22:
	v_lshl_add_u32 v12, v5, 1, v5
	v_mul_f64 v[10:11], v[1:2], v[10:11]
	v_mul_f64 v[8:9], v[1:2], v[8:9]
	;; [unrolled: 1-line block ×3, first 2 shown]
	s_delay_alu instid0(VALU_DEP_4) | instskip(NEXT) | instid1(VALU_DEP_1)
	v_ashrrev_i32_e32 v13, 31, v12
	v_lshlrev_b64 v[12:13], 3, v[12:13]
	s_waitcnt lgkmcnt(0)
	s_delay_alu instid0(VALU_DEP_1) | instskip(NEXT) | instid1(VALU_DEP_2)
	v_add_co_u32 v16, vcc_lo, s0, v12
	v_add_co_ci_u32_e32 v17, vcc_lo, s1, v13, vcc_lo
	s_clause 0x1
	global_load_b128 v[12:15], v[16:17], off
	global_load_b64 v[18:19], v[16:17], off offset:16
	s_waitcnt vmcnt(1)
	v_fma_f64 v[5:6], v[3:4], v[12:13], v[10:11]
	v_fma_f64 v[7:8], v[3:4], v[14:15], v[8:9]
	s_waitcnt vmcnt(0)
	v_fma_f64 v[0:1], v[3:4], v[18:19], v[0:1]
	s_clause 0x1
	global_store_b128 v[16:17], v[5:8], off
	global_store_b64 v[16:17], v[0:1], off offset:16
.LBB52_23:
	s_nop 0
	s_sendmsg sendmsg(MSG_DEALLOC_VGPRS)
	s_endpgm
	.section	.rodata,"a",@progbits
	.p2align	6, 0x0
	.amdhsa_kernel _ZN9rocsparseL19gebsrmvn_3xn_kernelILj128ELj5ELj4EdEEvi20rocsparse_direction_NS_24const_host_device_scalarIT2_EEPKiS6_PKS3_S8_S4_PS3_21rocsparse_index_base_b
		.amdhsa_group_segment_fixed_size 0
		.amdhsa_private_segment_fixed_size 0
		.amdhsa_kernarg_size 72
		.amdhsa_user_sgpr_count 15
		.amdhsa_user_sgpr_dispatch_ptr 0
		.amdhsa_user_sgpr_queue_ptr 0
		.amdhsa_user_sgpr_kernarg_segment_ptr 1
		.amdhsa_user_sgpr_dispatch_id 0
		.amdhsa_user_sgpr_private_segment_size 0
		.amdhsa_wavefront_size32 1
		.amdhsa_uses_dynamic_stack 0
		.amdhsa_enable_private_segment 0
		.amdhsa_system_sgpr_workgroup_id_x 1
		.amdhsa_system_sgpr_workgroup_id_y 0
		.amdhsa_system_sgpr_workgroup_id_z 0
		.amdhsa_system_sgpr_workgroup_info 0
		.amdhsa_system_vgpr_workitem_id 0
		.amdhsa_next_free_vgpr 59
		.amdhsa_next_free_sgpr 16
		.amdhsa_reserve_vcc 1
		.amdhsa_float_round_mode_32 0
		.amdhsa_float_round_mode_16_64 0
		.amdhsa_float_denorm_mode_32 3
		.amdhsa_float_denorm_mode_16_64 3
		.amdhsa_dx10_clamp 1
		.amdhsa_ieee_mode 1
		.amdhsa_fp16_overflow 0
		.amdhsa_workgroup_processor_mode 1
		.amdhsa_memory_ordered 1
		.amdhsa_forward_progress 0
		.amdhsa_shared_vgpr_count 0
		.amdhsa_exception_fp_ieee_invalid_op 0
		.amdhsa_exception_fp_denorm_src 0
		.amdhsa_exception_fp_ieee_div_zero 0
		.amdhsa_exception_fp_ieee_overflow 0
		.amdhsa_exception_fp_ieee_underflow 0
		.amdhsa_exception_fp_ieee_inexact 0
		.amdhsa_exception_int_div_zero 0
	.end_amdhsa_kernel
	.section	.text._ZN9rocsparseL19gebsrmvn_3xn_kernelILj128ELj5ELj4EdEEvi20rocsparse_direction_NS_24const_host_device_scalarIT2_EEPKiS6_PKS3_S8_S4_PS3_21rocsparse_index_base_b,"axG",@progbits,_ZN9rocsparseL19gebsrmvn_3xn_kernelILj128ELj5ELj4EdEEvi20rocsparse_direction_NS_24const_host_device_scalarIT2_EEPKiS6_PKS3_S8_S4_PS3_21rocsparse_index_base_b,comdat
.Lfunc_end52:
	.size	_ZN9rocsparseL19gebsrmvn_3xn_kernelILj128ELj5ELj4EdEEvi20rocsparse_direction_NS_24const_host_device_scalarIT2_EEPKiS6_PKS3_S8_S4_PS3_21rocsparse_index_base_b, .Lfunc_end52-_ZN9rocsparseL19gebsrmvn_3xn_kernelILj128ELj5ELj4EdEEvi20rocsparse_direction_NS_24const_host_device_scalarIT2_EEPKiS6_PKS3_S8_S4_PS3_21rocsparse_index_base_b
                                        ; -- End function
	.section	.AMDGPU.csdata,"",@progbits
; Kernel info:
; codeLenInByte = 2992
; NumSgprs: 18
; NumVgprs: 59
; ScratchSize: 0
; MemoryBound: 0
; FloatMode: 240
; IeeeMode: 1
; LDSByteSize: 0 bytes/workgroup (compile time only)
; SGPRBlocks: 2
; VGPRBlocks: 7
; NumSGPRsForWavesPerEU: 18
; NumVGPRsForWavesPerEU: 59
; Occupancy: 16
; WaveLimiterHint : 1
; COMPUTE_PGM_RSRC2:SCRATCH_EN: 0
; COMPUTE_PGM_RSRC2:USER_SGPR: 15
; COMPUTE_PGM_RSRC2:TRAP_HANDLER: 0
; COMPUTE_PGM_RSRC2:TGID_X_EN: 1
; COMPUTE_PGM_RSRC2:TGID_Y_EN: 0
; COMPUTE_PGM_RSRC2:TGID_Z_EN: 0
; COMPUTE_PGM_RSRC2:TIDIG_COMP_CNT: 0
	.section	.text._ZN9rocsparseL19gebsrmvn_3xn_kernelILj128ELj5ELj8EdEEvi20rocsparse_direction_NS_24const_host_device_scalarIT2_EEPKiS6_PKS3_S8_S4_PS3_21rocsparse_index_base_b,"axG",@progbits,_ZN9rocsparseL19gebsrmvn_3xn_kernelILj128ELj5ELj8EdEEvi20rocsparse_direction_NS_24const_host_device_scalarIT2_EEPKiS6_PKS3_S8_S4_PS3_21rocsparse_index_base_b,comdat
	.globl	_ZN9rocsparseL19gebsrmvn_3xn_kernelILj128ELj5ELj8EdEEvi20rocsparse_direction_NS_24const_host_device_scalarIT2_EEPKiS6_PKS3_S8_S4_PS3_21rocsparse_index_base_b ; -- Begin function _ZN9rocsparseL19gebsrmvn_3xn_kernelILj128ELj5ELj8EdEEvi20rocsparse_direction_NS_24const_host_device_scalarIT2_EEPKiS6_PKS3_S8_S4_PS3_21rocsparse_index_base_b
	.p2align	8
	.type	_ZN9rocsparseL19gebsrmvn_3xn_kernelILj128ELj5ELj8EdEEvi20rocsparse_direction_NS_24const_host_device_scalarIT2_EEPKiS6_PKS3_S8_S4_PS3_21rocsparse_index_base_b,@function
_ZN9rocsparseL19gebsrmvn_3xn_kernelILj128ELj5ELj8EdEEvi20rocsparse_direction_NS_24const_host_device_scalarIT2_EEPKiS6_PKS3_S8_S4_PS3_21rocsparse_index_base_b: ; @_ZN9rocsparseL19gebsrmvn_3xn_kernelILj128ELj5ELj8EdEEvi20rocsparse_direction_NS_24const_host_device_scalarIT2_EEPKiS6_PKS3_S8_S4_PS3_21rocsparse_index_base_b
; %bb.0:
	s_clause 0x2
	s_load_b64 s[12:13], s[0:1], 0x40
	s_load_b64 s[4:5], s[0:1], 0x8
	;; [unrolled: 1-line block ×3, first 2 shown]
	s_waitcnt lgkmcnt(0)
	s_bitcmp1_b32 s13, 0
	v_dual_mov_b32 v1, s4 :: v_dual_mov_b32 v2, s5
	s_cselect_b32 s6, -1, 0
	s_delay_alu instid0(SALU_CYCLE_1)
	s_and_b32 vcc_lo, exec_lo, s6
	s_xor_b32 s6, s6, -1
	s_cbranch_vccnz .LBB53_2
; %bb.1:
	v_dual_mov_b32 v1, s4 :: v_dual_mov_b32 v2, s5
	flat_load_b64 v[1:2], v[1:2]
.LBB53_2:
	v_dual_mov_b32 v4, s3 :: v_dual_mov_b32 v3, s2
	s_and_not1_b32 vcc_lo, exec_lo, s6
	s_cbranch_vccnz .LBB53_4
; %bb.3:
	v_dual_mov_b32 v4, s3 :: v_dual_mov_b32 v3, s2
	flat_load_b64 v[3:4], v[3:4]
.LBB53_4:
	s_waitcnt vmcnt(0) lgkmcnt(0)
	v_cmp_neq_f64_e32 vcc_lo, 0, v[1:2]
	v_cmp_neq_f64_e64 s2, 1.0, v[3:4]
	s_delay_alu instid0(VALU_DEP_1) | instskip(NEXT) | instid1(SALU_CYCLE_1)
	s_or_b32 s2, vcc_lo, s2
	s_and_saveexec_b32 s3, s2
	s_cbranch_execz .LBB53_23
; %bb.5:
	s_load_b64 s[2:3], s[0:1], 0x0
	v_lshrrev_b32_e32 v5, 3, v0
	s_delay_alu instid0(VALU_DEP_1) | instskip(SKIP_1) | instid1(VALU_DEP_1)
	v_lshl_or_b32 v5, s15, 4, v5
	s_waitcnt lgkmcnt(0)
	v_cmp_gt_i32_e32 vcc_lo, s2, v5
	s_and_b32 exec_lo, exec_lo, vcc_lo
	s_cbranch_execz .LBB53_23
; %bb.6:
	s_load_b256 s[4:11], s[0:1], 0x10
	v_ashrrev_i32_e32 v6, 31, v5
	v_and_b32_e32 v0, 7, v0
	s_cmp_lg_u32 s3, 0
	s_delay_alu instid0(VALU_DEP_2) | instskip(SKIP_1) | instid1(VALU_DEP_1)
	v_lshlrev_b64 v[6:7], 2, v[5:6]
	s_waitcnt lgkmcnt(0)
	v_add_co_u32 v6, vcc_lo, s4, v6
	s_delay_alu instid0(VALU_DEP_2) | instskip(SKIP_4) | instid1(VALU_DEP_2)
	v_add_co_ci_u32_e32 v7, vcc_lo, s5, v7, vcc_lo
	global_load_b64 v[6:7], v[6:7], off
	s_waitcnt vmcnt(0)
	v_subrev_nc_u32_e32 v6, s12, v6
	v_subrev_nc_u32_e32 v20, s12, v7
	v_add_nc_u32_e32 v10, v6, v0
	s_delay_alu instid0(VALU_DEP_1)
	v_cmp_lt_i32_e64 s2, v10, v20
	s_cbranch_scc0 .LBB53_12
; %bb.7:
	v_mov_b32_e32 v6, 0
	v_mov_b32_e32 v7, 0
	s_delay_alu instid0(VALU_DEP_1)
	v_dual_mov_b32 v9, v7 :: v_dual_mov_b32 v8, v6
	v_dual_mov_b32 v13, v7 :: v_dual_mov_b32 v12, v6
	s_and_saveexec_b32 s3, s2
	s_cbranch_execz .LBB53_11
; %bb.8:
	v_dual_mov_b32 v6, 0 :: v_dual_mov_b32 v17, 0
	v_dual_mov_b32 v7, 0 :: v_dual_mov_b32 v18, v10
	v_mad_u64_u32 v[14:15], null, v10, 15, 14
	s_mov_b32 s4, 0
	s_delay_alu instid0(VALU_DEP_2)
	v_dual_mov_b32 v9, v7 :: v_dual_mov_b32 v8, v6
	v_dual_mov_b32 v13, v7 :: v_dual_mov_b32 v12, v6
.LBB53_9:                               ; =>This Inner Loop Header: Depth=1
	v_ashrrev_i32_e32 v19, 31, v18
	v_mov_b32_e32 v22, v17
	s_delay_alu instid0(VALU_DEP_2) | instskip(SKIP_1) | instid1(VALU_DEP_2)
	v_lshlrev_b64 v[15:16], 2, v[18:19]
	v_add_nc_u32_e32 v18, 8, v18
	v_add_co_u32 v15, vcc_lo, s6, v15
	s_delay_alu instid0(VALU_DEP_3) | instskip(SKIP_2) | instid1(VALU_DEP_1)
	v_add_co_ci_u32_e32 v16, vcc_lo, s7, v16, vcc_lo
	global_load_b32 v11, v[15:16], off
	v_dual_mov_b32 v15, v17 :: v_dual_add_nc_u32 v16, -14, v14
	v_lshlrev_b64 v[23:24], 3, v[16:17]
	v_add_nc_u32_e32 v16, -13, v14
	s_delay_alu instid0(VALU_DEP_1) | instskip(SKIP_1) | instid1(VALU_DEP_4)
	v_lshlrev_b64 v[25:26], 3, v[16:17]
	v_add_nc_u32_e32 v16, -12, v14
	v_add_co_u32 v23, vcc_lo, s8, v23
	v_add_co_ci_u32_e32 v24, vcc_lo, s9, v24, vcc_lo
	s_delay_alu instid0(VALU_DEP_3)
	v_lshlrev_b64 v[27:28], 3, v[16:17]
	v_add_co_u32 v25, vcc_lo, s8, v25
	v_add_co_ci_u32_e32 v26, vcc_lo, s9, v26, vcc_lo
	global_load_b64 v[23:24], v[23:24], off
	v_add_co_u32 v27, vcc_lo, s8, v27
	v_add_co_ci_u32_e32 v28, vcc_lo, s9, v28, vcc_lo
	v_add_nc_u32_e32 v16, -11, v14
	s_delay_alu instid0(VALU_DEP_1) | instskip(SKIP_2) | instid1(VALU_DEP_1)
	v_lshlrev_b64 v[31:32], 3, v[16:17]
	s_waitcnt vmcnt(1)
	v_subrev_nc_u32_e32 v11, s12, v11
	v_lshl_add_u32 v21, v11, 2, v11
	s_delay_alu instid0(VALU_DEP_1) | instskip(SKIP_1) | instid1(VALU_DEP_1)
	v_lshlrev_b64 v[29:30], 3, v[21:22]
	v_add_nc_u32_e32 v16, 1, v21
	v_lshlrev_b64 v[33:34], 3, v[16:17]
	s_delay_alu instid0(VALU_DEP_3) | instskip(NEXT) | instid1(VALU_DEP_4)
	v_add_co_u32 v29, vcc_lo, s10, v29
	v_add_co_ci_u32_e32 v30, vcc_lo, s11, v30, vcc_lo
	s_clause 0x1
	global_load_b64 v[25:26], v[25:26], off
	global_load_b64 v[27:28], v[27:28], off
	;; [unrolled: 1-line block ×3, first 2 shown]
	v_add_nc_u32_e32 v16, -10, v14
	v_add_co_u32 v31, vcc_lo, s8, v31
	v_add_co_ci_u32_e32 v32, vcc_lo, s9, v32, vcc_lo
	s_delay_alu instid0(VALU_DEP_3) | instskip(SKIP_3) | instid1(VALU_DEP_3)
	v_lshlrev_b64 v[35:36], 3, v[16:17]
	v_add_nc_u32_e32 v16, -9, v14
	v_add_co_u32 v33, vcc_lo, s10, v33
	v_add_co_ci_u32_e32 v34, vcc_lo, s11, v34, vcc_lo
	v_lshlrev_b64 v[37:38], 3, v[16:17]
	v_add_co_u32 v35, vcc_lo, s8, v35
	v_add_co_ci_u32_e32 v36, vcc_lo, s9, v36, vcc_lo
	global_load_b64 v[31:32], v[31:32], off
	v_add_co_u32 v37, vcc_lo, s8, v37
	v_add_co_ci_u32_e32 v38, vcc_lo, s9, v38, vcc_lo
	global_load_b64 v[33:34], v[33:34], off
	s_clause 0x1
	global_load_b64 v[35:36], v[35:36], off
	global_load_b64 v[37:38], v[37:38], off
	v_add_nc_u32_e32 v16, -8, v14
	s_delay_alu instid0(VALU_DEP_1) | instskip(SKIP_1) | instid1(VALU_DEP_1)
	v_lshlrev_b64 v[39:40], 3, v[16:17]
	v_add_nc_u32_e32 v16, 2, v21
	v_lshlrev_b64 v[41:42], 3, v[16:17]
	v_add_nc_u32_e32 v16, -7, v14
	s_delay_alu instid0(VALU_DEP_4) | instskip(SKIP_1) | instid1(VALU_DEP_3)
	v_add_co_u32 v39, vcc_lo, s8, v39
	v_add_co_ci_u32_e32 v40, vcc_lo, s9, v40, vcc_lo
	v_lshlrev_b64 v[43:44], 3, v[16:17]
	v_add_nc_u32_e32 v16, -6, v14
	v_add_co_u32 v41, vcc_lo, s10, v41
	v_add_co_ci_u32_e32 v42, vcc_lo, s11, v42, vcc_lo
	s_delay_alu instid0(VALU_DEP_3)
	v_lshlrev_b64 v[45:46], 3, v[16:17]
	v_add_co_u32 v43, vcc_lo, s8, v43
	v_add_co_ci_u32_e32 v44, vcc_lo, s9, v44, vcc_lo
	global_load_b64 v[39:40], v[39:40], off
	v_add_co_u32 v45, vcc_lo, s8, v45
	v_add_co_ci_u32_e32 v46, vcc_lo, s9, v46, vcc_lo
	global_load_b64 v[41:42], v[41:42], off
	s_clause 0x1
	global_load_b64 v[43:44], v[43:44], off
	global_load_b64 v[45:46], v[45:46], off
	v_add_nc_u32_e32 v16, -5, v14
	s_delay_alu instid0(VALU_DEP_1) | instskip(SKIP_1) | instid1(VALU_DEP_1)
	v_lshlrev_b64 v[47:48], 3, v[16:17]
	v_add_nc_u32_e32 v16, 3, v21
	v_lshlrev_b64 v[49:50], 3, v[16:17]
	v_add_nc_u32_e32 v16, -4, v14
	s_delay_alu instid0(VALU_DEP_4) | instskip(SKIP_1) | instid1(VALU_DEP_3)
	v_add_co_u32 v47, vcc_lo, s8, v47
	v_add_co_ci_u32_e32 v48, vcc_lo, s9, v48, vcc_lo
	v_lshlrev_b64 v[51:52], 3, v[16:17]
	v_add_nc_u32_e32 v16, -3, v14
	v_add_co_u32 v49, vcc_lo, s10, v49
	v_add_co_ci_u32_e32 v50, vcc_lo, s11, v50, vcc_lo
	s_delay_alu instid0(VALU_DEP_3)
	v_lshlrev_b64 v[53:54], 3, v[16:17]
	v_add_co_u32 v51, vcc_lo, s8, v51
	v_add_co_ci_u32_e32 v52, vcc_lo, s9, v52, vcc_lo
	global_load_b64 v[47:48], v[47:48], off
	v_add_co_u32 v53, vcc_lo, s8, v53
	v_add_co_ci_u32_e32 v54, vcc_lo, s9, v54, vcc_lo
	global_load_b64 v[49:50], v[49:50], off
	s_clause 0x1
	global_load_b64 v[51:52], v[51:52], off
	global_load_b64 v[53:54], v[53:54], off
	v_lshlrev_b64 v[15:16], 3, v[14:15]
	s_delay_alu instid0(VALU_DEP_1) | instskip(NEXT) | instid1(VALU_DEP_2)
	v_add_co_u32 v55, vcc_lo, s8, v15
	v_add_co_ci_u32_e32 v56, vcc_lo, s9, v16, vcc_lo
	v_add_nc_u32_e32 v16, -2, v14
	s_delay_alu instid0(VALU_DEP_1) | instskip(SKIP_1) | instid1(VALU_DEP_1)
	v_lshlrev_b64 v[57:58], 3, v[16:17]
	v_add_nc_u32_e32 v16, 4, v21
	v_lshlrev_b64 v[21:22], 3, v[16:17]
	v_add_nc_u32_e32 v16, -1, v14
	s_delay_alu instid0(VALU_DEP_4) | instskip(SKIP_1) | instid1(VALU_DEP_3)
	v_add_co_u32 v57, vcc_lo, s8, v57
	v_add_co_ci_u32_e32 v58, vcc_lo, s9, v58, vcc_lo
	v_lshlrev_b64 v[15:16], 3, v[16:17]
	v_add_co_u32 v21, vcc_lo, s10, v21
	v_add_co_ci_u32_e32 v22, vcc_lo, s11, v22, vcc_lo
	v_add_nc_u32_e32 v14, 0x78, v14
	s_delay_alu instid0(VALU_DEP_4)
	v_add_co_u32 v15, vcc_lo, s8, v15
	v_add_co_ci_u32_e32 v16, vcc_lo, s9, v16, vcc_lo
	global_load_b64 v[57:58], v[57:58], off
	global_load_b64 v[21:22], v[21:22], off
	s_clause 0x1
	global_load_b64 v[15:16], v[15:16], off
	global_load_b64 v[55:56], v[55:56], off
	v_cmp_ge_i32_e32 vcc_lo, v18, v20
	s_or_b32 s4, vcc_lo, s4
	s_waitcnt vmcnt(16)
	v_fma_f64 v[6:7], v[23:24], v[29:30], v[6:7]
	v_fma_f64 v[11:12], v[25:26], v[29:30], v[12:13]
	;; [unrolled: 1-line block ×3, first 2 shown]
	s_waitcnt vmcnt(14)
	s_delay_alu instid0(VALU_DEP_3) | instskip(SKIP_1) | instid1(VALU_DEP_3)
	v_fma_f64 v[6:7], v[31:32], v[33:34], v[6:7]
	s_waitcnt vmcnt(13)
	v_fma_f64 v[11:12], v[35:36], v[33:34], v[11:12]
	s_waitcnt vmcnt(12)
	s_delay_alu instid0(VALU_DEP_3) | instskip(SKIP_1) | instid1(VALU_DEP_3)
	v_fma_f64 v[8:9], v[37:38], v[33:34], v[8:9]
	s_waitcnt vmcnt(10)
	v_fma_f64 v[6:7], v[39:40], v[41:42], v[6:7]
	;; [unrolled: 5-line block ×6, first 2 shown]
	s_and_not1_b32 exec_lo, exec_lo, s4
	s_cbranch_execnz .LBB53_9
; %bb.10:
	s_or_b32 exec_lo, exec_lo, s4
.LBB53_11:
	s_delay_alu instid0(SALU_CYCLE_1)
	s_or_b32 exec_lo, exec_lo, s3
	s_cbranch_execz .LBB53_13
	s_branch .LBB53_18
.LBB53_12:
                                        ; implicit-def: $vgpr6_vgpr7
                                        ; implicit-def: $vgpr8_vgpr9
                                        ; implicit-def: $vgpr12_vgpr13
.LBB53_13:
	v_mov_b32_e32 v6, 0
	v_mov_b32_e32 v7, 0
	s_delay_alu instid0(VALU_DEP_1)
	v_dual_mov_b32 v9, v7 :: v_dual_mov_b32 v8, v6
	v_dual_mov_b32 v13, v7 :: v_dual_mov_b32 v12, v6
	s_and_saveexec_b32 s3, s2
	s_cbranch_execz .LBB53_17
; %bb.14:
	v_dual_mov_b32 v6, 0 :: v_dual_mov_b32 v17, 0
	v_mov_b32_e32 v7, 0
	v_mad_u64_u32 v[14:15], null, v10, 15, 14
	s_mov_b32 s2, 0
	s_delay_alu instid0(VALU_DEP_2)
	v_dual_mov_b32 v9, v7 :: v_dual_mov_b32 v8, v6
	v_dual_mov_b32 v13, v7 :: v_dual_mov_b32 v12, v6
.LBB53_15:                              ; =>This Inner Loop Header: Depth=1
	v_ashrrev_i32_e32 v11, 31, v10
	s_delay_alu instid0(VALU_DEP_4) | instskip(SKIP_1) | instid1(VALU_DEP_3)
	v_dual_mov_b32 v19, v17 :: v_dual_add_nc_u32 v18, -9, v14
	v_dual_mov_b32 v22, v17 :: v_dual_add_nc_u32 v21, -4, v14
	v_lshlrev_b64 v[15:16], 2, v[10:11]
	v_add_nc_u32_e32 v10, 8, v10
	s_delay_alu instid0(VALU_DEP_4)
	v_lshlrev_b64 v[18:19], 3, v[18:19]
	v_mov_b32_e32 v23, v17
	v_lshlrev_b64 v[21:22], 3, v[21:22]
	v_add_co_u32 v15, vcc_lo, s6, v15
	v_add_co_ci_u32_e32 v16, vcc_lo, s7, v16, vcc_lo
	global_load_b32 v11, v[15:16], off
	v_dual_mov_b32 v15, v17 :: v_dual_add_nc_u32 v16, -14, v14
	s_delay_alu instid0(VALU_DEP_1) | instskip(SKIP_1) | instid1(VALU_DEP_1)
	v_lshlrev_b64 v[24:25], 3, v[16:17]
	v_add_nc_u32_e32 v16, -13, v14
	v_lshlrev_b64 v[30:31], 3, v[16:17]
	s_delay_alu instid0(VALU_DEP_3) | instskip(NEXT) | instid1(VALU_DEP_4)
	v_add_co_u32 v24, vcc_lo, s8, v24
	v_add_co_ci_u32_e32 v25, vcc_lo, s9, v25, vcc_lo
	v_add_co_u32 v18, vcc_lo, s8, v18
	v_add_co_ci_u32_e32 v19, vcc_lo, s9, v19, vcc_lo
	;; [unrolled: 2-line block ×3, first 2 shown]
	global_load_b64 v[24:25], v[24:25], off
	s_waitcnt vmcnt(1)
	v_subrev_nc_u32_e32 v11, s12, v11
	s_delay_alu instid0(VALU_DEP_1) | instskip(NEXT) | instid1(VALU_DEP_1)
	v_lshl_add_u32 v22, v11, 2, v11
	v_lshlrev_b64 v[28:29], 3, v[22:23]
	v_add_nc_u32_e32 v16, 1, v22
	s_delay_alu instid0(VALU_DEP_1) | instskip(NEXT) | instid1(VALU_DEP_3)
	v_lshlrev_b64 v[32:33], 3, v[16:17]
	v_add_co_u32 v28, vcc_lo, s10, v28
	s_delay_alu instid0(VALU_DEP_4)
	v_add_co_ci_u32_e32 v29, vcc_lo, s11, v29, vcc_lo
	s_clause 0x1
	global_load_b64 v[18:19], v[18:19], off
	global_load_b64 v[26:27], v[26:27], off
	global_load_b64 v[28:29], v[28:29], off
	v_add_nc_u32_e32 v16, -8, v14
	v_add_co_u32 v30, vcc_lo, s8, v30
	v_add_co_ci_u32_e32 v31, vcc_lo, s9, v31, vcc_lo
	s_delay_alu instid0(VALU_DEP_3) | instskip(SKIP_3) | instid1(VALU_DEP_3)
	v_lshlrev_b64 v[34:35], 3, v[16:17]
	v_add_nc_u32_e32 v16, -3, v14
	v_add_co_u32 v32, vcc_lo, s10, v32
	v_add_co_ci_u32_e32 v33, vcc_lo, s11, v33, vcc_lo
	v_lshlrev_b64 v[36:37], 3, v[16:17]
	v_add_co_u32 v34, vcc_lo, s8, v34
	v_add_co_ci_u32_e32 v35, vcc_lo, s9, v35, vcc_lo
	global_load_b64 v[30:31], v[30:31], off
	v_add_co_u32 v36, vcc_lo, s8, v36
	v_add_co_ci_u32_e32 v37, vcc_lo, s9, v37, vcc_lo
	global_load_b64 v[32:33], v[32:33], off
	s_clause 0x1
	global_load_b64 v[34:35], v[34:35], off
	global_load_b64 v[36:37], v[36:37], off
	v_add_nc_u32_e32 v16, -12, v14
	s_delay_alu instid0(VALU_DEP_1) | instskip(SKIP_1) | instid1(VALU_DEP_1)
	v_lshlrev_b64 v[38:39], 3, v[16:17]
	v_add_nc_u32_e32 v16, 2, v22
	v_lshlrev_b64 v[40:41], 3, v[16:17]
	v_add_nc_u32_e32 v16, -7, v14
	s_delay_alu instid0(VALU_DEP_4) | instskip(SKIP_1) | instid1(VALU_DEP_3)
	v_add_co_u32 v38, vcc_lo, s8, v38
	v_add_co_ci_u32_e32 v39, vcc_lo, s9, v39, vcc_lo
	v_lshlrev_b64 v[42:43], 3, v[16:17]
	v_add_nc_u32_e32 v16, -2, v14
	v_add_co_u32 v40, vcc_lo, s10, v40
	v_add_co_ci_u32_e32 v41, vcc_lo, s11, v41, vcc_lo
	s_delay_alu instid0(VALU_DEP_3)
	v_lshlrev_b64 v[44:45], 3, v[16:17]
	v_add_co_u32 v42, vcc_lo, s8, v42
	v_add_co_ci_u32_e32 v43, vcc_lo, s9, v43, vcc_lo
	global_load_b64 v[38:39], v[38:39], off
	v_add_co_u32 v44, vcc_lo, s8, v44
	v_add_co_ci_u32_e32 v45, vcc_lo, s9, v45, vcc_lo
	global_load_b64 v[40:41], v[40:41], off
	s_clause 0x1
	global_load_b64 v[42:43], v[42:43], off
	global_load_b64 v[44:45], v[44:45], off
	v_add_nc_u32_e32 v16, -11, v14
	s_delay_alu instid0(VALU_DEP_1) | instskip(SKIP_1) | instid1(VALU_DEP_1)
	v_lshlrev_b64 v[46:47], 3, v[16:17]
	v_add_nc_u32_e32 v16, 3, v22
	v_lshlrev_b64 v[48:49], 3, v[16:17]
	v_add_nc_u32_e32 v16, -6, v14
	s_delay_alu instid0(VALU_DEP_4) | instskip(SKIP_1) | instid1(VALU_DEP_3)
	v_add_co_u32 v46, vcc_lo, s8, v46
	v_add_co_ci_u32_e32 v47, vcc_lo, s9, v47, vcc_lo
	v_lshlrev_b64 v[50:51], 3, v[16:17]
	v_add_nc_u32_e32 v16, -1, v14
	v_add_co_u32 v48, vcc_lo, s10, v48
	v_add_co_ci_u32_e32 v49, vcc_lo, s11, v49, vcc_lo
	s_delay_alu instid0(VALU_DEP_3)
	v_lshlrev_b64 v[52:53], 3, v[16:17]
	v_add_co_u32 v50, vcc_lo, s8, v50
	v_add_co_ci_u32_e32 v51, vcc_lo, s9, v51, vcc_lo
	global_load_b64 v[46:47], v[46:47], off
	v_add_co_u32 v52, vcc_lo, s8, v52
	v_add_co_ci_u32_e32 v53, vcc_lo, s9, v53, vcc_lo
	global_load_b64 v[48:49], v[48:49], off
	s_clause 0x1
	global_load_b64 v[50:51], v[50:51], off
	global_load_b64 v[52:53], v[52:53], off
	v_lshlrev_b64 v[15:16], 3, v[14:15]
	s_delay_alu instid0(VALU_DEP_1) | instskip(NEXT) | instid1(VALU_DEP_2)
	v_add_co_u32 v54, vcc_lo, s8, v15
	v_add_co_ci_u32_e32 v55, vcc_lo, s9, v16, vcc_lo
	v_add_nc_u32_e32 v16, -10, v14
	s_delay_alu instid0(VALU_DEP_1) | instskip(SKIP_1) | instid1(VALU_DEP_1)
	v_lshlrev_b64 v[56:57], 3, v[16:17]
	v_add_nc_u32_e32 v16, 4, v22
	v_lshlrev_b64 v[21:22], 3, v[16:17]
	v_add_nc_u32_e32 v16, -5, v14
	s_delay_alu instid0(VALU_DEP_4) | instskip(SKIP_1) | instid1(VALU_DEP_3)
	v_add_co_u32 v56, vcc_lo, s8, v56
	v_add_co_ci_u32_e32 v57, vcc_lo, s9, v57, vcc_lo
	v_lshlrev_b64 v[15:16], 3, v[16:17]
	v_add_co_u32 v21, vcc_lo, s10, v21
	v_add_co_ci_u32_e32 v22, vcc_lo, s11, v22, vcc_lo
	v_add_nc_u32_e32 v14, 0x78, v14
	s_delay_alu instid0(VALU_DEP_4)
	v_add_co_u32 v15, vcc_lo, s8, v15
	v_add_co_ci_u32_e32 v16, vcc_lo, s9, v16, vcc_lo
	global_load_b64 v[56:57], v[56:57], off
	global_load_b64 v[21:22], v[21:22], off
	s_clause 0x1
	global_load_b64 v[15:16], v[15:16], off
	global_load_b64 v[54:55], v[54:55], off
	v_cmp_ge_i32_e32 vcc_lo, v10, v20
	s_or_b32 s2, vcc_lo, s2
	s_waitcnt vmcnt(16)
	v_fma_f64 v[6:7], v[24:25], v[28:29], v[6:7]
	v_fma_f64 v[11:12], v[18:19], v[28:29], v[12:13]
	;; [unrolled: 1-line block ×3, first 2 shown]
	s_waitcnt vmcnt(14)
	s_delay_alu instid0(VALU_DEP_3) | instskip(SKIP_1) | instid1(VALU_DEP_3)
	v_fma_f64 v[6:7], v[30:31], v[32:33], v[6:7]
	s_waitcnt vmcnt(13)
	v_fma_f64 v[11:12], v[34:35], v[32:33], v[11:12]
	s_waitcnt vmcnt(12)
	s_delay_alu instid0(VALU_DEP_3) | instskip(SKIP_1) | instid1(VALU_DEP_3)
	v_fma_f64 v[8:9], v[36:37], v[32:33], v[8:9]
	s_waitcnt vmcnt(10)
	v_fma_f64 v[6:7], v[38:39], v[40:41], v[6:7]
	;; [unrolled: 5-line block ×6, first 2 shown]
	s_and_not1_b32 exec_lo, exec_lo, s2
	s_cbranch_execnz .LBB53_15
; %bb.16:
	s_or_b32 exec_lo, exec_lo, s2
.LBB53_17:
	s_delay_alu instid0(SALU_CYCLE_1)
	s_or_b32 exec_lo, exec_lo, s3
.LBB53_18:
	v_mbcnt_lo_u32_b32 v18, -1, 0
	s_delay_alu instid0(VALU_DEP_1) | instskip(NEXT) | instid1(VALU_DEP_1)
	v_xor_b32_e32 v10, 4, v18
	v_cmp_gt_i32_e32 vcc_lo, 32, v10
	v_cndmask_b32_e32 v10, v18, v10, vcc_lo
	s_delay_alu instid0(VALU_DEP_1)
	v_lshlrev_b32_e32 v17, 2, v10
	ds_bpermute_b32 v10, v17, v6
	ds_bpermute_b32 v11, v17, v7
	ds_bpermute_b32 v14, v17, v12
	ds_bpermute_b32 v15, v17, v13
	ds_bpermute_b32 v16, v17, v8
	ds_bpermute_b32 v17, v17, v9
	s_waitcnt lgkmcnt(4)
	v_add_f64 v[6:7], v[6:7], v[10:11]
	s_waitcnt lgkmcnt(2)
	v_add_f64 v[10:11], v[12:13], v[14:15]
	;; [unrolled: 2-line block ×3, first 2 shown]
	v_xor_b32_e32 v8, 2, v18
	s_delay_alu instid0(VALU_DEP_1) | instskip(SKIP_1) | instid1(VALU_DEP_1)
	v_cmp_gt_i32_e32 vcc_lo, 32, v8
	v_cndmask_b32_e32 v8, v18, v8, vcc_lo
	v_lshlrev_b32_e32 v17, 2, v8
	ds_bpermute_b32 v8, v17, v6
	ds_bpermute_b32 v9, v17, v7
	;; [unrolled: 1-line block ×6, first 2 shown]
	s_waitcnt lgkmcnt(4)
	v_add_f64 v[8:9], v[6:7], v[8:9]
	s_waitcnt lgkmcnt(2)
	v_add_f64 v[6:7], v[10:11], v[14:15]
	v_xor_b32_e32 v10, 1, v18
	s_waitcnt lgkmcnt(0)
	v_add_f64 v[12:13], v[12:13], v[16:17]
	s_delay_alu instid0(VALU_DEP_2) | instskip(SKIP_2) | instid1(VALU_DEP_2)
	v_cmp_gt_i32_e32 vcc_lo, 32, v10
	v_cndmask_b32_e32 v10, v18, v10, vcc_lo
	v_cmp_eq_u32_e32 vcc_lo, 7, v0
	v_lshlrev_b32_e32 v15, 2, v10
	ds_bpermute_b32 v10, v15, v8
	ds_bpermute_b32 v11, v15, v9
	;; [unrolled: 1-line block ×6, first 2 shown]
	s_and_b32 exec_lo, exec_lo, vcc_lo
	s_cbranch_execz .LBB53_23
; %bb.19:
	s_waitcnt lgkmcnt(4)
	v_add_f64 v[10:11], v[8:9], v[10:11]
	s_waitcnt lgkmcnt(2)
	v_add_f64 v[8:9], v[6:7], v[16:17]
	;; [unrolled: 2-line block ×3, first 2 shown]
	s_load_b64 s[0:1], s[0:1], 0x38
	s_mov_b32 s2, exec_lo
	v_cmpx_eq_f64_e32 0, v[3:4]
	s_xor_b32 s2, exec_lo, s2
	s_cbranch_execz .LBB53_21
; %bb.20:
	s_delay_alu instid0(VALU_DEP_4) | instskip(NEXT) | instid1(VALU_DEP_4)
	v_mul_f64 v[10:11], v[1:2], v[10:11]
	v_mul_f64 v[12:13], v[1:2], v[8:9]
	s_delay_alu instid0(VALU_DEP_4) | instskip(SKIP_1) | instid1(VALU_DEP_1)
	v_mul_f64 v[0:1], v[1:2], v[6:7]
	v_lshl_add_u32 v2, v5, 1, v5
                                        ; implicit-def: $vgpr5
                                        ; implicit-def: $vgpr8_vgpr9
                                        ; implicit-def: $vgpr6_vgpr7
	v_ashrrev_i32_e32 v3, 31, v2
	s_delay_alu instid0(VALU_DEP_1) | instskip(SKIP_1) | instid1(VALU_DEP_1)
	v_lshlrev_b64 v[2:3], 3, v[2:3]
	s_waitcnt lgkmcnt(0)
	v_add_co_u32 v2, vcc_lo, s0, v2
	s_delay_alu instid0(VALU_DEP_2)
	v_add_co_ci_u32_e32 v3, vcc_lo, s1, v3, vcc_lo
	s_clause 0x1
	global_store_b128 v[2:3], v[10:13], off
	global_store_b64 v[2:3], v[0:1], off offset:16
                                        ; implicit-def: $vgpr1_vgpr2
                                        ; implicit-def: $vgpr10_vgpr11
                                        ; implicit-def: $vgpr3_vgpr4
.LBB53_21:
	s_and_not1_saveexec_b32 s2, s2
	s_cbranch_execz .LBB53_23
; %bb.22:
	v_lshl_add_u32 v12, v5, 1, v5
	v_mul_f64 v[10:11], v[1:2], v[10:11]
	v_mul_f64 v[8:9], v[1:2], v[8:9]
	;; [unrolled: 1-line block ×3, first 2 shown]
	s_delay_alu instid0(VALU_DEP_4) | instskip(NEXT) | instid1(VALU_DEP_1)
	v_ashrrev_i32_e32 v13, 31, v12
	v_lshlrev_b64 v[12:13], 3, v[12:13]
	s_waitcnt lgkmcnt(0)
	s_delay_alu instid0(VALU_DEP_1) | instskip(NEXT) | instid1(VALU_DEP_2)
	v_add_co_u32 v16, vcc_lo, s0, v12
	v_add_co_ci_u32_e32 v17, vcc_lo, s1, v13, vcc_lo
	s_clause 0x1
	global_load_b128 v[12:15], v[16:17], off
	global_load_b64 v[18:19], v[16:17], off offset:16
	s_waitcnt vmcnt(1)
	v_fma_f64 v[5:6], v[3:4], v[12:13], v[10:11]
	v_fma_f64 v[7:8], v[3:4], v[14:15], v[8:9]
	s_waitcnt vmcnt(0)
	v_fma_f64 v[0:1], v[3:4], v[18:19], v[0:1]
	s_clause 0x1
	global_store_b128 v[16:17], v[5:8], off
	global_store_b64 v[16:17], v[0:1], off offset:16
.LBB53_23:
	s_nop 0
	s_sendmsg sendmsg(MSG_DEALLOC_VGPRS)
	s_endpgm
	.section	.rodata,"a",@progbits
	.p2align	6, 0x0
	.amdhsa_kernel _ZN9rocsparseL19gebsrmvn_3xn_kernelILj128ELj5ELj8EdEEvi20rocsparse_direction_NS_24const_host_device_scalarIT2_EEPKiS6_PKS3_S8_S4_PS3_21rocsparse_index_base_b
		.amdhsa_group_segment_fixed_size 0
		.amdhsa_private_segment_fixed_size 0
		.amdhsa_kernarg_size 72
		.amdhsa_user_sgpr_count 15
		.amdhsa_user_sgpr_dispatch_ptr 0
		.amdhsa_user_sgpr_queue_ptr 0
		.amdhsa_user_sgpr_kernarg_segment_ptr 1
		.amdhsa_user_sgpr_dispatch_id 0
		.amdhsa_user_sgpr_private_segment_size 0
		.amdhsa_wavefront_size32 1
		.amdhsa_uses_dynamic_stack 0
		.amdhsa_enable_private_segment 0
		.amdhsa_system_sgpr_workgroup_id_x 1
		.amdhsa_system_sgpr_workgroup_id_y 0
		.amdhsa_system_sgpr_workgroup_id_z 0
		.amdhsa_system_sgpr_workgroup_info 0
		.amdhsa_system_vgpr_workitem_id 0
		.amdhsa_next_free_vgpr 59
		.amdhsa_next_free_sgpr 16
		.amdhsa_reserve_vcc 1
		.amdhsa_float_round_mode_32 0
		.amdhsa_float_round_mode_16_64 0
		.amdhsa_float_denorm_mode_32 3
		.amdhsa_float_denorm_mode_16_64 3
		.amdhsa_dx10_clamp 1
		.amdhsa_ieee_mode 1
		.amdhsa_fp16_overflow 0
		.amdhsa_workgroup_processor_mode 1
		.amdhsa_memory_ordered 1
		.amdhsa_forward_progress 0
		.amdhsa_shared_vgpr_count 0
		.amdhsa_exception_fp_ieee_invalid_op 0
		.amdhsa_exception_fp_denorm_src 0
		.amdhsa_exception_fp_ieee_div_zero 0
		.amdhsa_exception_fp_ieee_overflow 0
		.amdhsa_exception_fp_ieee_underflow 0
		.amdhsa_exception_fp_ieee_inexact 0
		.amdhsa_exception_int_div_zero 0
	.end_amdhsa_kernel
	.section	.text._ZN9rocsparseL19gebsrmvn_3xn_kernelILj128ELj5ELj8EdEEvi20rocsparse_direction_NS_24const_host_device_scalarIT2_EEPKiS6_PKS3_S8_S4_PS3_21rocsparse_index_base_b,"axG",@progbits,_ZN9rocsparseL19gebsrmvn_3xn_kernelILj128ELj5ELj8EdEEvi20rocsparse_direction_NS_24const_host_device_scalarIT2_EEPKiS6_PKS3_S8_S4_PS3_21rocsparse_index_base_b,comdat
.Lfunc_end53:
	.size	_ZN9rocsparseL19gebsrmvn_3xn_kernelILj128ELj5ELj8EdEEvi20rocsparse_direction_NS_24const_host_device_scalarIT2_EEPKiS6_PKS3_S8_S4_PS3_21rocsparse_index_base_b, .Lfunc_end53-_ZN9rocsparseL19gebsrmvn_3xn_kernelILj128ELj5ELj8EdEEvi20rocsparse_direction_NS_24const_host_device_scalarIT2_EEPKiS6_PKS3_S8_S4_PS3_21rocsparse_index_base_b
                                        ; -- End function
	.section	.AMDGPU.csdata,"",@progbits
; Kernel info:
; codeLenInByte = 3104
; NumSgprs: 18
; NumVgprs: 59
; ScratchSize: 0
; MemoryBound: 0
; FloatMode: 240
; IeeeMode: 1
; LDSByteSize: 0 bytes/workgroup (compile time only)
; SGPRBlocks: 2
; VGPRBlocks: 7
; NumSGPRsForWavesPerEU: 18
; NumVGPRsForWavesPerEU: 59
; Occupancy: 16
; WaveLimiterHint : 1
; COMPUTE_PGM_RSRC2:SCRATCH_EN: 0
; COMPUTE_PGM_RSRC2:USER_SGPR: 15
; COMPUTE_PGM_RSRC2:TRAP_HANDLER: 0
; COMPUTE_PGM_RSRC2:TGID_X_EN: 1
; COMPUTE_PGM_RSRC2:TGID_Y_EN: 0
; COMPUTE_PGM_RSRC2:TGID_Z_EN: 0
; COMPUTE_PGM_RSRC2:TIDIG_COMP_CNT: 0
	.section	.text._ZN9rocsparseL19gebsrmvn_3xn_kernelILj128ELj5ELj16EdEEvi20rocsparse_direction_NS_24const_host_device_scalarIT2_EEPKiS6_PKS3_S8_S4_PS3_21rocsparse_index_base_b,"axG",@progbits,_ZN9rocsparseL19gebsrmvn_3xn_kernelILj128ELj5ELj16EdEEvi20rocsparse_direction_NS_24const_host_device_scalarIT2_EEPKiS6_PKS3_S8_S4_PS3_21rocsparse_index_base_b,comdat
	.globl	_ZN9rocsparseL19gebsrmvn_3xn_kernelILj128ELj5ELj16EdEEvi20rocsparse_direction_NS_24const_host_device_scalarIT2_EEPKiS6_PKS3_S8_S4_PS3_21rocsparse_index_base_b ; -- Begin function _ZN9rocsparseL19gebsrmvn_3xn_kernelILj128ELj5ELj16EdEEvi20rocsparse_direction_NS_24const_host_device_scalarIT2_EEPKiS6_PKS3_S8_S4_PS3_21rocsparse_index_base_b
	.p2align	8
	.type	_ZN9rocsparseL19gebsrmvn_3xn_kernelILj128ELj5ELj16EdEEvi20rocsparse_direction_NS_24const_host_device_scalarIT2_EEPKiS6_PKS3_S8_S4_PS3_21rocsparse_index_base_b,@function
_ZN9rocsparseL19gebsrmvn_3xn_kernelILj128ELj5ELj16EdEEvi20rocsparse_direction_NS_24const_host_device_scalarIT2_EEPKiS6_PKS3_S8_S4_PS3_21rocsparse_index_base_b: ; @_ZN9rocsparseL19gebsrmvn_3xn_kernelILj128ELj5ELj16EdEEvi20rocsparse_direction_NS_24const_host_device_scalarIT2_EEPKiS6_PKS3_S8_S4_PS3_21rocsparse_index_base_b
; %bb.0:
	s_clause 0x2
	s_load_b64 s[12:13], s[0:1], 0x40
	s_load_b64 s[4:5], s[0:1], 0x8
	s_load_b64 s[2:3], s[0:1], 0x30
	s_waitcnt lgkmcnt(0)
	s_bitcmp1_b32 s13, 0
	v_dual_mov_b32 v1, s4 :: v_dual_mov_b32 v2, s5
	s_cselect_b32 s6, -1, 0
	s_delay_alu instid0(SALU_CYCLE_1)
	s_and_b32 vcc_lo, exec_lo, s6
	s_xor_b32 s6, s6, -1
	s_cbranch_vccnz .LBB54_2
; %bb.1:
	v_dual_mov_b32 v1, s4 :: v_dual_mov_b32 v2, s5
	flat_load_b64 v[1:2], v[1:2]
.LBB54_2:
	v_dual_mov_b32 v4, s3 :: v_dual_mov_b32 v3, s2
	s_and_not1_b32 vcc_lo, exec_lo, s6
	s_cbranch_vccnz .LBB54_4
; %bb.3:
	v_dual_mov_b32 v4, s3 :: v_dual_mov_b32 v3, s2
	flat_load_b64 v[3:4], v[3:4]
.LBB54_4:
	s_waitcnt vmcnt(0) lgkmcnt(0)
	v_cmp_neq_f64_e32 vcc_lo, 0, v[1:2]
	v_cmp_neq_f64_e64 s2, 1.0, v[3:4]
	s_delay_alu instid0(VALU_DEP_1) | instskip(NEXT) | instid1(SALU_CYCLE_1)
	s_or_b32 s2, vcc_lo, s2
	s_and_saveexec_b32 s3, s2
	s_cbranch_execz .LBB54_23
; %bb.5:
	s_load_b64 s[2:3], s[0:1], 0x0
	v_lshrrev_b32_e32 v5, 4, v0
	s_delay_alu instid0(VALU_DEP_1) | instskip(SKIP_1) | instid1(VALU_DEP_1)
	v_lshl_or_b32 v5, s15, 3, v5
	s_waitcnt lgkmcnt(0)
	v_cmp_gt_i32_e32 vcc_lo, s2, v5
	s_and_b32 exec_lo, exec_lo, vcc_lo
	s_cbranch_execz .LBB54_23
; %bb.6:
	s_load_b256 s[4:11], s[0:1], 0x10
	v_ashrrev_i32_e32 v6, 31, v5
	v_and_b32_e32 v0, 15, v0
	s_cmp_lg_u32 s3, 0
	s_delay_alu instid0(VALU_DEP_2) | instskip(SKIP_1) | instid1(VALU_DEP_1)
	v_lshlrev_b64 v[6:7], 2, v[5:6]
	s_waitcnt lgkmcnt(0)
	v_add_co_u32 v6, vcc_lo, s4, v6
	s_delay_alu instid0(VALU_DEP_2) | instskip(SKIP_4) | instid1(VALU_DEP_2)
	v_add_co_ci_u32_e32 v7, vcc_lo, s5, v7, vcc_lo
	global_load_b64 v[6:7], v[6:7], off
	s_waitcnt vmcnt(0)
	v_subrev_nc_u32_e32 v6, s12, v6
	v_subrev_nc_u32_e32 v19, s12, v7
	v_add_nc_u32_e32 v12, v6, v0
	s_delay_alu instid0(VALU_DEP_1)
	v_cmp_lt_i32_e64 s2, v12, v19
	s_cbranch_scc0 .LBB54_12
; %bb.7:
	v_mov_b32_e32 v6, 0
	v_mov_b32_e32 v7, 0
	s_delay_alu instid0(VALU_DEP_1)
	v_dual_mov_b32 v9, v7 :: v_dual_mov_b32 v8, v6
	v_dual_mov_b32 v11, v7 :: v_dual_mov_b32 v10, v6
	s_and_saveexec_b32 s3, s2
	s_cbranch_execz .LBB54_11
; %bb.8:
	v_dual_mov_b32 v6, 0 :: v_dual_mov_b32 v17, v12
	v_dual_mov_b32 v7, 0 :: v_dual_mov_b32 v16, 0
	v_mad_u64_u32 v[13:14], null, v12, 15, 14
	s_mov_b32 s4, 0
	s_delay_alu instid0(VALU_DEP_2)
	v_dual_mov_b32 v9, v7 :: v_dual_mov_b32 v8, v6
	v_dual_mov_b32 v11, v7 :: v_dual_mov_b32 v10, v6
.LBB54_9:                               ; =>This Inner Loop Header: Depth=1
	v_ashrrev_i32_e32 v18, 31, v17
	v_mov_b32_e32 v21, v16
	s_delay_alu instid0(VALU_DEP_2) | instskip(SKIP_1) | instid1(VALU_DEP_2)
	v_lshlrev_b64 v[14:15], 2, v[17:18]
	v_add_nc_u32_e32 v17, 16, v17
	v_add_co_u32 v14, vcc_lo, s6, v14
	s_delay_alu instid0(VALU_DEP_3) | instskip(SKIP_2) | instid1(VALU_DEP_1)
	v_add_co_ci_u32_e32 v15, vcc_lo, s7, v15, vcc_lo
	global_load_b32 v18, v[14:15], off
	v_dual_mov_b32 v14, v16 :: v_dual_add_nc_u32 v15, -14, v13
	v_lshlrev_b64 v[22:23], 3, v[15:16]
	v_add_nc_u32_e32 v15, -13, v13
	s_delay_alu instid0(VALU_DEP_1) | instskip(SKIP_1) | instid1(VALU_DEP_4)
	v_lshlrev_b64 v[24:25], 3, v[15:16]
	v_add_nc_u32_e32 v15, -12, v13
	v_add_co_u32 v22, vcc_lo, s8, v22
	v_add_co_ci_u32_e32 v23, vcc_lo, s9, v23, vcc_lo
	s_delay_alu instid0(VALU_DEP_3)
	v_lshlrev_b64 v[26:27], 3, v[15:16]
	v_add_co_u32 v24, vcc_lo, s8, v24
	v_add_co_ci_u32_e32 v25, vcc_lo, s9, v25, vcc_lo
	global_load_b64 v[22:23], v[22:23], off
	v_add_co_u32 v26, vcc_lo, s8, v26
	v_add_co_ci_u32_e32 v27, vcc_lo, s9, v27, vcc_lo
	v_add_nc_u32_e32 v15, -11, v13
	s_delay_alu instid0(VALU_DEP_1) | instskip(SKIP_2) | instid1(VALU_DEP_1)
	v_lshlrev_b64 v[30:31], 3, v[15:16]
	s_waitcnt vmcnt(1)
	v_subrev_nc_u32_e32 v18, s12, v18
	v_lshl_add_u32 v20, v18, 2, v18
	s_delay_alu instid0(VALU_DEP_1) | instskip(SKIP_1) | instid1(VALU_DEP_1)
	v_lshlrev_b64 v[28:29], 3, v[20:21]
	v_add_nc_u32_e32 v15, 1, v20
	v_lshlrev_b64 v[32:33], 3, v[15:16]
	s_delay_alu instid0(VALU_DEP_3) | instskip(NEXT) | instid1(VALU_DEP_4)
	v_add_co_u32 v28, vcc_lo, s10, v28
	v_add_co_ci_u32_e32 v29, vcc_lo, s11, v29, vcc_lo
	s_clause 0x1
	global_load_b64 v[24:25], v[24:25], off
	global_load_b64 v[26:27], v[26:27], off
	;; [unrolled: 1-line block ×3, first 2 shown]
	v_add_nc_u32_e32 v15, -10, v13
	v_add_co_u32 v30, vcc_lo, s8, v30
	v_add_co_ci_u32_e32 v31, vcc_lo, s9, v31, vcc_lo
	s_delay_alu instid0(VALU_DEP_3) | instskip(SKIP_3) | instid1(VALU_DEP_3)
	v_lshlrev_b64 v[34:35], 3, v[15:16]
	v_add_nc_u32_e32 v15, -9, v13
	v_add_co_u32 v32, vcc_lo, s10, v32
	v_add_co_ci_u32_e32 v33, vcc_lo, s11, v33, vcc_lo
	v_lshlrev_b64 v[36:37], 3, v[15:16]
	v_add_co_u32 v34, vcc_lo, s8, v34
	v_add_co_ci_u32_e32 v35, vcc_lo, s9, v35, vcc_lo
	global_load_b64 v[30:31], v[30:31], off
	v_add_co_u32 v36, vcc_lo, s8, v36
	v_add_co_ci_u32_e32 v37, vcc_lo, s9, v37, vcc_lo
	global_load_b64 v[32:33], v[32:33], off
	s_clause 0x1
	global_load_b64 v[34:35], v[34:35], off
	global_load_b64 v[36:37], v[36:37], off
	v_add_nc_u32_e32 v15, -8, v13
	s_delay_alu instid0(VALU_DEP_1) | instskip(SKIP_1) | instid1(VALU_DEP_1)
	v_lshlrev_b64 v[38:39], 3, v[15:16]
	v_add_nc_u32_e32 v15, 2, v20
	v_lshlrev_b64 v[40:41], 3, v[15:16]
	v_add_nc_u32_e32 v15, -7, v13
	s_delay_alu instid0(VALU_DEP_4) | instskip(SKIP_1) | instid1(VALU_DEP_3)
	v_add_co_u32 v38, vcc_lo, s8, v38
	v_add_co_ci_u32_e32 v39, vcc_lo, s9, v39, vcc_lo
	v_lshlrev_b64 v[42:43], 3, v[15:16]
	v_add_nc_u32_e32 v15, -6, v13
	v_add_co_u32 v40, vcc_lo, s10, v40
	v_add_co_ci_u32_e32 v41, vcc_lo, s11, v41, vcc_lo
	s_delay_alu instid0(VALU_DEP_3)
	v_lshlrev_b64 v[44:45], 3, v[15:16]
	v_add_co_u32 v42, vcc_lo, s8, v42
	v_add_co_ci_u32_e32 v43, vcc_lo, s9, v43, vcc_lo
	global_load_b64 v[38:39], v[38:39], off
	v_add_co_u32 v44, vcc_lo, s8, v44
	v_add_co_ci_u32_e32 v45, vcc_lo, s9, v45, vcc_lo
	global_load_b64 v[40:41], v[40:41], off
	s_clause 0x1
	global_load_b64 v[42:43], v[42:43], off
	global_load_b64 v[44:45], v[44:45], off
	v_add_nc_u32_e32 v15, -5, v13
	s_delay_alu instid0(VALU_DEP_1) | instskip(SKIP_1) | instid1(VALU_DEP_1)
	v_lshlrev_b64 v[46:47], 3, v[15:16]
	v_add_nc_u32_e32 v15, 3, v20
	v_lshlrev_b64 v[48:49], 3, v[15:16]
	v_add_nc_u32_e32 v15, -4, v13
	s_delay_alu instid0(VALU_DEP_4) | instskip(SKIP_1) | instid1(VALU_DEP_3)
	v_add_co_u32 v46, vcc_lo, s8, v46
	v_add_co_ci_u32_e32 v47, vcc_lo, s9, v47, vcc_lo
	v_lshlrev_b64 v[50:51], 3, v[15:16]
	v_add_nc_u32_e32 v15, -3, v13
	v_add_co_u32 v48, vcc_lo, s10, v48
	v_add_co_ci_u32_e32 v49, vcc_lo, s11, v49, vcc_lo
	s_delay_alu instid0(VALU_DEP_3)
	v_lshlrev_b64 v[52:53], 3, v[15:16]
	v_add_co_u32 v50, vcc_lo, s8, v50
	v_add_co_ci_u32_e32 v51, vcc_lo, s9, v51, vcc_lo
	global_load_b64 v[46:47], v[46:47], off
	v_add_co_u32 v52, vcc_lo, s8, v52
	v_add_co_ci_u32_e32 v53, vcc_lo, s9, v53, vcc_lo
	global_load_b64 v[48:49], v[48:49], off
	s_clause 0x1
	global_load_b64 v[50:51], v[50:51], off
	global_load_b64 v[52:53], v[52:53], off
	v_lshlrev_b64 v[14:15], 3, v[13:14]
	s_delay_alu instid0(VALU_DEP_1) | instskip(NEXT) | instid1(VALU_DEP_2)
	v_add_co_u32 v54, vcc_lo, s8, v14
	v_add_co_ci_u32_e32 v55, vcc_lo, s9, v15, vcc_lo
	v_add_nc_u32_e32 v15, -2, v13
	s_delay_alu instid0(VALU_DEP_1) | instskip(SKIP_1) | instid1(VALU_DEP_1)
	v_lshlrev_b64 v[56:57], 3, v[15:16]
	v_add_nc_u32_e32 v15, 4, v20
	v_lshlrev_b64 v[20:21], 3, v[15:16]
	v_add_nc_u32_e32 v15, -1, v13
	s_delay_alu instid0(VALU_DEP_4) | instskip(SKIP_1) | instid1(VALU_DEP_3)
	v_add_co_u32 v56, vcc_lo, s8, v56
	v_add_co_ci_u32_e32 v57, vcc_lo, s9, v57, vcc_lo
	v_lshlrev_b64 v[14:15], 3, v[15:16]
	v_add_co_u32 v20, vcc_lo, s10, v20
	v_add_co_ci_u32_e32 v21, vcc_lo, s11, v21, vcc_lo
	v_add_nc_u32_e32 v13, 0xf0, v13
	s_delay_alu instid0(VALU_DEP_4)
	v_add_co_u32 v14, vcc_lo, s8, v14
	v_add_co_ci_u32_e32 v15, vcc_lo, s9, v15, vcc_lo
	global_load_b64 v[56:57], v[56:57], off
	global_load_b64 v[20:21], v[20:21], off
	s_clause 0x1
	global_load_b64 v[14:15], v[14:15], off
	global_load_b64 v[54:55], v[54:55], off
	v_cmp_ge_i32_e32 vcc_lo, v17, v19
	s_or_b32 s4, vcc_lo, s4
	s_waitcnt vmcnt(16)
	v_fma_f64 v[6:7], v[22:23], v[28:29], v[6:7]
	v_fma_f64 v[10:11], v[24:25], v[28:29], v[10:11]
	;; [unrolled: 1-line block ×3, first 2 shown]
	s_waitcnt vmcnt(14)
	s_delay_alu instid0(VALU_DEP_3) | instskip(SKIP_1) | instid1(VALU_DEP_3)
	v_fma_f64 v[6:7], v[30:31], v[32:33], v[6:7]
	s_waitcnt vmcnt(13)
	v_fma_f64 v[10:11], v[34:35], v[32:33], v[10:11]
	s_waitcnt vmcnt(12)
	s_delay_alu instid0(VALU_DEP_3) | instskip(SKIP_1) | instid1(VALU_DEP_3)
	v_fma_f64 v[8:9], v[36:37], v[32:33], v[8:9]
	s_waitcnt vmcnt(10)
	v_fma_f64 v[6:7], v[38:39], v[40:41], v[6:7]
	;; [unrolled: 5-line block ×6, first 2 shown]
	s_and_not1_b32 exec_lo, exec_lo, s4
	s_cbranch_execnz .LBB54_9
; %bb.10:
	s_or_b32 exec_lo, exec_lo, s4
.LBB54_11:
	s_delay_alu instid0(SALU_CYCLE_1)
	s_or_b32 exec_lo, exec_lo, s3
	s_cbranch_execz .LBB54_13
	s_branch .LBB54_18
.LBB54_12:
                                        ; implicit-def: $vgpr6_vgpr7
                                        ; implicit-def: $vgpr8_vgpr9
                                        ; implicit-def: $vgpr10_vgpr11
.LBB54_13:
	v_mov_b32_e32 v6, 0
	v_mov_b32_e32 v7, 0
	s_delay_alu instid0(VALU_DEP_1)
	v_dual_mov_b32 v9, v7 :: v_dual_mov_b32 v8, v6
	v_dual_mov_b32 v11, v7 :: v_dual_mov_b32 v10, v6
	s_and_saveexec_b32 s3, s2
	s_cbranch_execz .LBB54_17
; %bb.14:
	v_dual_mov_b32 v6, 0 :: v_dual_mov_b32 v17, 0
	v_mov_b32_e32 v7, 0
	v_mad_u64_u32 v[14:15], null, v12, 15, 14
	s_mov_b32 s2, 0
	s_delay_alu instid0(VALU_DEP_2)
	v_dual_mov_b32 v9, v7 :: v_dual_mov_b32 v8, v6
	v_dual_mov_b32 v11, v7 :: v_dual_mov_b32 v10, v6
.LBB54_15:                              ; =>This Inner Loop Header: Depth=1
	v_ashrrev_i32_e32 v13, 31, v12
	s_delay_alu instid0(VALU_DEP_4) | instskip(SKIP_2) | instid1(VALU_DEP_4)
	v_dual_mov_b32 v23, v17 :: v_dual_add_nc_u32 v20, -9, v14
	v_add_nc_u32_e32 v22, -4, v14
	v_mov_b32_e32 v24, v17
	v_lshlrev_b64 v[15:16], 2, v[12:13]
	v_dual_mov_b32 v21, v17 :: v_dual_add_nc_u32 v12, 16, v12
	s_delay_alu instid0(VALU_DEP_2) | instskip(NEXT) | instid1(VALU_DEP_3)
	v_add_co_u32 v15, vcc_lo, s6, v15
	v_add_co_ci_u32_e32 v16, vcc_lo, s7, v16, vcc_lo
	s_delay_alu instid0(VALU_DEP_3) | instskip(SKIP_3) | instid1(VALU_DEP_2)
	v_lshlrev_b64 v[20:21], 3, v[20:21]
	global_load_b32 v13, v[15:16], off
	v_dual_mov_b32 v15, v17 :: v_dual_add_nc_u32 v16, -14, v14
	v_lshlrev_b64 v[22:23], 3, v[22:23]
	v_lshlrev_b64 v[25:26], 3, v[16:17]
	v_add_nc_u32_e32 v16, -13, v14
	s_delay_alu instid0(VALU_DEP_1) | instskip(NEXT) | instid1(VALU_DEP_3)
	v_lshlrev_b64 v[31:32], 3, v[16:17]
	v_add_co_u32 v25, vcc_lo, s8, v25
	s_delay_alu instid0(VALU_DEP_4)
	v_add_co_ci_u32_e32 v26, vcc_lo, s9, v26, vcc_lo
	v_add_co_u32 v20, vcc_lo, s8, v20
	v_add_co_ci_u32_e32 v21, vcc_lo, s9, v21, vcc_lo
	v_add_co_u32 v27, vcc_lo, s8, v22
	v_add_co_ci_u32_e32 v28, vcc_lo, s9, v23, vcc_lo
	global_load_b64 v[25:26], v[25:26], off
	s_waitcnt vmcnt(1)
	v_subrev_nc_u32_e32 v13, s12, v13
	s_delay_alu instid0(VALU_DEP_1) | instskip(NEXT) | instid1(VALU_DEP_1)
	v_lshl_add_u32 v23, v13, 2, v13
	v_lshlrev_b64 v[29:30], 3, v[23:24]
	v_add_nc_u32_e32 v16, 1, v23
	s_delay_alu instid0(VALU_DEP_1) | instskip(NEXT) | instid1(VALU_DEP_3)
	v_lshlrev_b64 v[33:34], 3, v[16:17]
	v_add_co_u32 v29, vcc_lo, s10, v29
	s_delay_alu instid0(VALU_DEP_4)
	v_add_co_ci_u32_e32 v30, vcc_lo, s11, v30, vcc_lo
	s_clause 0x1
	global_load_b64 v[20:21], v[20:21], off
	global_load_b64 v[27:28], v[27:28], off
	;; [unrolled: 1-line block ×3, first 2 shown]
	v_add_nc_u32_e32 v16, -8, v14
	v_add_co_u32 v31, vcc_lo, s8, v31
	v_add_co_ci_u32_e32 v32, vcc_lo, s9, v32, vcc_lo
	s_delay_alu instid0(VALU_DEP_3) | instskip(SKIP_3) | instid1(VALU_DEP_3)
	v_lshlrev_b64 v[35:36], 3, v[16:17]
	v_add_nc_u32_e32 v16, -3, v14
	v_add_co_u32 v33, vcc_lo, s10, v33
	v_add_co_ci_u32_e32 v34, vcc_lo, s11, v34, vcc_lo
	v_lshlrev_b64 v[37:38], 3, v[16:17]
	v_add_co_u32 v35, vcc_lo, s8, v35
	v_add_co_ci_u32_e32 v36, vcc_lo, s9, v36, vcc_lo
	global_load_b64 v[31:32], v[31:32], off
	v_add_co_u32 v37, vcc_lo, s8, v37
	v_add_co_ci_u32_e32 v38, vcc_lo, s9, v38, vcc_lo
	global_load_b64 v[33:34], v[33:34], off
	s_clause 0x1
	global_load_b64 v[35:36], v[35:36], off
	global_load_b64 v[37:38], v[37:38], off
	v_add_nc_u32_e32 v16, -12, v14
	s_delay_alu instid0(VALU_DEP_1) | instskip(SKIP_1) | instid1(VALU_DEP_1)
	v_lshlrev_b64 v[39:40], 3, v[16:17]
	v_add_nc_u32_e32 v16, 2, v23
	v_lshlrev_b64 v[41:42], 3, v[16:17]
	v_add_nc_u32_e32 v16, -7, v14
	s_delay_alu instid0(VALU_DEP_4) | instskip(SKIP_1) | instid1(VALU_DEP_3)
	v_add_co_u32 v39, vcc_lo, s8, v39
	v_add_co_ci_u32_e32 v40, vcc_lo, s9, v40, vcc_lo
	v_lshlrev_b64 v[43:44], 3, v[16:17]
	v_add_nc_u32_e32 v16, -2, v14
	v_add_co_u32 v41, vcc_lo, s10, v41
	v_add_co_ci_u32_e32 v42, vcc_lo, s11, v42, vcc_lo
	s_delay_alu instid0(VALU_DEP_3)
	v_lshlrev_b64 v[45:46], 3, v[16:17]
	v_add_co_u32 v43, vcc_lo, s8, v43
	v_add_co_ci_u32_e32 v44, vcc_lo, s9, v44, vcc_lo
	global_load_b64 v[39:40], v[39:40], off
	v_add_co_u32 v45, vcc_lo, s8, v45
	v_add_co_ci_u32_e32 v46, vcc_lo, s9, v46, vcc_lo
	global_load_b64 v[41:42], v[41:42], off
	s_clause 0x1
	global_load_b64 v[43:44], v[43:44], off
	global_load_b64 v[45:46], v[45:46], off
	v_add_nc_u32_e32 v16, -11, v14
	s_delay_alu instid0(VALU_DEP_1) | instskip(SKIP_1) | instid1(VALU_DEP_1)
	v_lshlrev_b64 v[47:48], 3, v[16:17]
	v_add_nc_u32_e32 v16, 3, v23
	v_lshlrev_b64 v[49:50], 3, v[16:17]
	v_add_nc_u32_e32 v16, -6, v14
	s_delay_alu instid0(VALU_DEP_4) | instskip(SKIP_1) | instid1(VALU_DEP_3)
	v_add_co_u32 v47, vcc_lo, s8, v47
	v_add_co_ci_u32_e32 v48, vcc_lo, s9, v48, vcc_lo
	v_lshlrev_b64 v[51:52], 3, v[16:17]
	v_add_nc_u32_e32 v16, -1, v14
	v_add_co_u32 v49, vcc_lo, s10, v49
	v_add_co_ci_u32_e32 v50, vcc_lo, s11, v50, vcc_lo
	s_delay_alu instid0(VALU_DEP_3)
	v_lshlrev_b64 v[53:54], 3, v[16:17]
	v_add_co_u32 v51, vcc_lo, s8, v51
	v_add_co_ci_u32_e32 v52, vcc_lo, s9, v52, vcc_lo
	global_load_b64 v[47:48], v[47:48], off
	v_add_co_u32 v53, vcc_lo, s8, v53
	v_add_co_ci_u32_e32 v54, vcc_lo, s9, v54, vcc_lo
	global_load_b64 v[49:50], v[49:50], off
	s_clause 0x1
	global_load_b64 v[51:52], v[51:52], off
	global_load_b64 v[53:54], v[53:54], off
	v_lshlrev_b64 v[15:16], 3, v[14:15]
	s_delay_alu instid0(VALU_DEP_1) | instskip(NEXT) | instid1(VALU_DEP_2)
	v_add_co_u32 v55, vcc_lo, s8, v15
	v_add_co_ci_u32_e32 v56, vcc_lo, s9, v16, vcc_lo
	v_add_nc_u32_e32 v16, -10, v14
	s_delay_alu instid0(VALU_DEP_1) | instskip(SKIP_1) | instid1(VALU_DEP_1)
	v_lshlrev_b64 v[57:58], 3, v[16:17]
	v_add_nc_u32_e32 v16, 4, v23
	v_lshlrev_b64 v[22:23], 3, v[16:17]
	v_add_nc_u32_e32 v16, -5, v14
	s_delay_alu instid0(VALU_DEP_4) | instskip(SKIP_1) | instid1(VALU_DEP_3)
	v_add_co_u32 v57, vcc_lo, s8, v57
	v_add_co_ci_u32_e32 v58, vcc_lo, s9, v58, vcc_lo
	v_lshlrev_b64 v[15:16], 3, v[16:17]
	v_add_co_u32 v22, vcc_lo, s10, v22
	v_add_co_ci_u32_e32 v23, vcc_lo, s11, v23, vcc_lo
	v_add_nc_u32_e32 v14, 0xf0, v14
	s_delay_alu instid0(VALU_DEP_4)
	v_add_co_u32 v15, vcc_lo, s8, v15
	v_add_co_ci_u32_e32 v16, vcc_lo, s9, v16, vcc_lo
	global_load_b64 v[57:58], v[57:58], off
	global_load_b64 v[22:23], v[22:23], off
	s_clause 0x1
	global_load_b64 v[15:16], v[15:16], off
	global_load_b64 v[55:56], v[55:56], off
	v_cmp_ge_i32_e32 vcc_lo, v12, v19
	s_or_b32 s2, vcc_lo, s2
	s_waitcnt vmcnt(16)
	v_fma_f64 v[6:7], v[25:26], v[29:30], v[6:7]
	v_fma_f64 v[10:11], v[20:21], v[29:30], v[10:11]
	;; [unrolled: 1-line block ×3, first 2 shown]
	s_waitcnt vmcnt(14)
	s_delay_alu instid0(VALU_DEP_3) | instskip(SKIP_1) | instid1(VALU_DEP_3)
	v_fma_f64 v[6:7], v[31:32], v[33:34], v[6:7]
	s_waitcnt vmcnt(13)
	v_fma_f64 v[10:11], v[35:36], v[33:34], v[10:11]
	s_waitcnt vmcnt(12)
	s_delay_alu instid0(VALU_DEP_3) | instskip(SKIP_1) | instid1(VALU_DEP_3)
	v_fma_f64 v[8:9], v[37:38], v[33:34], v[8:9]
	s_waitcnt vmcnt(10)
	v_fma_f64 v[6:7], v[39:40], v[41:42], v[6:7]
	;; [unrolled: 5-line block ×6, first 2 shown]
	s_and_not1_b32 exec_lo, exec_lo, s2
	s_cbranch_execnz .LBB54_15
; %bb.16:
	s_or_b32 exec_lo, exec_lo, s2
.LBB54_17:
	s_delay_alu instid0(SALU_CYCLE_1)
	s_or_b32 exec_lo, exec_lo, s3
.LBB54_18:
	v_mbcnt_lo_u32_b32 v18, -1, 0
	s_delay_alu instid0(VALU_DEP_1) | instskip(NEXT) | instid1(VALU_DEP_1)
	v_xor_b32_e32 v12, 8, v18
	v_cmp_gt_i32_e32 vcc_lo, 32, v12
	v_cndmask_b32_e32 v12, v18, v12, vcc_lo
	s_delay_alu instid0(VALU_DEP_1)
	v_lshlrev_b32_e32 v17, 2, v12
	ds_bpermute_b32 v12, v17, v6
	ds_bpermute_b32 v13, v17, v7
	;; [unrolled: 1-line block ×6, first 2 shown]
	s_waitcnt lgkmcnt(4)
	v_add_f64 v[6:7], v[6:7], v[12:13]
	v_xor_b32_e32 v12, 4, v18
	s_waitcnt lgkmcnt(2)
	v_add_f64 v[10:11], v[10:11], v[14:15]
	s_waitcnt lgkmcnt(0)
	v_add_f64 v[8:9], v[8:9], v[16:17]
	v_cmp_gt_i32_e32 vcc_lo, 32, v12
	v_cndmask_b32_e32 v12, v18, v12, vcc_lo
	s_delay_alu instid0(VALU_DEP_1)
	v_lshlrev_b32_e32 v17, 2, v12
	ds_bpermute_b32 v12, v17, v6
	ds_bpermute_b32 v13, v17, v7
	;; [unrolled: 1-line block ×6, first 2 shown]
	s_waitcnt lgkmcnt(4)
	v_add_f64 v[6:7], v[6:7], v[12:13]
	s_waitcnt lgkmcnt(2)
	v_add_f64 v[10:11], v[10:11], v[14:15]
	;; [unrolled: 2-line block ×3, first 2 shown]
	v_xor_b32_e32 v8, 2, v18
	s_delay_alu instid0(VALU_DEP_1) | instskip(SKIP_1) | instid1(VALU_DEP_1)
	v_cmp_gt_i32_e32 vcc_lo, 32, v8
	v_cndmask_b32_e32 v8, v18, v8, vcc_lo
	v_lshlrev_b32_e32 v17, 2, v8
	ds_bpermute_b32 v8, v17, v6
	ds_bpermute_b32 v9, v17, v7
	;; [unrolled: 1-line block ×6, first 2 shown]
	s_waitcnt lgkmcnt(4)
	v_add_f64 v[8:9], v[6:7], v[8:9]
	s_waitcnt lgkmcnt(2)
	v_add_f64 v[6:7], v[10:11], v[14:15]
	v_xor_b32_e32 v10, 1, v18
	s_waitcnt lgkmcnt(0)
	v_add_f64 v[12:13], v[12:13], v[16:17]
	s_delay_alu instid0(VALU_DEP_2) | instskip(SKIP_2) | instid1(VALU_DEP_2)
	v_cmp_gt_i32_e32 vcc_lo, 32, v10
	v_cndmask_b32_e32 v10, v18, v10, vcc_lo
	v_cmp_eq_u32_e32 vcc_lo, 15, v0
	v_lshlrev_b32_e32 v15, 2, v10
	ds_bpermute_b32 v10, v15, v8
	ds_bpermute_b32 v11, v15, v9
	;; [unrolled: 1-line block ×6, first 2 shown]
	s_and_b32 exec_lo, exec_lo, vcc_lo
	s_cbranch_execz .LBB54_23
; %bb.19:
	s_waitcnt lgkmcnt(4)
	v_add_f64 v[10:11], v[8:9], v[10:11]
	s_waitcnt lgkmcnt(2)
	v_add_f64 v[8:9], v[6:7], v[16:17]
	;; [unrolled: 2-line block ×3, first 2 shown]
	s_load_b64 s[0:1], s[0:1], 0x38
	s_mov_b32 s2, exec_lo
	v_cmpx_eq_f64_e32 0, v[3:4]
	s_xor_b32 s2, exec_lo, s2
	s_cbranch_execz .LBB54_21
; %bb.20:
	s_delay_alu instid0(VALU_DEP_4) | instskip(NEXT) | instid1(VALU_DEP_4)
	v_mul_f64 v[10:11], v[1:2], v[10:11]
	v_mul_f64 v[12:13], v[1:2], v[8:9]
	s_delay_alu instid0(VALU_DEP_4) | instskip(SKIP_1) | instid1(VALU_DEP_1)
	v_mul_f64 v[0:1], v[1:2], v[6:7]
	v_lshl_add_u32 v2, v5, 1, v5
                                        ; implicit-def: $vgpr5
                                        ; implicit-def: $vgpr8_vgpr9
                                        ; implicit-def: $vgpr6_vgpr7
	v_ashrrev_i32_e32 v3, 31, v2
	s_delay_alu instid0(VALU_DEP_1) | instskip(SKIP_1) | instid1(VALU_DEP_1)
	v_lshlrev_b64 v[2:3], 3, v[2:3]
	s_waitcnt lgkmcnt(0)
	v_add_co_u32 v2, vcc_lo, s0, v2
	s_delay_alu instid0(VALU_DEP_2)
	v_add_co_ci_u32_e32 v3, vcc_lo, s1, v3, vcc_lo
	s_clause 0x1
	global_store_b128 v[2:3], v[10:13], off
	global_store_b64 v[2:3], v[0:1], off offset:16
                                        ; implicit-def: $vgpr1_vgpr2
                                        ; implicit-def: $vgpr10_vgpr11
                                        ; implicit-def: $vgpr3_vgpr4
.LBB54_21:
	s_and_not1_saveexec_b32 s2, s2
	s_cbranch_execz .LBB54_23
; %bb.22:
	v_lshl_add_u32 v12, v5, 1, v5
	v_mul_f64 v[10:11], v[1:2], v[10:11]
	v_mul_f64 v[8:9], v[1:2], v[8:9]
	v_mul_f64 v[0:1], v[1:2], v[6:7]
	s_delay_alu instid0(VALU_DEP_4) | instskip(NEXT) | instid1(VALU_DEP_1)
	v_ashrrev_i32_e32 v13, 31, v12
	v_lshlrev_b64 v[12:13], 3, v[12:13]
	s_waitcnt lgkmcnt(0)
	s_delay_alu instid0(VALU_DEP_1) | instskip(NEXT) | instid1(VALU_DEP_2)
	v_add_co_u32 v16, vcc_lo, s0, v12
	v_add_co_ci_u32_e32 v17, vcc_lo, s1, v13, vcc_lo
	s_clause 0x1
	global_load_b128 v[12:15], v[16:17], off
	global_load_b64 v[18:19], v[16:17], off offset:16
	s_waitcnt vmcnt(1)
	v_fma_f64 v[5:6], v[3:4], v[12:13], v[10:11]
	v_fma_f64 v[7:8], v[3:4], v[14:15], v[8:9]
	s_waitcnt vmcnt(0)
	v_fma_f64 v[0:1], v[3:4], v[18:19], v[0:1]
	s_clause 0x1
	global_store_b128 v[16:17], v[5:8], off
	global_store_b64 v[16:17], v[0:1], off offset:16
.LBB54_23:
	s_nop 0
	s_sendmsg sendmsg(MSG_DEALLOC_VGPRS)
	s_endpgm
	.section	.rodata,"a",@progbits
	.p2align	6, 0x0
	.amdhsa_kernel _ZN9rocsparseL19gebsrmvn_3xn_kernelILj128ELj5ELj16EdEEvi20rocsparse_direction_NS_24const_host_device_scalarIT2_EEPKiS6_PKS3_S8_S4_PS3_21rocsparse_index_base_b
		.amdhsa_group_segment_fixed_size 0
		.amdhsa_private_segment_fixed_size 0
		.amdhsa_kernarg_size 72
		.amdhsa_user_sgpr_count 15
		.amdhsa_user_sgpr_dispatch_ptr 0
		.amdhsa_user_sgpr_queue_ptr 0
		.amdhsa_user_sgpr_kernarg_segment_ptr 1
		.amdhsa_user_sgpr_dispatch_id 0
		.amdhsa_user_sgpr_private_segment_size 0
		.amdhsa_wavefront_size32 1
		.amdhsa_uses_dynamic_stack 0
		.amdhsa_enable_private_segment 0
		.amdhsa_system_sgpr_workgroup_id_x 1
		.amdhsa_system_sgpr_workgroup_id_y 0
		.amdhsa_system_sgpr_workgroup_id_z 0
		.amdhsa_system_sgpr_workgroup_info 0
		.amdhsa_system_vgpr_workitem_id 0
		.amdhsa_next_free_vgpr 59
		.amdhsa_next_free_sgpr 16
		.amdhsa_reserve_vcc 1
		.amdhsa_float_round_mode_32 0
		.amdhsa_float_round_mode_16_64 0
		.amdhsa_float_denorm_mode_32 3
		.amdhsa_float_denorm_mode_16_64 3
		.amdhsa_dx10_clamp 1
		.amdhsa_ieee_mode 1
		.amdhsa_fp16_overflow 0
		.amdhsa_workgroup_processor_mode 1
		.amdhsa_memory_ordered 1
		.amdhsa_forward_progress 0
		.amdhsa_shared_vgpr_count 0
		.amdhsa_exception_fp_ieee_invalid_op 0
		.amdhsa_exception_fp_denorm_src 0
		.amdhsa_exception_fp_ieee_div_zero 0
		.amdhsa_exception_fp_ieee_overflow 0
		.amdhsa_exception_fp_ieee_underflow 0
		.amdhsa_exception_fp_ieee_inexact 0
		.amdhsa_exception_int_div_zero 0
	.end_amdhsa_kernel
	.section	.text._ZN9rocsparseL19gebsrmvn_3xn_kernelILj128ELj5ELj16EdEEvi20rocsparse_direction_NS_24const_host_device_scalarIT2_EEPKiS6_PKS3_S8_S4_PS3_21rocsparse_index_base_b,"axG",@progbits,_ZN9rocsparseL19gebsrmvn_3xn_kernelILj128ELj5ELj16EdEEvi20rocsparse_direction_NS_24const_host_device_scalarIT2_EEPKiS6_PKS3_S8_S4_PS3_21rocsparse_index_base_b,comdat
.Lfunc_end54:
	.size	_ZN9rocsparseL19gebsrmvn_3xn_kernelILj128ELj5ELj16EdEEvi20rocsparse_direction_NS_24const_host_device_scalarIT2_EEPKiS6_PKS3_S8_S4_PS3_21rocsparse_index_base_b, .Lfunc_end54-_ZN9rocsparseL19gebsrmvn_3xn_kernelILj128ELj5ELj16EdEEvi20rocsparse_direction_NS_24const_host_device_scalarIT2_EEPKiS6_PKS3_S8_S4_PS3_21rocsparse_index_base_b
                                        ; -- End function
	.section	.AMDGPU.csdata,"",@progbits
; Kernel info:
; codeLenInByte = 3212
; NumSgprs: 18
; NumVgprs: 59
; ScratchSize: 0
; MemoryBound: 0
; FloatMode: 240
; IeeeMode: 1
; LDSByteSize: 0 bytes/workgroup (compile time only)
; SGPRBlocks: 2
; VGPRBlocks: 7
; NumSGPRsForWavesPerEU: 18
; NumVGPRsForWavesPerEU: 59
; Occupancy: 16
; WaveLimiterHint : 1
; COMPUTE_PGM_RSRC2:SCRATCH_EN: 0
; COMPUTE_PGM_RSRC2:USER_SGPR: 15
; COMPUTE_PGM_RSRC2:TRAP_HANDLER: 0
; COMPUTE_PGM_RSRC2:TGID_X_EN: 1
; COMPUTE_PGM_RSRC2:TGID_Y_EN: 0
; COMPUTE_PGM_RSRC2:TGID_Z_EN: 0
; COMPUTE_PGM_RSRC2:TIDIG_COMP_CNT: 0
	.section	.text._ZN9rocsparseL19gebsrmvn_3xn_kernelILj128ELj5ELj32EdEEvi20rocsparse_direction_NS_24const_host_device_scalarIT2_EEPKiS6_PKS3_S8_S4_PS3_21rocsparse_index_base_b,"axG",@progbits,_ZN9rocsparseL19gebsrmvn_3xn_kernelILj128ELj5ELj32EdEEvi20rocsparse_direction_NS_24const_host_device_scalarIT2_EEPKiS6_PKS3_S8_S4_PS3_21rocsparse_index_base_b,comdat
	.globl	_ZN9rocsparseL19gebsrmvn_3xn_kernelILj128ELj5ELj32EdEEvi20rocsparse_direction_NS_24const_host_device_scalarIT2_EEPKiS6_PKS3_S8_S4_PS3_21rocsparse_index_base_b ; -- Begin function _ZN9rocsparseL19gebsrmvn_3xn_kernelILj128ELj5ELj32EdEEvi20rocsparse_direction_NS_24const_host_device_scalarIT2_EEPKiS6_PKS3_S8_S4_PS3_21rocsparse_index_base_b
	.p2align	8
	.type	_ZN9rocsparseL19gebsrmvn_3xn_kernelILj128ELj5ELj32EdEEvi20rocsparse_direction_NS_24const_host_device_scalarIT2_EEPKiS6_PKS3_S8_S4_PS3_21rocsparse_index_base_b,@function
_ZN9rocsparseL19gebsrmvn_3xn_kernelILj128ELj5ELj32EdEEvi20rocsparse_direction_NS_24const_host_device_scalarIT2_EEPKiS6_PKS3_S8_S4_PS3_21rocsparse_index_base_b: ; @_ZN9rocsparseL19gebsrmvn_3xn_kernelILj128ELj5ELj32EdEEvi20rocsparse_direction_NS_24const_host_device_scalarIT2_EEPKiS6_PKS3_S8_S4_PS3_21rocsparse_index_base_b
; %bb.0:
	s_clause 0x2
	s_load_b64 s[12:13], s[0:1], 0x40
	s_load_b64 s[4:5], s[0:1], 0x8
	s_load_b64 s[2:3], s[0:1], 0x30
	s_waitcnt lgkmcnt(0)
	s_bitcmp1_b32 s13, 0
	v_dual_mov_b32 v1, s4 :: v_dual_mov_b32 v2, s5
	s_cselect_b32 s6, -1, 0
	s_delay_alu instid0(SALU_CYCLE_1)
	s_and_b32 vcc_lo, exec_lo, s6
	s_xor_b32 s6, s6, -1
	s_cbranch_vccnz .LBB55_2
; %bb.1:
	v_dual_mov_b32 v1, s4 :: v_dual_mov_b32 v2, s5
	flat_load_b64 v[1:2], v[1:2]
.LBB55_2:
	v_dual_mov_b32 v4, s3 :: v_dual_mov_b32 v3, s2
	s_and_not1_b32 vcc_lo, exec_lo, s6
	s_cbranch_vccnz .LBB55_4
; %bb.3:
	v_dual_mov_b32 v4, s3 :: v_dual_mov_b32 v3, s2
	flat_load_b64 v[3:4], v[3:4]
.LBB55_4:
	s_waitcnt vmcnt(0) lgkmcnt(0)
	v_cmp_neq_f64_e32 vcc_lo, 0, v[1:2]
	v_cmp_neq_f64_e64 s2, 1.0, v[3:4]
	s_delay_alu instid0(VALU_DEP_1) | instskip(NEXT) | instid1(SALU_CYCLE_1)
	s_or_b32 s2, vcc_lo, s2
	s_and_saveexec_b32 s3, s2
	s_cbranch_execz .LBB55_23
; %bb.5:
	s_load_b64 s[2:3], s[0:1], 0x0
	v_lshrrev_b32_e32 v5, 5, v0
	s_delay_alu instid0(VALU_DEP_1) | instskip(SKIP_1) | instid1(VALU_DEP_1)
	v_lshl_or_b32 v5, s15, 2, v5
	s_waitcnt lgkmcnt(0)
	v_cmp_gt_i32_e32 vcc_lo, s2, v5
	s_and_b32 exec_lo, exec_lo, vcc_lo
	s_cbranch_execz .LBB55_23
; %bb.6:
	s_load_b256 s[4:11], s[0:1], 0x10
	v_ashrrev_i32_e32 v6, 31, v5
	v_and_b32_e32 v0, 31, v0
	s_cmp_lg_u32 s3, 0
	s_delay_alu instid0(VALU_DEP_2) | instskip(SKIP_1) | instid1(VALU_DEP_1)
	v_lshlrev_b64 v[6:7], 2, v[5:6]
	s_waitcnt lgkmcnt(0)
	v_add_co_u32 v6, vcc_lo, s4, v6
	s_delay_alu instid0(VALU_DEP_2) | instskip(SKIP_4) | instid1(VALU_DEP_2)
	v_add_co_ci_u32_e32 v7, vcc_lo, s5, v7, vcc_lo
	global_load_b64 v[6:7], v[6:7], off
	s_waitcnt vmcnt(0)
	v_subrev_nc_u32_e32 v6, s12, v6
	v_subrev_nc_u32_e32 v19, s12, v7
	v_add_nc_u32_e32 v12, v6, v0
	s_delay_alu instid0(VALU_DEP_1)
	v_cmp_lt_i32_e64 s2, v12, v19
	s_cbranch_scc0 .LBB55_12
; %bb.7:
	v_mov_b32_e32 v6, 0
	v_mov_b32_e32 v7, 0
	s_delay_alu instid0(VALU_DEP_1)
	v_dual_mov_b32 v9, v7 :: v_dual_mov_b32 v8, v6
	v_dual_mov_b32 v11, v7 :: v_dual_mov_b32 v10, v6
	s_and_saveexec_b32 s3, s2
	s_cbranch_execz .LBB55_11
; %bb.8:
	v_dual_mov_b32 v6, 0 :: v_dual_mov_b32 v17, v12
	v_dual_mov_b32 v7, 0 :: v_dual_mov_b32 v16, 0
	v_mad_u64_u32 v[13:14], null, v12, 15, 14
	s_mov_b32 s4, 0
	s_delay_alu instid0(VALU_DEP_2)
	v_dual_mov_b32 v9, v7 :: v_dual_mov_b32 v8, v6
	v_dual_mov_b32 v11, v7 :: v_dual_mov_b32 v10, v6
.LBB55_9:                               ; =>This Inner Loop Header: Depth=1
	v_ashrrev_i32_e32 v18, 31, v17
	v_mov_b32_e32 v21, v16
	s_delay_alu instid0(VALU_DEP_2) | instskip(SKIP_1) | instid1(VALU_DEP_2)
	v_lshlrev_b64 v[14:15], 2, v[17:18]
	v_add_nc_u32_e32 v17, 32, v17
	v_add_co_u32 v14, vcc_lo, s6, v14
	s_delay_alu instid0(VALU_DEP_3) | instskip(SKIP_2) | instid1(VALU_DEP_1)
	v_add_co_ci_u32_e32 v15, vcc_lo, s7, v15, vcc_lo
	global_load_b32 v18, v[14:15], off
	v_dual_mov_b32 v14, v16 :: v_dual_add_nc_u32 v15, -14, v13
	v_lshlrev_b64 v[22:23], 3, v[15:16]
	v_add_nc_u32_e32 v15, -13, v13
	s_delay_alu instid0(VALU_DEP_1) | instskip(SKIP_1) | instid1(VALU_DEP_4)
	v_lshlrev_b64 v[24:25], 3, v[15:16]
	v_add_nc_u32_e32 v15, -12, v13
	v_add_co_u32 v22, vcc_lo, s8, v22
	v_add_co_ci_u32_e32 v23, vcc_lo, s9, v23, vcc_lo
	s_delay_alu instid0(VALU_DEP_3)
	v_lshlrev_b64 v[26:27], 3, v[15:16]
	v_add_co_u32 v24, vcc_lo, s8, v24
	v_add_co_ci_u32_e32 v25, vcc_lo, s9, v25, vcc_lo
	global_load_b64 v[22:23], v[22:23], off
	v_add_co_u32 v26, vcc_lo, s8, v26
	v_add_co_ci_u32_e32 v27, vcc_lo, s9, v27, vcc_lo
	v_add_nc_u32_e32 v15, -11, v13
	s_delay_alu instid0(VALU_DEP_1) | instskip(SKIP_2) | instid1(VALU_DEP_1)
	v_lshlrev_b64 v[30:31], 3, v[15:16]
	s_waitcnt vmcnt(1)
	v_subrev_nc_u32_e32 v18, s12, v18
	v_lshl_add_u32 v20, v18, 2, v18
	s_delay_alu instid0(VALU_DEP_1) | instskip(SKIP_1) | instid1(VALU_DEP_1)
	v_lshlrev_b64 v[28:29], 3, v[20:21]
	v_add_nc_u32_e32 v15, 1, v20
	v_lshlrev_b64 v[32:33], 3, v[15:16]
	s_delay_alu instid0(VALU_DEP_3) | instskip(NEXT) | instid1(VALU_DEP_4)
	v_add_co_u32 v28, vcc_lo, s10, v28
	v_add_co_ci_u32_e32 v29, vcc_lo, s11, v29, vcc_lo
	s_clause 0x1
	global_load_b64 v[24:25], v[24:25], off
	global_load_b64 v[26:27], v[26:27], off
	;; [unrolled: 1-line block ×3, first 2 shown]
	v_add_nc_u32_e32 v15, -10, v13
	v_add_co_u32 v30, vcc_lo, s8, v30
	v_add_co_ci_u32_e32 v31, vcc_lo, s9, v31, vcc_lo
	s_delay_alu instid0(VALU_DEP_3) | instskip(SKIP_3) | instid1(VALU_DEP_3)
	v_lshlrev_b64 v[34:35], 3, v[15:16]
	v_add_nc_u32_e32 v15, -9, v13
	v_add_co_u32 v32, vcc_lo, s10, v32
	v_add_co_ci_u32_e32 v33, vcc_lo, s11, v33, vcc_lo
	v_lshlrev_b64 v[36:37], 3, v[15:16]
	v_add_co_u32 v34, vcc_lo, s8, v34
	v_add_co_ci_u32_e32 v35, vcc_lo, s9, v35, vcc_lo
	global_load_b64 v[30:31], v[30:31], off
	v_add_co_u32 v36, vcc_lo, s8, v36
	v_add_co_ci_u32_e32 v37, vcc_lo, s9, v37, vcc_lo
	global_load_b64 v[32:33], v[32:33], off
	s_clause 0x1
	global_load_b64 v[34:35], v[34:35], off
	global_load_b64 v[36:37], v[36:37], off
	v_add_nc_u32_e32 v15, -8, v13
	s_delay_alu instid0(VALU_DEP_1) | instskip(SKIP_1) | instid1(VALU_DEP_1)
	v_lshlrev_b64 v[38:39], 3, v[15:16]
	v_add_nc_u32_e32 v15, 2, v20
	v_lshlrev_b64 v[40:41], 3, v[15:16]
	v_add_nc_u32_e32 v15, -7, v13
	s_delay_alu instid0(VALU_DEP_4) | instskip(SKIP_1) | instid1(VALU_DEP_3)
	v_add_co_u32 v38, vcc_lo, s8, v38
	v_add_co_ci_u32_e32 v39, vcc_lo, s9, v39, vcc_lo
	v_lshlrev_b64 v[42:43], 3, v[15:16]
	v_add_nc_u32_e32 v15, -6, v13
	v_add_co_u32 v40, vcc_lo, s10, v40
	v_add_co_ci_u32_e32 v41, vcc_lo, s11, v41, vcc_lo
	s_delay_alu instid0(VALU_DEP_3)
	v_lshlrev_b64 v[44:45], 3, v[15:16]
	v_add_co_u32 v42, vcc_lo, s8, v42
	v_add_co_ci_u32_e32 v43, vcc_lo, s9, v43, vcc_lo
	global_load_b64 v[38:39], v[38:39], off
	v_add_co_u32 v44, vcc_lo, s8, v44
	v_add_co_ci_u32_e32 v45, vcc_lo, s9, v45, vcc_lo
	global_load_b64 v[40:41], v[40:41], off
	s_clause 0x1
	global_load_b64 v[42:43], v[42:43], off
	global_load_b64 v[44:45], v[44:45], off
	v_add_nc_u32_e32 v15, -5, v13
	s_delay_alu instid0(VALU_DEP_1) | instskip(SKIP_1) | instid1(VALU_DEP_1)
	v_lshlrev_b64 v[46:47], 3, v[15:16]
	v_add_nc_u32_e32 v15, 3, v20
	v_lshlrev_b64 v[48:49], 3, v[15:16]
	v_add_nc_u32_e32 v15, -4, v13
	s_delay_alu instid0(VALU_DEP_4) | instskip(SKIP_1) | instid1(VALU_DEP_3)
	v_add_co_u32 v46, vcc_lo, s8, v46
	v_add_co_ci_u32_e32 v47, vcc_lo, s9, v47, vcc_lo
	v_lshlrev_b64 v[50:51], 3, v[15:16]
	v_add_nc_u32_e32 v15, -3, v13
	v_add_co_u32 v48, vcc_lo, s10, v48
	v_add_co_ci_u32_e32 v49, vcc_lo, s11, v49, vcc_lo
	s_delay_alu instid0(VALU_DEP_3)
	v_lshlrev_b64 v[52:53], 3, v[15:16]
	v_add_co_u32 v50, vcc_lo, s8, v50
	v_add_co_ci_u32_e32 v51, vcc_lo, s9, v51, vcc_lo
	global_load_b64 v[46:47], v[46:47], off
	v_add_co_u32 v52, vcc_lo, s8, v52
	v_add_co_ci_u32_e32 v53, vcc_lo, s9, v53, vcc_lo
	global_load_b64 v[48:49], v[48:49], off
	s_clause 0x1
	global_load_b64 v[50:51], v[50:51], off
	global_load_b64 v[52:53], v[52:53], off
	v_lshlrev_b64 v[14:15], 3, v[13:14]
	s_delay_alu instid0(VALU_DEP_1) | instskip(NEXT) | instid1(VALU_DEP_2)
	v_add_co_u32 v54, vcc_lo, s8, v14
	v_add_co_ci_u32_e32 v55, vcc_lo, s9, v15, vcc_lo
	v_add_nc_u32_e32 v15, -2, v13
	s_delay_alu instid0(VALU_DEP_1) | instskip(SKIP_1) | instid1(VALU_DEP_1)
	v_lshlrev_b64 v[56:57], 3, v[15:16]
	v_add_nc_u32_e32 v15, 4, v20
	v_lshlrev_b64 v[20:21], 3, v[15:16]
	v_add_nc_u32_e32 v15, -1, v13
	s_delay_alu instid0(VALU_DEP_4) | instskip(SKIP_1) | instid1(VALU_DEP_3)
	v_add_co_u32 v56, vcc_lo, s8, v56
	v_add_co_ci_u32_e32 v57, vcc_lo, s9, v57, vcc_lo
	v_lshlrev_b64 v[14:15], 3, v[15:16]
	v_add_co_u32 v20, vcc_lo, s10, v20
	v_add_co_ci_u32_e32 v21, vcc_lo, s11, v21, vcc_lo
	v_add_nc_u32_e32 v13, 0x1e0, v13
	s_delay_alu instid0(VALU_DEP_4)
	v_add_co_u32 v14, vcc_lo, s8, v14
	v_add_co_ci_u32_e32 v15, vcc_lo, s9, v15, vcc_lo
	global_load_b64 v[56:57], v[56:57], off
	global_load_b64 v[20:21], v[20:21], off
	s_clause 0x1
	global_load_b64 v[14:15], v[14:15], off
	global_load_b64 v[54:55], v[54:55], off
	v_cmp_ge_i32_e32 vcc_lo, v17, v19
	s_or_b32 s4, vcc_lo, s4
	s_waitcnt vmcnt(16)
	v_fma_f64 v[6:7], v[22:23], v[28:29], v[6:7]
	v_fma_f64 v[10:11], v[24:25], v[28:29], v[10:11]
	;; [unrolled: 1-line block ×3, first 2 shown]
	s_waitcnt vmcnt(14)
	s_delay_alu instid0(VALU_DEP_3) | instskip(SKIP_1) | instid1(VALU_DEP_3)
	v_fma_f64 v[6:7], v[30:31], v[32:33], v[6:7]
	s_waitcnt vmcnt(13)
	v_fma_f64 v[10:11], v[34:35], v[32:33], v[10:11]
	s_waitcnt vmcnt(12)
	s_delay_alu instid0(VALU_DEP_3) | instskip(SKIP_1) | instid1(VALU_DEP_3)
	v_fma_f64 v[8:9], v[36:37], v[32:33], v[8:9]
	s_waitcnt vmcnt(10)
	v_fma_f64 v[6:7], v[38:39], v[40:41], v[6:7]
	;; [unrolled: 5-line block ×6, first 2 shown]
	s_and_not1_b32 exec_lo, exec_lo, s4
	s_cbranch_execnz .LBB55_9
; %bb.10:
	s_or_b32 exec_lo, exec_lo, s4
.LBB55_11:
	s_delay_alu instid0(SALU_CYCLE_1)
	s_or_b32 exec_lo, exec_lo, s3
	s_cbranch_execz .LBB55_13
	s_branch .LBB55_18
.LBB55_12:
                                        ; implicit-def: $vgpr6_vgpr7
                                        ; implicit-def: $vgpr8_vgpr9
                                        ; implicit-def: $vgpr10_vgpr11
.LBB55_13:
	v_mov_b32_e32 v6, 0
	v_mov_b32_e32 v7, 0
	s_delay_alu instid0(VALU_DEP_1)
	v_dual_mov_b32 v9, v7 :: v_dual_mov_b32 v8, v6
	v_dual_mov_b32 v11, v7 :: v_dual_mov_b32 v10, v6
	s_and_saveexec_b32 s3, s2
	s_cbranch_execz .LBB55_17
; %bb.14:
	v_dual_mov_b32 v6, 0 :: v_dual_mov_b32 v17, 0
	v_mov_b32_e32 v7, 0
	v_mad_u64_u32 v[14:15], null, v12, 15, 14
	s_mov_b32 s2, 0
	s_delay_alu instid0(VALU_DEP_2)
	v_dual_mov_b32 v9, v7 :: v_dual_mov_b32 v8, v6
	v_dual_mov_b32 v11, v7 :: v_dual_mov_b32 v10, v6
.LBB55_15:                              ; =>This Inner Loop Header: Depth=1
	v_ashrrev_i32_e32 v13, 31, v12
	s_delay_alu instid0(VALU_DEP_4) | instskip(SKIP_2) | instid1(VALU_DEP_4)
	v_dual_mov_b32 v23, v17 :: v_dual_add_nc_u32 v20, -9, v14
	v_add_nc_u32_e32 v22, -4, v14
	v_mov_b32_e32 v24, v17
	v_lshlrev_b64 v[15:16], 2, v[12:13]
	v_dual_mov_b32 v21, v17 :: v_dual_add_nc_u32 v12, 32, v12
	s_delay_alu instid0(VALU_DEP_2) | instskip(NEXT) | instid1(VALU_DEP_3)
	v_add_co_u32 v15, vcc_lo, s6, v15
	v_add_co_ci_u32_e32 v16, vcc_lo, s7, v16, vcc_lo
	s_delay_alu instid0(VALU_DEP_3) | instskip(SKIP_3) | instid1(VALU_DEP_2)
	v_lshlrev_b64 v[20:21], 3, v[20:21]
	global_load_b32 v13, v[15:16], off
	v_dual_mov_b32 v15, v17 :: v_dual_add_nc_u32 v16, -14, v14
	v_lshlrev_b64 v[22:23], 3, v[22:23]
	v_lshlrev_b64 v[25:26], 3, v[16:17]
	v_add_nc_u32_e32 v16, -13, v14
	s_delay_alu instid0(VALU_DEP_1) | instskip(NEXT) | instid1(VALU_DEP_3)
	v_lshlrev_b64 v[31:32], 3, v[16:17]
	v_add_co_u32 v25, vcc_lo, s8, v25
	s_delay_alu instid0(VALU_DEP_4)
	v_add_co_ci_u32_e32 v26, vcc_lo, s9, v26, vcc_lo
	v_add_co_u32 v20, vcc_lo, s8, v20
	v_add_co_ci_u32_e32 v21, vcc_lo, s9, v21, vcc_lo
	v_add_co_u32 v27, vcc_lo, s8, v22
	v_add_co_ci_u32_e32 v28, vcc_lo, s9, v23, vcc_lo
	global_load_b64 v[25:26], v[25:26], off
	s_waitcnt vmcnt(1)
	v_subrev_nc_u32_e32 v13, s12, v13
	s_delay_alu instid0(VALU_DEP_1) | instskip(NEXT) | instid1(VALU_DEP_1)
	v_lshl_add_u32 v23, v13, 2, v13
	v_lshlrev_b64 v[29:30], 3, v[23:24]
	v_add_nc_u32_e32 v16, 1, v23
	s_delay_alu instid0(VALU_DEP_1) | instskip(NEXT) | instid1(VALU_DEP_3)
	v_lshlrev_b64 v[33:34], 3, v[16:17]
	v_add_co_u32 v29, vcc_lo, s10, v29
	s_delay_alu instid0(VALU_DEP_4)
	v_add_co_ci_u32_e32 v30, vcc_lo, s11, v30, vcc_lo
	s_clause 0x1
	global_load_b64 v[20:21], v[20:21], off
	global_load_b64 v[27:28], v[27:28], off
	;; [unrolled: 1-line block ×3, first 2 shown]
	v_add_nc_u32_e32 v16, -8, v14
	v_add_co_u32 v31, vcc_lo, s8, v31
	v_add_co_ci_u32_e32 v32, vcc_lo, s9, v32, vcc_lo
	s_delay_alu instid0(VALU_DEP_3) | instskip(SKIP_3) | instid1(VALU_DEP_3)
	v_lshlrev_b64 v[35:36], 3, v[16:17]
	v_add_nc_u32_e32 v16, -3, v14
	v_add_co_u32 v33, vcc_lo, s10, v33
	v_add_co_ci_u32_e32 v34, vcc_lo, s11, v34, vcc_lo
	v_lshlrev_b64 v[37:38], 3, v[16:17]
	v_add_co_u32 v35, vcc_lo, s8, v35
	v_add_co_ci_u32_e32 v36, vcc_lo, s9, v36, vcc_lo
	global_load_b64 v[31:32], v[31:32], off
	v_add_co_u32 v37, vcc_lo, s8, v37
	v_add_co_ci_u32_e32 v38, vcc_lo, s9, v38, vcc_lo
	global_load_b64 v[33:34], v[33:34], off
	s_clause 0x1
	global_load_b64 v[35:36], v[35:36], off
	global_load_b64 v[37:38], v[37:38], off
	v_add_nc_u32_e32 v16, -12, v14
	s_delay_alu instid0(VALU_DEP_1) | instskip(SKIP_1) | instid1(VALU_DEP_1)
	v_lshlrev_b64 v[39:40], 3, v[16:17]
	v_add_nc_u32_e32 v16, 2, v23
	v_lshlrev_b64 v[41:42], 3, v[16:17]
	v_add_nc_u32_e32 v16, -7, v14
	s_delay_alu instid0(VALU_DEP_4) | instskip(SKIP_1) | instid1(VALU_DEP_3)
	v_add_co_u32 v39, vcc_lo, s8, v39
	v_add_co_ci_u32_e32 v40, vcc_lo, s9, v40, vcc_lo
	v_lshlrev_b64 v[43:44], 3, v[16:17]
	v_add_nc_u32_e32 v16, -2, v14
	v_add_co_u32 v41, vcc_lo, s10, v41
	v_add_co_ci_u32_e32 v42, vcc_lo, s11, v42, vcc_lo
	s_delay_alu instid0(VALU_DEP_3)
	v_lshlrev_b64 v[45:46], 3, v[16:17]
	v_add_co_u32 v43, vcc_lo, s8, v43
	v_add_co_ci_u32_e32 v44, vcc_lo, s9, v44, vcc_lo
	global_load_b64 v[39:40], v[39:40], off
	v_add_co_u32 v45, vcc_lo, s8, v45
	v_add_co_ci_u32_e32 v46, vcc_lo, s9, v46, vcc_lo
	global_load_b64 v[41:42], v[41:42], off
	s_clause 0x1
	global_load_b64 v[43:44], v[43:44], off
	global_load_b64 v[45:46], v[45:46], off
	v_add_nc_u32_e32 v16, -11, v14
	s_delay_alu instid0(VALU_DEP_1) | instskip(SKIP_1) | instid1(VALU_DEP_1)
	v_lshlrev_b64 v[47:48], 3, v[16:17]
	v_add_nc_u32_e32 v16, 3, v23
	v_lshlrev_b64 v[49:50], 3, v[16:17]
	v_add_nc_u32_e32 v16, -6, v14
	s_delay_alu instid0(VALU_DEP_4) | instskip(SKIP_1) | instid1(VALU_DEP_3)
	v_add_co_u32 v47, vcc_lo, s8, v47
	v_add_co_ci_u32_e32 v48, vcc_lo, s9, v48, vcc_lo
	v_lshlrev_b64 v[51:52], 3, v[16:17]
	v_add_nc_u32_e32 v16, -1, v14
	v_add_co_u32 v49, vcc_lo, s10, v49
	v_add_co_ci_u32_e32 v50, vcc_lo, s11, v50, vcc_lo
	s_delay_alu instid0(VALU_DEP_3)
	v_lshlrev_b64 v[53:54], 3, v[16:17]
	v_add_co_u32 v51, vcc_lo, s8, v51
	v_add_co_ci_u32_e32 v52, vcc_lo, s9, v52, vcc_lo
	global_load_b64 v[47:48], v[47:48], off
	v_add_co_u32 v53, vcc_lo, s8, v53
	v_add_co_ci_u32_e32 v54, vcc_lo, s9, v54, vcc_lo
	global_load_b64 v[49:50], v[49:50], off
	s_clause 0x1
	global_load_b64 v[51:52], v[51:52], off
	global_load_b64 v[53:54], v[53:54], off
	v_lshlrev_b64 v[15:16], 3, v[14:15]
	s_delay_alu instid0(VALU_DEP_1) | instskip(NEXT) | instid1(VALU_DEP_2)
	v_add_co_u32 v55, vcc_lo, s8, v15
	v_add_co_ci_u32_e32 v56, vcc_lo, s9, v16, vcc_lo
	v_add_nc_u32_e32 v16, -10, v14
	s_delay_alu instid0(VALU_DEP_1) | instskip(SKIP_1) | instid1(VALU_DEP_1)
	v_lshlrev_b64 v[57:58], 3, v[16:17]
	v_add_nc_u32_e32 v16, 4, v23
	v_lshlrev_b64 v[22:23], 3, v[16:17]
	v_add_nc_u32_e32 v16, -5, v14
	s_delay_alu instid0(VALU_DEP_4) | instskip(SKIP_1) | instid1(VALU_DEP_3)
	v_add_co_u32 v57, vcc_lo, s8, v57
	v_add_co_ci_u32_e32 v58, vcc_lo, s9, v58, vcc_lo
	v_lshlrev_b64 v[15:16], 3, v[16:17]
	v_add_co_u32 v22, vcc_lo, s10, v22
	v_add_co_ci_u32_e32 v23, vcc_lo, s11, v23, vcc_lo
	v_add_nc_u32_e32 v14, 0x1e0, v14
	s_delay_alu instid0(VALU_DEP_4)
	v_add_co_u32 v15, vcc_lo, s8, v15
	v_add_co_ci_u32_e32 v16, vcc_lo, s9, v16, vcc_lo
	global_load_b64 v[57:58], v[57:58], off
	global_load_b64 v[22:23], v[22:23], off
	s_clause 0x1
	global_load_b64 v[15:16], v[15:16], off
	global_load_b64 v[55:56], v[55:56], off
	v_cmp_ge_i32_e32 vcc_lo, v12, v19
	s_or_b32 s2, vcc_lo, s2
	s_waitcnt vmcnt(16)
	v_fma_f64 v[6:7], v[25:26], v[29:30], v[6:7]
	v_fma_f64 v[10:11], v[20:21], v[29:30], v[10:11]
	;; [unrolled: 1-line block ×3, first 2 shown]
	s_waitcnt vmcnt(14)
	s_delay_alu instid0(VALU_DEP_3) | instskip(SKIP_1) | instid1(VALU_DEP_3)
	v_fma_f64 v[6:7], v[31:32], v[33:34], v[6:7]
	s_waitcnt vmcnt(13)
	v_fma_f64 v[10:11], v[35:36], v[33:34], v[10:11]
	s_waitcnt vmcnt(12)
	s_delay_alu instid0(VALU_DEP_3) | instskip(SKIP_1) | instid1(VALU_DEP_3)
	v_fma_f64 v[8:9], v[37:38], v[33:34], v[8:9]
	s_waitcnt vmcnt(10)
	v_fma_f64 v[6:7], v[39:40], v[41:42], v[6:7]
	;; [unrolled: 5-line block ×6, first 2 shown]
	s_and_not1_b32 exec_lo, exec_lo, s2
	s_cbranch_execnz .LBB55_15
; %bb.16:
	s_or_b32 exec_lo, exec_lo, s2
.LBB55_17:
	s_delay_alu instid0(SALU_CYCLE_1)
	s_or_b32 exec_lo, exec_lo, s3
.LBB55_18:
	v_mbcnt_lo_u32_b32 v18, -1, 0
	s_delay_alu instid0(VALU_DEP_1) | instskip(NEXT) | instid1(VALU_DEP_1)
	v_xor_b32_e32 v12, 16, v18
	v_cmp_gt_i32_e32 vcc_lo, 32, v12
	v_cndmask_b32_e32 v12, v18, v12, vcc_lo
	s_delay_alu instid0(VALU_DEP_1)
	v_lshlrev_b32_e32 v17, 2, v12
	ds_bpermute_b32 v12, v17, v6
	ds_bpermute_b32 v13, v17, v7
	;; [unrolled: 1-line block ×6, first 2 shown]
	s_waitcnt lgkmcnt(4)
	v_add_f64 v[6:7], v[6:7], v[12:13]
	v_xor_b32_e32 v12, 8, v18
	s_waitcnt lgkmcnt(2)
	v_add_f64 v[10:11], v[10:11], v[14:15]
	s_waitcnt lgkmcnt(0)
	v_add_f64 v[8:9], v[8:9], v[16:17]
	v_cmp_gt_i32_e32 vcc_lo, 32, v12
	v_cndmask_b32_e32 v12, v18, v12, vcc_lo
	s_delay_alu instid0(VALU_DEP_1)
	v_lshlrev_b32_e32 v17, 2, v12
	ds_bpermute_b32 v12, v17, v6
	ds_bpermute_b32 v13, v17, v7
	;; [unrolled: 1-line block ×6, first 2 shown]
	s_waitcnt lgkmcnt(4)
	v_add_f64 v[6:7], v[6:7], v[12:13]
	v_xor_b32_e32 v12, 4, v18
	s_waitcnt lgkmcnt(2)
	v_add_f64 v[10:11], v[10:11], v[14:15]
	s_waitcnt lgkmcnt(0)
	v_add_f64 v[8:9], v[8:9], v[16:17]
	v_cmp_gt_i32_e32 vcc_lo, 32, v12
	v_cndmask_b32_e32 v12, v18, v12, vcc_lo
	s_delay_alu instid0(VALU_DEP_1)
	v_lshlrev_b32_e32 v17, 2, v12
	ds_bpermute_b32 v12, v17, v6
	ds_bpermute_b32 v13, v17, v7
	;; [unrolled: 1-line block ×6, first 2 shown]
	s_waitcnt lgkmcnt(4)
	v_add_f64 v[6:7], v[6:7], v[12:13]
	s_waitcnt lgkmcnt(2)
	v_add_f64 v[10:11], v[10:11], v[14:15]
	s_waitcnt lgkmcnt(0)
	v_add_f64 v[12:13], v[8:9], v[16:17]
	v_xor_b32_e32 v8, 2, v18
	s_delay_alu instid0(VALU_DEP_1) | instskip(SKIP_1) | instid1(VALU_DEP_1)
	v_cmp_gt_i32_e32 vcc_lo, 32, v8
	v_cndmask_b32_e32 v8, v18, v8, vcc_lo
	v_lshlrev_b32_e32 v17, 2, v8
	ds_bpermute_b32 v8, v17, v6
	ds_bpermute_b32 v9, v17, v7
	;; [unrolled: 1-line block ×6, first 2 shown]
	s_waitcnt lgkmcnt(4)
	v_add_f64 v[8:9], v[6:7], v[8:9]
	s_waitcnt lgkmcnt(2)
	v_add_f64 v[6:7], v[10:11], v[14:15]
	v_xor_b32_e32 v10, 1, v18
	s_waitcnt lgkmcnt(0)
	v_add_f64 v[12:13], v[12:13], v[16:17]
	s_delay_alu instid0(VALU_DEP_2) | instskip(SKIP_2) | instid1(VALU_DEP_2)
	v_cmp_gt_i32_e32 vcc_lo, 32, v10
	v_cndmask_b32_e32 v10, v18, v10, vcc_lo
	v_cmp_eq_u32_e32 vcc_lo, 31, v0
	v_lshlrev_b32_e32 v15, 2, v10
	ds_bpermute_b32 v10, v15, v8
	ds_bpermute_b32 v11, v15, v9
	ds_bpermute_b32 v16, v15, v6
	ds_bpermute_b32 v17, v15, v7
	ds_bpermute_b32 v14, v15, v12
	ds_bpermute_b32 v15, v15, v13
	s_and_b32 exec_lo, exec_lo, vcc_lo
	s_cbranch_execz .LBB55_23
; %bb.19:
	s_waitcnt lgkmcnt(4)
	v_add_f64 v[10:11], v[8:9], v[10:11]
	s_waitcnt lgkmcnt(2)
	v_add_f64 v[8:9], v[6:7], v[16:17]
	;; [unrolled: 2-line block ×3, first 2 shown]
	s_load_b64 s[0:1], s[0:1], 0x38
	s_mov_b32 s2, exec_lo
	v_cmpx_eq_f64_e32 0, v[3:4]
	s_xor_b32 s2, exec_lo, s2
	s_cbranch_execz .LBB55_21
; %bb.20:
	s_delay_alu instid0(VALU_DEP_4) | instskip(NEXT) | instid1(VALU_DEP_4)
	v_mul_f64 v[10:11], v[1:2], v[10:11]
	v_mul_f64 v[12:13], v[1:2], v[8:9]
	s_delay_alu instid0(VALU_DEP_4) | instskip(SKIP_1) | instid1(VALU_DEP_1)
	v_mul_f64 v[0:1], v[1:2], v[6:7]
	v_lshl_add_u32 v2, v5, 1, v5
                                        ; implicit-def: $vgpr5
                                        ; implicit-def: $vgpr8_vgpr9
                                        ; implicit-def: $vgpr6_vgpr7
	v_ashrrev_i32_e32 v3, 31, v2
	s_delay_alu instid0(VALU_DEP_1) | instskip(SKIP_1) | instid1(VALU_DEP_1)
	v_lshlrev_b64 v[2:3], 3, v[2:3]
	s_waitcnt lgkmcnt(0)
	v_add_co_u32 v2, vcc_lo, s0, v2
	s_delay_alu instid0(VALU_DEP_2)
	v_add_co_ci_u32_e32 v3, vcc_lo, s1, v3, vcc_lo
	s_clause 0x1
	global_store_b128 v[2:3], v[10:13], off
	global_store_b64 v[2:3], v[0:1], off offset:16
                                        ; implicit-def: $vgpr1_vgpr2
                                        ; implicit-def: $vgpr10_vgpr11
                                        ; implicit-def: $vgpr3_vgpr4
.LBB55_21:
	s_and_not1_saveexec_b32 s2, s2
	s_cbranch_execz .LBB55_23
; %bb.22:
	v_lshl_add_u32 v12, v5, 1, v5
	v_mul_f64 v[10:11], v[1:2], v[10:11]
	v_mul_f64 v[8:9], v[1:2], v[8:9]
	;; [unrolled: 1-line block ×3, first 2 shown]
	s_delay_alu instid0(VALU_DEP_4) | instskip(NEXT) | instid1(VALU_DEP_1)
	v_ashrrev_i32_e32 v13, 31, v12
	v_lshlrev_b64 v[12:13], 3, v[12:13]
	s_waitcnt lgkmcnt(0)
	s_delay_alu instid0(VALU_DEP_1) | instskip(NEXT) | instid1(VALU_DEP_2)
	v_add_co_u32 v16, vcc_lo, s0, v12
	v_add_co_ci_u32_e32 v17, vcc_lo, s1, v13, vcc_lo
	s_clause 0x1
	global_load_b128 v[12:15], v[16:17], off
	global_load_b64 v[18:19], v[16:17], off offset:16
	s_waitcnt vmcnt(1)
	v_fma_f64 v[5:6], v[3:4], v[12:13], v[10:11]
	v_fma_f64 v[7:8], v[3:4], v[14:15], v[8:9]
	s_waitcnt vmcnt(0)
	v_fma_f64 v[0:1], v[3:4], v[18:19], v[0:1]
	s_clause 0x1
	global_store_b128 v[16:17], v[5:8], off
	global_store_b64 v[16:17], v[0:1], off offset:16
.LBB55_23:
	s_nop 0
	s_sendmsg sendmsg(MSG_DEALLOC_VGPRS)
	s_endpgm
	.section	.rodata,"a",@progbits
	.p2align	6, 0x0
	.amdhsa_kernel _ZN9rocsparseL19gebsrmvn_3xn_kernelILj128ELj5ELj32EdEEvi20rocsparse_direction_NS_24const_host_device_scalarIT2_EEPKiS6_PKS3_S8_S4_PS3_21rocsparse_index_base_b
		.amdhsa_group_segment_fixed_size 0
		.amdhsa_private_segment_fixed_size 0
		.amdhsa_kernarg_size 72
		.amdhsa_user_sgpr_count 15
		.amdhsa_user_sgpr_dispatch_ptr 0
		.amdhsa_user_sgpr_queue_ptr 0
		.amdhsa_user_sgpr_kernarg_segment_ptr 1
		.amdhsa_user_sgpr_dispatch_id 0
		.amdhsa_user_sgpr_private_segment_size 0
		.amdhsa_wavefront_size32 1
		.amdhsa_uses_dynamic_stack 0
		.amdhsa_enable_private_segment 0
		.amdhsa_system_sgpr_workgroup_id_x 1
		.amdhsa_system_sgpr_workgroup_id_y 0
		.amdhsa_system_sgpr_workgroup_id_z 0
		.amdhsa_system_sgpr_workgroup_info 0
		.amdhsa_system_vgpr_workitem_id 0
		.amdhsa_next_free_vgpr 59
		.amdhsa_next_free_sgpr 16
		.amdhsa_reserve_vcc 1
		.amdhsa_float_round_mode_32 0
		.amdhsa_float_round_mode_16_64 0
		.amdhsa_float_denorm_mode_32 3
		.amdhsa_float_denorm_mode_16_64 3
		.amdhsa_dx10_clamp 1
		.amdhsa_ieee_mode 1
		.amdhsa_fp16_overflow 0
		.amdhsa_workgroup_processor_mode 1
		.amdhsa_memory_ordered 1
		.amdhsa_forward_progress 0
		.amdhsa_shared_vgpr_count 0
		.amdhsa_exception_fp_ieee_invalid_op 0
		.amdhsa_exception_fp_denorm_src 0
		.amdhsa_exception_fp_ieee_div_zero 0
		.amdhsa_exception_fp_ieee_overflow 0
		.amdhsa_exception_fp_ieee_underflow 0
		.amdhsa_exception_fp_ieee_inexact 0
		.amdhsa_exception_int_div_zero 0
	.end_amdhsa_kernel
	.section	.text._ZN9rocsparseL19gebsrmvn_3xn_kernelILj128ELj5ELj32EdEEvi20rocsparse_direction_NS_24const_host_device_scalarIT2_EEPKiS6_PKS3_S8_S4_PS3_21rocsparse_index_base_b,"axG",@progbits,_ZN9rocsparseL19gebsrmvn_3xn_kernelILj128ELj5ELj32EdEEvi20rocsparse_direction_NS_24const_host_device_scalarIT2_EEPKiS6_PKS3_S8_S4_PS3_21rocsparse_index_base_b,comdat
.Lfunc_end55:
	.size	_ZN9rocsparseL19gebsrmvn_3xn_kernelILj128ELj5ELj32EdEEvi20rocsparse_direction_NS_24const_host_device_scalarIT2_EEPKiS6_PKS3_S8_S4_PS3_21rocsparse_index_base_b, .Lfunc_end55-_ZN9rocsparseL19gebsrmvn_3xn_kernelILj128ELj5ELj32EdEEvi20rocsparse_direction_NS_24const_host_device_scalarIT2_EEPKiS6_PKS3_S8_S4_PS3_21rocsparse_index_base_b
                                        ; -- End function
	.section	.AMDGPU.csdata,"",@progbits
; Kernel info:
; codeLenInByte = 3316
; NumSgprs: 18
; NumVgprs: 59
; ScratchSize: 0
; MemoryBound: 0
; FloatMode: 240
; IeeeMode: 1
; LDSByteSize: 0 bytes/workgroup (compile time only)
; SGPRBlocks: 2
; VGPRBlocks: 7
; NumSGPRsForWavesPerEU: 18
; NumVGPRsForWavesPerEU: 59
; Occupancy: 16
; WaveLimiterHint : 1
; COMPUTE_PGM_RSRC2:SCRATCH_EN: 0
; COMPUTE_PGM_RSRC2:USER_SGPR: 15
; COMPUTE_PGM_RSRC2:TRAP_HANDLER: 0
; COMPUTE_PGM_RSRC2:TGID_X_EN: 1
; COMPUTE_PGM_RSRC2:TGID_Y_EN: 0
; COMPUTE_PGM_RSRC2:TGID_Z_EN: 0
; COMPUTE_PGM_RSRC2:TIDIG_COMP_CNT: 0
	.section	.text._ZN9rocsparseL19gebsrmvn_3xn_kernelILj128ELj5ELj64EdEEvi20rocsparse_direction_NS_24const_host_device_scalarIT2_EEPKiS6_PKS3_S8_S4_PS3_21rocsparse_index_base_b,"axG",@progbits,_ZN9rocsparseL19gebsrmvn_3xn_kernelILj128ELj5ELj64EdEEvi20rocsparse_direction_NS_24const_host_device_scalarIT2_EEPKiS6_PKS3_S8_S4_PS3_21rocsparse_index_base_b,comdat
	.globl	_ZN9rocsparseL19gebsrmvn_3xn_kernelILj128ELj5ELj64EdEEvi20rocsparse_direction_NS_24const_host_device_scalarIT2_EEPKiS6_PKS3_S8_S4_PS3_21rocsparse_index_base_b ; -- Begin function _ZN9rocsparseL19gebsrmvn_3xn_kernelILj128ELj5ELj64EdEEvi20rocsparse_direction_NS_24const_host_device_scalarIT2_EEPKiS6_PKS3_S8_S4_PS3_21rocsparse_index_base_b
	.p2align	8
	.type	_ZN9rocsparseL19gebsrmvn_3xn_kernelILj128ELj5ELj64EdEEvi20rocsparse_direction_NS_24const_host_device_scalarIT2_EEPKiS6_PKS3_S8_S4_PS3_21rocsparse_index_base_b,@function
_ZN9rocsparseL19gebsrmvn_3xn_kernelILj128ELj5ELj64EdEEvi20rocsparse_direction_NS_24const_host_device_scalarIT2_EEPKiS6_PKS3_S8_S4_PS3_21rocsparse_index_base_b: ; @_ZN9rocsparseL19gebsrmvn_3xn_kernelILj128ELj5ELj64EdEEvi20rocsparse_direction_NS_24const_host_device_scalarIT2_EEPKiS6_PKS3_S8_S4_PS3_21rocsparse_index_base_b
; %bb.0:
	s_clause 0x2
	s_load_b64 s[12:13], s[0:1], 0x40
	s_load_b64 s[4:5], s[0:1], 0x8
	;; [unrolled: 1-line block ×3, first 2 shown]
	s_waitcnt lgkmcnt(0)
	s_bitcmp1_b32 s13, 0
	v_dual_mov_b32 v1, s4 :: v_dual_mov_b32 v2, s5
	s_cselect_b32 s6, -1, 0
	s_delay_alu instid0(SALU_CYCLE_1)
	s_and_b32 vcc_lo, exec_lo, s6
	s_xor_b32 s6, s6, -1
	s_cbranch_vccnz .LBB56_2
; %bb.1:
	v_dual_mov_b32 v1, s4 :: v_dual_mov_b32 v2, s5
	flat_load_b64 v[1:2], v[1:2]
.LBB56_2:
	v_dual_mov_b32 v4, s3 :: v_dual_mov_b32 v3, s2
	s_and_not1_b32 vcc_lo, exec_lo, s6
	s_cbranch_vccnz .LBB56_4
; %bb.3:
	v_dual_mov_b32 v4, s3 :: v_dual_mov_b32 v3, s2
	flat_load_b64 v[3:4], v[3:4]
.LBB56_4:
	s_waitcnt vmcnt(0) lgkmcnt(0)
	v_cmp_neq_f64_e32 vcc_lo, 0, v[1:2]
	v_cmp_neq_f64_e64 s2, 1.0, v[3:4]
	s_delay_alu instid0(VALU_DEP_1) | instskip(NEXT) | instid1(SALU_CYCLE_1)
	s_or_b32 s2, vcc_lo, s2
	s_and_saveexec_b32 s3, s2
	s_cbranch_execz .LBB56_23
; %bb.5:
	s_load_b64 s[2:3], s[0:1], 0x0
	v_lshrrev_b32_e32 v5, 6, v0
	s_delay_alu instid0(VALU_DEP_1) | instskip(SKIP_1) | instid1(VALU_DEP_1)
	v_lshl_or_b32 v5, s15, 1, v5
	s_waitcnt lgkmcnt(0)
	v_cmp_gt_i32_e32 vcc_lo, s2, v5
	s_and_b32 exec_lo, exec_lo, vcc_lo
	s_cbranch_execz .LBB56_23
; %bb.6:
	s_load_b256 s[4:11], s[0:1], 0x10
	v_ashrrev_i32_e32 v6, 31, v5
	v_and_b32_e32 v0, 63, v0
	s_cmp_lg_u32 s3, 0
	s_delay_alu instid0(VALU_DEP_2) | instskip(SKIP_1) | instid1(VALU_DEP_1)
	v_lshlrev_b64 v[6:7], 2, v[5:6]
	s_waitcnt lgkmcnt(0)
	v_add_co_u32 v6, vcc_lo, s4, v6
	s_delay_alu instid0(VALU_DEP_2) | instskip(SKIP_4) | instid1(VALU_DEP_2)
	v_add_co_ci_u32_e32 v7, vcc_lo, s5, v7, vcc_lo
	global_load_b64 v[6:7], v[6:7], off
	s_waitcnt vmcnt(0)
	v_subrev_nc_u32_e32 v6, s12, v6
	v_subrev_nc_u32_e32 v19, s12, v7
	v_add_nc_u32_e32 v12, v6, v0
	s_delay_alu instid0(VALU_DEP_1)
	v_cmp_lt_i32_e64 s2, v12, v19
	s_cbranch_scc0 .LBB56_12
; %bb.7:
	v_mov_b32_e32 v6, 0
	v_mov_b32_e32 v7, 0
	s_delay_alu instid0(VALU_DEP_1)
	v_dual_mov_b32 v9, v7 :: v_dual_mov_b32 v8, v6
	v_dual_mov_b32 v11, v7 :: v_dual_mov_b32 v10, v6
	s_and_saveexec_b32 s3, s2
	s_cbranch_execz .LBB56_11
; %bb.8:
	v_dual_mov_b32 v6, 0 :: v_dual_mov_b32 v17, v12
	v_dual_mov_b32 v7, 0 :: v_dual_mov_b32 v16, 0
	v_mad_u64_u32 v[13:14], null, v12, 15, 14
	s_mov_b32 s4, 0
	s_delay_alu instid0(VALU_DEP_2)
	v_dual_mov_b32 v9, v7 :: v_dual_mov_b32 v8, v6
	v_dual_mov_b32 v11, v7 :: v_dual_mov_b32 v10, v6
.LBB56_9:                               ; =>This Inner Loop Header: Depth=1
	v_ashrrev_i32_e32 v18, 31, v17
	v_mov_b32_e32 v21, v16
	s_delay_alu instid0(VALU_DEP_2) | instskip(SKIP_1) | instid1(VALU_DEP_2)
	v_lshlrev_b64 v[14:15], 2, v[17:18]
	v_add_nc_u32_e32 v17, 64, v17
	v_add_co_u32 v14, vcc_lo, s6, v14
	s_delay_alu instid0(VALU_DEP_3) | instskip(SKIP_2) | instid1(VALU_DEP_1)
	v_add_co_ci_u32_e32 v15, vcc_lo, s7, v15, vcc_lo
	global_load_b32 v18, v[14:15], off
	v_dual_mov_b32 v14, v16 :: v_dual_add_nc_u32 v15, -14, v13
	v_lshlrev_b64 v[22:23], 3, v[15:16]
	v_add_nc_u32_e32 v15, -13, v13
	s_delay_alu instid0(VALU_DEP_1) | instskip(SKIP_1) | instid1(VALU_DEP_4)
	v_lshlrev_b64 v[24:25], 3, v[15:16]
	v_add_nc_u32_e32 v15, -12, v13
	v_add_co_u32 v22, vcc_lo, s8, v22
	v_add_co_ci_u32_e32 v23, vcc_lo, s9, v23, vcc_lo
	s_delay_alu instid0(VALU_DEP_3)
	v_lshlrev_b64 v[26:27], 3, v[15:16]
	v_add_co_u32 v24, vcc_lo, s8, v24
	v_add_co_ci_u32_e32 v25, vcc_lo, s9, v25, vcc_lo
	global_load_b64 v[22:23], v[22:23], off
	v_add_co_u32 v26, vcc_lo, s8, v26
	v_add_co_ci_u32_e32 v27, vcc_lo, s9, v27, vcc_lo
	v_add_nc_u32_e32 v15, -11, v13
	s_delay_alu instid0(VALU_DEP_1) | instskip(SKIP_2) | instid1(VALU_DEP_1)
	v_lshlrev_b64 v[30:31], 3, v[15:16]
	s_waitcnt vmcnt(1)
	v_subrev_nc_u32_e32 v18, s12, v18
	v_lshl_add_u32 v20, v18, 2, v18
	s_delay_alu instid0(VALU_DEP_1) | instskip(SKIP_1) | instid1(VALU_DEP_1)
	v_lshlrev_b64 v[28:29], 3, v[20:21]
	v_add_nc_u32_e32 v15, 1, v20
	v_lshlrev_b64 v[32:33], 3, v[15:16]
	s_delay_alu instid0(VALU_DEP_3) | instskip(NEXT) | instid1(VALU_DEP_4)
	v_add_co_u32 v28, vcc_lo, s10, v28
	v_add_co_ci_u32_e32 v29, vcc_lo, s11, v29, vcc_lo
	s_clause 0x1
	global_load_b64 v[24:25], v[24:25], off
	global_load_b64 v[26:27], v[26:27], off
	;; [unrolled: 1-line block ×3, first 2 shown]
	v_add_nc_u32_e32 v15, -10, v13
	v_add_co_u32 v30, vcc_lo, s8, v30
	v_add_co_ci_u32_e32 v31, vcc_lo, s9, v31, vcc_lo
	s_delay_alu instid0(VALU_DEP_3) | instskip(SKIP_3) | instid1(VALU_DEP_3)
	v_lshlrev_b64 v[34:35], 3, v[15:16]
	v_add_nc_u32_e32 v15, -9, v13
	v_add_co_u32 v32, vcc_lo, s10, v32
	v_add_co_ci_u32_e32 v33, vcc_lo, s11, v33, vcc_lo
	v_lshlrev_b64 v[36:37], 3, v[15:16]
	v_add_co_u32 v34, vcc_lo, s8, v34
	v_add_co_ci_u32_e32 v35, vcc_lo, s9, v35, vcc_lo
	global_load_b64 v[30:31], v[30:31], off
	v_add_co_u32 v36, vcc_lo, s8, v36
	v_add_co_ci_u32_e32 v37, vcc_lo, s9, v37, vcc_lo
	global_load_b64 v[32:33], v[32:33], off
	s_clause 0x1
	global_load_b64 v[34:35], v[34:35], off
	global_load_b64 v[36:37], v[36:37], off
	v_add_nc_u32_e32 v15, -8, v13
	s_delay_alu instid0(VALU_DEP_1) | instskip(SKIP_1) | instid1(VALU_DEP_1)
	v_lshlrev_b64 v[38:39], 3, v[15:16]
	v_add_nc_u32_e32 v15, 2, v20
	v_lshlrev_b64 v[40:41], 3, v[15:16]
	v_add_nc_u32_e32 v15, -7, v13
	s_delay_alu instid0(VALU_DEP_4) | instskip(SKIP_1) | instid1(VALU_DEP_3)
	v_add_co_u32 v38, vcc_lo, s8, v38
	v_add_co_ci_u32_e32 v39, vcc_lo, s9, v39, vcc_lo
	v_lshlrev_b64 v[42:43], 3, v[15:16]
	v_add_nc_u32_e32 v15, -6, v13
	v_add_co_u32 v40, vcc_lo, s10, v40
	v_add_co_ci_u32_e32 v41, vcc_lo, s11, v41, vcc_lo
	s_delay_alu instid0(VALU_DEP_3)
	v_lshlrev_b64 v[44:45], 3, v[15:16]
	v_add_co_u32 v42, vcc_lo, s8, v42
	v_add_co_ci_u32_e32 v43, vcc_lo, s9, v43, vcc_lo
	global_load_b64 v[38:39], v[38:39], off
	v_add_co_u32 v44, vcc_lo, s8, v44
	v_add_co_ci_u32_e32 v45, vcc_lo, s9, v45, vcc_lo
	global_load_b64 v[40:41], v[40:41], off
	s_clause 0x1
	global_load_b64 v[42:43], v[42:43], off
	global_load_b64 v[44:45], v[44:45], off
	v_add_nc_u32_e32 v15, -5, v13
	s_delay_alu instid0(VALU_DEP_1) | instskip(SKIP_1) | instid1(VALU_DEP_1)
	v_lshlrev_b64 v[46:47], 3, v[15:16]
	v_add_nc_u32_e32 v15, 3, v20
	v_lshlrev_b64 v[48:49], 3, v[15:16]
	v_add_nc_u32_e32 v15, -4, v13
	s_delay_alu instid0(VALU_DEP_4) | instskip(SKIP_1) | instid1(VALU_DEP_3)
	v_add_co_u32 v46, vcc_lo, s8, v46
	v_add_co_ci_u32_e32 v47, vcc_lo, s9, v47, vcc_lo
	v_lshlrev_b64 v[50:51], 3, v[15:16]
	v_add_nc_u32_e32 v15, -3, v13
	v_add_co_u32 v48, vcc_lo, s10, v48
	v_add_co_ci_u32_e32 v49, vcc_lo, s11, v49, vcc_lo
	s_delay_alu instid0(VALU_DEP_3)
	v_lshlrev_b64 v[52:53], 3, v[15:16]
	v_add_co_u32 v50, vcc_lo, s8, v50
	v_add_co_ci_u32_e32 v51, vcc_lo, s9, v51, vcc_lo
	global_load_b64 v[46:47], v[46:47], off
	v_add_co_u32 v52, vcc_lo, s8, v52
	v_add_co_ci_u32_e32 v53, vcc_lo, s9, v53, vcc_lo
	global_load_b64 v[48:49], v[48:49], off
	s_clause 0x1
	global_load_b64 v[50:51], v[50:51], off
	global_load_b64 v[52:53], v[52:53], off
	v_lshlrev_b64 v[14:15], 3, v[13:14]
	s_delay_alu instid0(VALU_DEP_1) | instskip(NEXT) | instid1(VALU_DEP_2)
	v_add_co_u32 v54, vcc_lo, s8, v14
	v_add_co_ci_u32_e32 v55, vcc_lo, s9, v15, vcc_lo
	v_add_nc_u32_e32 v15, -2, v13
	s_delay_alu instid0(VALU_DEP_1) | instskip(SKIP_1) | instid1(VALU_DEP_1)
	v_lshlrev_b64 v[56:57], 3, v[15:16]
	v_add_nc_u32_e32 v15, 4, v20
	v_lshlrev_b64 v[20:21], 3, v[15:16]
	v_add_nc_u32_e32 v15, -1, v13
	s_delay_alu instid0(VALU_DEP_4) | instskip(SKIP_1) | instid1(VALU_DEP_3)
	v_add_co_u32 v56, vcc_lo, s8, v56
	v_add_co_ci_u32_e32 v57, vcc_lo, s9, v57, vcc_lo
	v_lshlrev_b64 v[14:15], 3, v[15:16]
	v_add_co_u32 v20, vcc_lo, s10, v20
	v_add_co_ci_u32_e32 v21, vcc_lo, s11, v21, vcc_lo
	v_add_nc_u32_e32 v13, 0x3c0, v13
	s_delay_alu instid0(VALU_DEP_4)
	v_add_co_u32 v14, vcc_lo, s8, v14
	v_add_co_ci_u32_e32 v15, vcc_lo, s9, v15, vcc_lo
	global_load_b64 v[56:57], v[56:57], off
	global_load_b64 v[20:21], v[20:21], off
	s_clause 0x1
	global_load_b64 v[14:15], v[14:15], off
	global_load_b64 v[54:55], v[54:55], off
	v_cmp_ge_i32_e32 vcc_lo, v17, v19
	s_or_b32 s4, vcc_lo, s4
	s_waitcnt vmcnt(16)
	v_fma_f64 v[6:7], v[22:23], v[28:29], v[6:7]
	v_fma_f64 v[10:11], v[24:25], v[28:29], v[10:11]
	;; [unrolled: 1-line block ×3, first 2 shown]
	s_waitcnt vmcnt(14)
	s_delay_alu instid0(VALU_DEP_3) | instskip(SKIP_1) | instid1(VALU_DEP_3)
	v_fma_f64 v[6:7], v[30:31], v[32:33], v[6:7]
	s_waitcnt vmcnt(13)
	v_fma_f64 v[10:11], v[34:35], v[32:33], v[10:11]
	s_waitcnt vmcnt(12)
	s_delay_alu instid0(VALU_DEP_3) | instskip(SKIP_1) | instid1(VALU_DEP_3)
	v_fma_f64 v[8:9], v[36:37], v[32:33], v[8:9]
	s_waitcnt vmcnt(10)
	v_fma_f64 v[6:7], v[38:39], v[40:41], v[6:7]
	s_waitcnt vmcnt(9)
	s_delay_alu instid0(VALU_DEP_3) | instskip(SKIP_1) | instid1(VALU_DEP_3)
	v_fma_f64 v[10:11], v[42:43], v[40:41], v[10:11]
	s_waitcnt vmcnt(8)
	v_fma_f64 v[8:9], v[44:45], v[40:41], v[8:9]
	s_waitcnt vmcnt(6)
	s_delay_alu instid0(VALU_DEP_3) | instskip(SKIP_1) | instid1(VALU_DEP_3)
	v_fma_f64 v[6:7], v[46:47], v[48:49], v[6:7]
	s_waitcnt vmcnt(5)
	v_fma_f64 v[10:11], v[50:51], v[48:49], v[10:11]
	s_waitcnt vmcnt(4)
	s_delay_alu instid0(VALU_DEP_3) | instskip(SKIP_1) | instid1(VALU_DEP_3)
	v_fma_f64 v[8:9], v[52:53], v[48:49], v[8:9]
	s_waitcnt vmcnt(2)
	v_fma_f64 v[6:7], v[56:57], v[20:21], v[6:7]
	s_waitcnt vmcnt(1)
	s_delay_alu instid0(VALU_DEP_3) | instskip(SKIP_1) | instid1(VALU_DEP_3)
	v_fma_f64 v[10:11], v[14:15], v[20:21], v[10:11]
	s_waitcnt vmcnt(0)
	v_fma_f64 v[8:9], v[54:55], v[20:21], v[8:9]
	s_and_not1_b32 exec_lo, exec_lo, s4
	s_cbranch_execnz .LBB56_9
; %bb.10:
	s_or_b32 exec_lo, exec_lo, s4
.LBB56_11:
	s_delay_alu instid0(SALU_CYCLE_1)
	s_or_b32 exec_lo, exec_lo, s3
	s_cbranch_execz .LBB56_13
	s_branch .LBB56_18
.LBB56_12:
                                        ; implicit-def: $vgpr6_vgpr7
                                        ; implicit-def: $vgpr8_vgpr9
                                        ; implicit-def: $vgpr10_vgpr11
.LBB56_13:
	v_mov_b32_e32 v6, 0
	v_mov_b32_e32 v7, 0
	s_delay_alu instid0(VALU_DEP_1)
	v_dual_mov_b32 v9, v7 :: v_dual_mov_b32 v8, v6
	v_dual_mov_b32 v11, v7 :: v_dual_mov_b32 v10, v6
	s_and_saveexec_b32 s3, s2
	s_cbranch_execz .LBB56_17
; %bb.14:
	v_dual_mov_b32 v6, 0 :: v_dual_mov_b32 v17, 0
	v_mov_b32_e32 v7, 0
	v_mad_u64_u32 v[14:15], null, v12, 15, 14
	s_mov_b32 s2, 0
	s_delay_alu instid0(VALU_DEP_2)
	v_dual_mov_b32 v9, v7 :: v_dual_mov_b32 v8, v6
	v_dual_mov_b32 v11, v7 :: v_dual_mov_b32 v10, v6
.LBB56_15:                              ; =>This Inner Loop Header: Depth=1
	v_ashrrev_i32_e32 v13, 31, v12
	s_delay_alu instid0(VALU_DEP_4) | instskip(SKIP_2) | instid1(VALU_DEP_4)
	v_dual_mov_b32 v23, v17 :: v_dual_add_nc_u32 v20, -9, v14
	v_add_nc_u32_e32 v22, -4, v14
	v_mov_b32_e32 v24, v17
	v_lshlrev_b64 v[15:16], 2, v[12:13]
	v_dual_mov_b32 v21, v17 :: v_dual_add_nc_u32 v12, 64, v12
	s_delay_alu instid0(VALU_DEP_2) | instskip(NEXT) | instid1(VALU_DEP_3)
	v_add_co_u32 v15, vcc_lo, s6, v15
	v_add_co_ci_u32_e32 v16, vcc_lo, s7, v16, vcc_lo
	s_delay_alu instid0(VALU_DEP_3) | instskip(SKIP_3) | instid1(VALU_DEP_2)
	v_lshlrev_b64 v[20:21], 3, v[20:21]
	global_load_b32 v13, v[15:16], off
	v_dual_mov_b32 v15, v17 :: v_dual_add_nc_u32 v16, -14, v14
	v_lshlrev_b64 v[22:23], 3, v[22:23]
	v_lshlrev_b64 v[25:26], 3, v[16:17]
	v_add_nc_u32_e32 v16, -13, v14
	s_delay_alu instid0(VALU_DEP_1) | instskip(NEXT) | instid1(VALU_DEP_3)
	v_lshlrev_b64 v[31:32], 3, v[16:17]
	v_add_co_u32 v25, vcc_lo, s8, v25
	s_delay_alu instid0(VALU_DEP_4)
	v_add_co_ci_u32_e32 v26, vcc_lo, s9, v26, vcc_lo
	v_add_co_u32 v20, vcc_lo, s8, v20
	v_add_co_ci_u32_e32 v21, vcc_lo, s9, v21, vcc_lo
	v_add_co_u32 v27, vcc_lo, s8, v22
	v_add_co_ci_u32_e32 v28, vcc_lo, s9, v23, vcc_lo
	global_load_b64 v[25:26], v[25:26], off
	s_waitcnt vmcnt(1)
	v_subrev_nc_u32_e32 v13, s12, v13
	s_delay_alu instid0(VALU_DEP_1) | instskip(NEXT) | instid1(VALU_DEP_1)
	v_lshl_add_u32 v23, v13, 2, v13
	v_lshlrev_b64 v[29:30], 3, v[23:24]
	v_add_nc_u32_e32 v16, 1, v23
	s_delay_alu instid0(VALU_DEP_1) | instskip(NEXT) | instid1(VALU_DEP_3)
	v_lshlrev_b64 v[33:34], 3, v[16:17]
	v_add_co_u32 v29, vcc_lo, s10, v29
	s_delay_alu instid0(VALU_DEP_4)
	v_add_co_ci_u32_e32 v30, vcc_lo, s11, v30, vcc_lo
	s_clause 0x1
	global_load_b64 v[20:21], v[20:21], off
	global_load_b64 v[27:28], v[27:28], off
	;; [unrolled: 1-line block ×3, first 2 shown]
	v_add_nc_u32_e32 v16, -8, v14
	v_add_co_u32 v31, vcc_lo, s8, v31
	v_add_co_ci_u32_e32 v32, vcc_lo, s9, v32, vcc_lo
	s_delay_alu instid0(VALU_DEP_3) | instskip(SKIP_3) | instid1(VALU_DEP_3)
	v_lshlrev_b64 v[35:36], 3, v[16:17]
	v_add_nc_u32_e32 v16, -3, v14
	v_add_co_u32 v33, vcc_lo, s10, v33
	v_add_co_ci_u32_e32 v34, vcc_lo, s11, v34, vcc_lo
	v_lshlrev_b64 v[37:38], 3, v[16:17]
	v_add_co_u32 v35, vcc_lo, s8, v35
	v_add_co_ci_u32_e32 v36, vcc_lo, s9, v36, vcc_lo
	global_load_b64 v[31:32], v[31:32], off
	v_add_co_u32 v37, vcc_lo, s8, v37
	v_add_co_ci_u32_e32 v38, vcc_lo, s9, v38, vcc_lo
	global_load_b64 v[33:34], v[33:34], off
	s_clause 0x1
	global_load_b64 v[35:36], v[35:36], off
	global_load_b64 v[37:38], v[37:38], off
	v_add_nc_u32_e32 v16, -12, v14
	s_delay_alu instid0(VALU_DEP_1) | instskip(SKIP_1) | instid1(VALU_DEP_1)
	v_lshlrev_b64 v[39:40], 3, v[16:17]
	v_add_nc_u32_e32 v16, 2, v23
	v_lshlrev_b64 v[41:42], 3, v[16:17]
	v_add_nc_u32_e32 v16, -7, v14
	s_delay_alu instid0(VALU_DEP_4) | instskip(SKIP_1) | instid1(VALU_DEP_3)
	v_add_co_u32 v39, vcc_lo, s8, v39
	v_add_co_ci_u32_e32 v40, vcc_lo, s9, v40, vcc_lo
	v_lshlrev_b64 v[43:44], 3, v[16:17]
	v_add_nc_u32_e32 v16, -2, v14
	v_add_co_u32 v41, vcc_lo, s10, v41
	v_add_co_ci_u32_e32 v42, vcc_lo, s11, v42, vcc_lo
	s_delay_alu instid0(VALU_DEP_3)
	v_lshlrev_b64 v[45:46], 3, v[16:17]
	v_add_co_u32 v43, vcc_lo, s8, v43
	v_add_co_ci_u32_e32 v44, vcc_lo, s9, v44, vcc_lo
	global_load_b64 v[39:40], v[39:40], off
	v_add_co_u32 v45, vcc_lo, s8, v45
	v_add_co_ci_u32_e32 v46, vcc_lo, s9, v46, vcc_lo
	global_load_b64 v[41:42], v[41:42], off
	s_clause 0x1
	global_load_b64 v[43:44], v[43:44], off
	global_load_b64 v[45:46], v[45:46], off
	v_add_nc_u32_e32 v16, -11, v14
	s_delay_alu instid0(VALU_DEP_1) | instskip(SKIP_1) | instid1(VALU_DEP_1)
	v_lshlrev_b64 v[47:48], 3, v[16:17]
	v_add_nc_u32_e32 v16, 3, v23
	v_lshlrev_b64 v[49:50], 3, v[16:17]
	v_add_nc_u32_e32 v16, -6, v14
	s_delay_alu instid0(VALU_DEP_4) | instskip(SKIP_1) | instid1(VALU_DEP_3)
	v_add_co_u32 v47, vcc_lo, s8, v47
	v_add_co_ci_u32_e32 v48, vcc_lo, s9, v48, vcc_lo
	v_lshlrev_b64 v[51:52], 3, v[16:17]
	v_add_nc_u32_e32 v16, -1, v14
	v_add_co_u32 v49, vcc_lo, s10, v49
	v_add_co_ci_u32_e32 v50, vcc_lo, s11, v50, vcc_lo
	s_delay_alu instid0(VALU_DEP_3)
	v_lshlrev_b64 v[53:54], 3, v[16:17]
	v_add_co_u32 v51, vcc_lo, s8, v51
	v_add_co_ci_u32_e32 v52, vcc_lo, s9, v52, vcc_lo
	global_load_b64 v[47:48], v[47:48], off
	v_add_co_u32 v53, vcc_lo, s8, v53
	v_add_co_ci_u32_e32 v54, vcc_lo, s9, v54, vcc_lo
	global_load_b64 v[49:50], v[49:50], off
	s_clause 0x1
	global_load_b64 v[51:52], v[51:52], off
	global_load_b64 v[53:54], v[53:54], off
	v_lshlrev_b64 v[15:16], 3, v[14:15]
	s_delay_alu instid0(VALU_DEP_1) | instskip(NEXT) | instid1(VALU_DEP_2)
	v_add_co_u32 v55, vcc_lo, s8, v15
	v_add_co_ci_u32_e32 v56, vcc_lo, s9, v16, vcc_lo
	v_add_nc_u32_e32 v16, -10, v14
	s_delay_alu instid0(VALU_DEP_1) | instskip(SKIP_1) | instid1(VALU_DEP_1)
	v_lshlrev_b64 v[57:58], 3, v[16:17]
	v_add_nc_u32_e32 v16, 4, v23
	v_lshlrev_b64 v[22:23], 3, v[16:17]
	v_add_nc_u32_e32 v16, -5, v14
	s_delay_alu instid0(VALU_DEP_4) | instskip(SKIP_1) | instid1(VALU_DEP_3)
	v_add_co_u32 v57, vcc_lo, s8, v57
	v_add_co_ci_u32_e32 v58, vcc_lo, s9, v58, vcc_lo
	v_lshlrev_b64 v[15:16], 3, v[16:17]
	v_add_co_u32 v22, vcc_lo, s10, v22
	v_add_co_ci_u32_e32 v23, vcc_lo, s11, v23, vcc_lo
	v_add_nc_u32_e32 v14, 0x3c0, v14
	s_delay_alu instid0(VALU_DEP_4)
	v_add_co_u32 v15, vcc_lo, s8, v15
	v_add_co_ci_u32_e32 v16, vcc_lo, s9, v16, vcc_lo
	global_load_b64 v[57:58], v[57:58], off
	global_load_b64 v[22:23], v[22:23], off
	s_clause 0x1
	global_load_b64 v[15:16], v[15:16], off
	global_load_b64 v[55:56], v[55:56], off
	v_cmp_ge_i32_e32 vcc_lo, v12, v19
	s_or_b32 s2, vcc_lo, s2
	s_waitcnt vmcnt(16)
	v_fma_f64 v[6:7], v[25:26], v[29:30], v[6:7]
	v_fma_f64 v[10:11], v[20:21], v[29:30], v[10:11]
	v_fma_f64 v[8:9], v[27:28], v[29:30], v[8:9]
	s_waitcnt vmcnt(14)
	s_delay_alu instid0(VALU_DEP_3) | instskip(SKIP_1) | instid1(VALU_DEP_3)
	v_fma_f64 v[6:7], v[31:32], v[33:34], v[6:7]
	s_waitcnt vmcnt(13)
	v_fma_f64 v[10:11], v[35:36], v[33:34], v[10:11]
	s_waitcnt vmcnt(12)
	s_delay_alu instid0(VALU_DEP_3) | instskip(SKIP_1) | instid1(VALU_DEP_3)
	v_fma_f64 v[8:9], v[37:38], v[33:34], v[8:9]
	s_waitcnt vmcnt(10)
	v_fma_f64 v[6:7], v[39:40], v[41:42], v[6:7]
	;; [unrolled: 5-line block ×6, first 2 shown]
	s_and_not1_b32 exec_lo, exec_lo, s2
	s_cbranch_execnz .LBB56_15
; %bb.16:
	s_or_b32 exec_lo, exec_lo, s2
.LBB56_17:
	s_delay_alu instid0(SALU_CYCLE_1)
	s_or_b32 exec_lo, exec_lo, s3
.LBB56_18:
	v_mbcnt_lo_u32_b32 v18, -1, 0
	s_delay_alu instid0(VALU_DEP_1) | instskip(NEXT) | instid1(VALU_DEP_1)
	v_or_b32_e32 v12, 32, v18
	v_cmp_gt_i32_e32 vcc_lo, 32, v12
	v_cndmask_b32_e32 v12, v18, v12, vcc_lo
	s_delay_alu instid0(VALU_DEP_1)
	v_lshlrev_b32_e32 v17, 2, v12
	ds_bpermute_b32 v12, v17, v6
	ds_bpermute_b32 v13, v17, v7
	ds_bpermute_b32 v14, v17, v10
	ds_bpermute_b32 v15, v17, v11
	ds_bpermute_b32 v16, v17, v8
	ds_bpermute_b32 v17, v17, v9
	s_waitcnt lgkmcnt(4)
	v_add_f64 v[6:7], v[6:7], v[12:13]
	v_xor_b32_e32 v12, 16, v18
	s_waitcnt lgkmcnt(2)
	v_add_f64 v[10:11], v[10:11], v[14:15]
	s_waitcnt lgkmcnt(0)
	v_add_f64 v[8:9], v[8:9], v[16:17]
	v_cmp_gt_i32_e32 vcc_lo, 32, v12
	v_cndmask_b32_e32 v12, v18, v12, vcc_lo
	s_delay_alu instid0(VALU_DEP_1)
	v_lshlrev_b32_e32 v17, 2, v12
	ds_bpermute_b32 v12, v17, v6
	ds_bpermute_b32 v13, v17, v7
	ds_bpermute_b32 v14, v17, v10
	ds_bpermute_b32 v15, v17, v11
	ds_bpermute_b32 v16, v17, v8
	ds_bpermute_b32 v17, v17, v9
	s_waitcnt lgkmcnt(4)
	v_add_f64 v[6:7], v[6:7], v[12:13]
	v_xor_b32_e32 v12, 8, v18
	s_waitcnt lgkmcnt(2)
	v_add_f64 v[10:11], v[10:11], v[14:15]
	s_waitcnt lgkmcnt(0)
	v_add_f64 v[8:9], v[8:9], v[16:17]
	;; [unrolled: 17-line block ×3, first 2 shown]
	v_cmp_gt_i32_e32 vcc_lo, 32, v12
	v_cndmask_b32_e32 v12, v18, v12, vcc_lo
	s_delay_alu instid0(VALU_DEP_1)
	v_lshlrev_b32_e32 v17, 2, v12
	ds_bpermute_b32 v12, v17, v6
	ds_bpermute_b32 v13, v17, v7
	;; [unrolled: 1-line block ×6, first 2 shown]
	s_waitcnt lgkmcnt(4)
	v_add_f64 v[6:7], v[6:7], v[12:13]
	s_waitcnt lgkmcnt(2)
	v_add_f64 v[10:11], v[10:11], v[14:15]
	;; [unrolled: 2-line block ×3, first 2 shown]
	v_xor_b32_e32 v8, 2, v18
	s_delay_alu instid0(VALU_DEP_1) | instskip(SKIP_1) | instid1(VALU_DEP_1)
	v_cmp_gt_i32_e32 vcc_lo, 32, v8
	v_cndmask_b32_e32 v8, v18, v8, vcc_lo
	v_lshlrev_b32_e32 v17, 2, v8
	ds_bpermute_b32 v8, v17, v6
	ds_bpermute_b32 v9, v17, v7
	;; [unrolled: 1-line block ×6, first 2 shown]
	s_waitcnt lgkmcnt(4)
	v_add_f64 v[8:9], v[6:7], v[8:9]
	s_waitcnt lgkmcnt(2)
	v_add_f64 v[6:7], v[10:11], v[14:15]
	v_xor_b32_e32 v10, 1, v18
	s_waitcnt lgkmcnt(0)
	v_add_f64 v[12:13], v[12:13], v[16:17]
	s_delay_alu instid0(VALU_DEP_2) | instskip(SKIP_2) | instid1(VALU_DEP_2)
	v_cmp_gt_i32_e32 vcc_lo, 32, v10
	v_cndmask_b32_e32 v10, v18, v10, vcc_lo
	v_cmp_eq_u32_e32 vcc_lo, 63, v0
	v_lshlrev_b32_e32 v15, 2, v10
	ds_bpermute_b32 v10, v15, v8
	ds_bpermute_b32 v11, v15, v9
	;; [unrolled: 1-line block ×6, first 2 shown]
	s_and_b32 exec_lo, exec_lo, vcc_lo
	s_cbranch_execz .LBB56_23
; %bb.19:
	s_waitcnt lgkmcnt(4)
	v_add_f64 v[10:11], v[8:9], v[10:11]
	s_waitcnt lgkmcnt(2)
	v_add_f64 v[8:9], v[6:7], v[16:17]
	;; [unrolled: 2-line block ×3, first 2 shown]
	s_load_b64 s[0:1], s[0:1], 0x38
	s_mov_b32 s2, exec_lo
	v_cmpx_eq_f64_e32 0, v[3:4]
	s_xor_b32 s2, exec_lo, s2
	s_cbranch_execz .LBB56_21
; %bb.20:
	s_delay_alu instid0(VALU_DEP_4) | instskip(NEXT) | instid1(VALU_DEP_4)
	v_mul_f64 v[10:11], v[1:2], v[10:11]
	v_mul_f64 v[12:13], v[1:2], v[8:9]
	s_delay_alu instid0(VALU_DEP_4) | instskip(SKIP_1) | instid1(VALU_DEP_1)
	v_mul_f64 v[0:1], v[1:2], v[6:7]
	v_lshl_add_u32 v2, v5, 1, v5
                                        ; implicit-def: $vgpr5
                                        ; implicit-def: $vgpr8_vgpr9
                                        ; implicit-def: $vgpr6_vgpr7
	v_ashrrev_i32_e32 v3, 31, v2
	s_delay_alu instid0(VALU_DEP_1) | instskip(SKIP_1) | instid1(VALU_DEP_1)
	v_lshlrev_b64 v[2:3], 3, v[2:3]
	s_waitcnt lgkmcnt(0)
	v_add_co_u32 v2, vcc_lo, s0, v2
	s_delay_alu instid0(VALU_DEP_2)
	v_add_co_ci_u32_e32 v3, vcc_lo, s1, v3, vcc_lo
	s_clause 0x1
	global_store_b128 v[2:3], v[10:13], off
	global_store_b64 v[2:3], v[0:1], off offset:16
                                        ; implicit-def: $vgpr1_vgpr2
                                        ; implicit-def: $vgpr10_vgpr11
                                        ; implicit-def: $vgpr3_vgpr4
.LBB56_21:
	s_and_not1_saveexec_b32 s2, s2
	s_cbranch_execz .LBB56_23
; %bb.22:
	v_lshl_add_u32 v12, v5, 1, v5
	v_mul_f64 v[10:11], v[1:2], v[10:11]
	v_mul_f64 v[8:9], v[1:2], v[8:9]
	;; [unrolled: 1-line block ×3, first 2 shown]
	s_delay_alu instid0(VALU_DEP_4) | instskip(NEXT) | instid1(VALU_DEP_1)
	v_ashrrev_i32_e32 v13, 31, v12
	v_lshlrev_b64 v[12:13], 3, v[12:13]
	s_waitcnt lgkmcnt(0)
	s_delay_alu instid0(VALU_DEP_1) | instskip(NEXT) | instid1(VALU_DEP_2)
	v_add_co_u32 v16, vcc_lo, s0, v12
	v_add_co_ci_u32_e32 v17, vcc_lo, s1, v13, vcc_lo
	s_clause 0x1
	global_load_b128 v[12:15], v[16:17], off
	global_load_b64 v[18:19], v[16:17], off offset:16
	s_waitcnt vmcnt(1)
	v_fma_f64 v[5:6], v[3:4], v[12:13], v[10:11]
	v_fma_f64 v[7:8], v[3:4], v[14:15], v[8:9]
	s_waitcnt vmcnt(0)
	v_fma_f64 v[0:1], v[3:4], v[18:19], v[0:1]
	s_clause 0x1
	global_store_b128 v[16:17], v[5:8], off
	global_store_b64 v[16:17], v[0:1], off offset:16
.LBB56_23:
	s_nop 0
	s_sendmsg sendmsg(MSG_DEALLOC_VGPRS)
	s_endpgm
	.section	.rodata,"a",@progbits
	.p2align	6, 0x0
	.amdhsa_kernel _ZN9rocsparseL19gebsrmvn_3xn_kernelILj128ELj5ELj64EdEEvi20rocsparse_direction_NS_24const_host_device_scalarIT2_EEPKiS6_PKS3_S8_S4_PS3_21rocsparse_index_base_b
		.amdhsa_group_segment_fixed_size 0
		.amdhsa_private_segment_fixed_size 0
		.amdhsa_kernarg_size 72
		.amdhsa_user_sgpr_count 15
		.amdhsa_user_sgpr_dispatch_ptr 0
		.amdhsa_user_sgpr_queue_ptr 0
		.amdhsa_user_sgpr_kernarg_segment_ptr 1
		.amdhsa_user_sgpr_dispatch_id 0
		.amdhsa_user_sgpr_private_segment_size 0
		.amdhsa_wavefront_size32 1
		.amdhsa_uses_dynamic_stack 0
		.amdhsa_enable_private_segment 0
		.amdhsa_system_sgpr_workgroup_id_x 1
		.amdhsa_system_sgpr_workgroup_id_y 0
		.amdhsa_system_sgpr_workgroup_id_z 0
		.amdhsa_system_sgpr_workgroup_info 0
		.amdhsa_system_vgpr_workitem_id 0
		.amdhsa_next_free_vgpr 59
		.amdhsa_next_free_sgpr 16
		.amdhsa_reserve_vcc 1
		.amdhsa_float_round_mode_32 0
		.amdhsa_float_round_mode_16_64 0
		.amdhsa_float_denorm_mode_32 3
		.amdhsa_float_denorm_mode_16_64 3
		.amdhsa_dx10_clamp 1
		.amdhsa_ieee_mode 1
		.amdhsa_fp16_overflow 0
		.amdhsa_workgroup_processor_mode 1
		.amdhsa_memory_ordered 1
		.amdhsa_forward_progress 0
		.amdhsa_shared_vgpr_count 0
		.amdhsa_exception_fp_ieee_invalid_op 0
		.amdhsa_exception_fp_denorm_src 0
		.amdhsa_exception_fp_ieee_div_zero 0
		.amdhsa_exception_fp_ieee_overflow 0
		.amdhsa_exception_fp_ieee_underflow 0
		.amdhsa_exception_fp_ieee_inexact 0
		.amdhsa_exception_int_div_zero 0
	.end_amdhsa_kernel
	.section	.text._ZN9rocsparseL19gebsrmvn_3xn_kernelILj128ELj5ELj64EdEEvi20rocsparse_direction_NS_24const_host_device_scalarIT2_EEPKiS6_PKS3_S8_S4_PS3_21rocsparse_index_base_b,"axG",@progbits,_ZN9rocsparseL19gebsrmvn_3xn_kernelILj128ELj5ELj64EdEEvi20rocsparse_direction_NS_24const_host_device_scalarIT2_EEPKiS6_PKS3_S8_S4_PS3_21rocsparse_index_base_b,comdat
.Lfunc_end56:
	.size	_ZN9rocsparseL19gebsrmvn_3xn_kernelILj128ELj5ELj64EdEEvi20rocsparse_direction_NS_24const_host_device_scalarIT2_EEPKiS6_PKS3_S8_S4_PS3_21rocsparse_index_base_b, .Lfunc_end56-_ZN9rocsparseL19gebsrmvn_3xn_kernelILj128ELj5ELj64EdEEvi20rocsparse_direction_NS_24const_host_device_scalarIT2_EEPKiS6_PKS3_S8_S4_PS3_21rocsparse_index_base_b
                                        ; -- End function
	.section	.AMDGPU.csdata,"",@progbits
; Kernel info:
; codeLenInByte = 3420
; NumSgprs: 18
; NumVgprs: 59
; ScratchSize: 0
; MemoryBound: 0
; FloatMode: 240
; IeeeMode: 1
; LDSByteSize: 0 bytes/workgroup (compile time only)
; SGPRBlocks: 2
; VGPRBlocks: 7
; NumSGPRsForWavesPerEU: 18
; NumVGPRsForWavesPerEU: 59
; Occupancy: 16
; WaveLimiterHint : 1
; COMPUTE_PGM_RSRC2:SCRATCH_EN: 0
; COMPUTE_PGM_RSRC2:USER_SGPR: 15
; COMPUTE_PGM_RSRC2:TRAP_HANDLER: 0
; COMPUTE_PGM_RSRC2:TGID_X_EN: 1
; COMPUTE_PGM_RSRC2:TGID_Y_EN: 0
; COMPUTE_PGM_RSRC2:TGID_Z_EN: 0
; COMPUTE_PGM_RSRC2:TIDIG_COMP_CNT: 0
	.section	.text._ZN9rocsparseL19gebsrmvn_3xn_kernelILj128ELj6ELj4EdEEvi20rocsparse_direction_NS_24const_host_device_scalarIT2_EEPKiS6_PKS3_S8_S4_PS3_21rocsparse_index_base_b,"axG",@progbits,_ZN9rocsparseL19gebsrmvn_3xn_kernelILj128ELj6ELj4EdEEvi20rocsparse_direction_NS_24const_host_device_scalarIT2_EEPKiS6_PKS3_S8_S4_PS3_21rocsparse_index_base_b,comdat
	.globl	_ZN9rocsparseL19gebsrmvn_3xn_kernelILj128ELj6ELj4EdEEvi20rocsparse_direction_NS_24const_host_device_scalarIT2_EEPKiS6_PKS3_S8_S4_PS3_21rocsparse_index_base_b ; -- Begin function _ZN9rocsparseL19gebsrmvn_3xn_kernelILj128ELj6ELj4EdEEvi20rocsparse_direction_NS_24const_host_device_scalarIT2_EEPKiS6_PKS3_S8_S4_PS3_21rocsparse_index_base_b
	.p2align	8
	.type	_ZN9rocsparseL19gebsrmvn_3xn_kernelILj128ELj6ELj4EdEEvi20rocsparse_direction_NS_24const_host_device_scalarIT2_EEPKiS6_PKS3_S8_S4_PS3_21rocsparse_index_base_b,@function
_ZN9rocsparseL19gebsrmvn_3xn_kernelILj128ELj6ELj4EdEEvi20rocsparse_direction_NS_24const_host_device_scalarIT2_EEPKiS6_PKS3_S8_S4_PS3_21rocsparse_index_base_b: ; @_ZN9rocsparseL19gebsrmvn_3xn_kernelILj128ELj6ELj4EdEEvi20rocsparse_direction_NS_24const_host_device_scalarIT2_EEPKiS6_PKS3_S8_S4_PS3_21rocsparse_index_base_b
; %bb.0:
	s_clause 0x2
	s_load_b64 s[12:13], s[0:1], 0x40
	s_load_b64 s[4:5], s[0:1], 0x8
	;; [unrolled: 1-line block ×3, first 2 shown]
	s_waitcnt lgkmcnt(0)
	s_bitcmp1_b32 s13, 0
	v_dual_mov_b32 v1, s4 :: v_dual_mov_b32 v2, s5
	s_cselect_b32 s6, -1, 0
	s_delay_alu instid0(SALU_CYCLE_1)
	s_and_b32 vcc_lo, exec_lo, s6
	s_xor_b32 s6, s6, -1
	s_cbranch_vccnz .LBB57_2
; %bb.1:
	v_dual_mov_b32 v1, s4 :: v_dual_mov_b32 v2, s5
	flat_load_b64 v[1:2], v[1:2]
.LBB57_2:
	v_dual_mov_b32 v4, s3 :: v_dual_mov_b32 v3, s2
	s_and_not1_b32 vcc_lo, exec_lo, s6
	s_cbranch_vccnz .LBB57_4
; %bb.3:
	v_dual_mov_b32 v4, s3 :: v_dual_mov_b32 v3, s2
	flat_load_b64 v[3:4], v[3:4]
.LBB57_4:
	s_waitcnt vmcnt(0) lgkmcnt(0)
	v_cmp_neq_f64_e32 vcc_lo, 0, v[1:2]
	v_cmp_neq_f64_e64 s2, 1.0, v[3:4]
	s_delay_alu instid0(VALU_DEP_1) | instskip(NEXT) | instid1(SALU_CYCLE_1)
	s_or_b32 s2, vcc_lo, s2
	s_and_saveexec_b32 s3, s2
	s_cbranch_execz .LBB57_23
; %bb.5:
	s_load_b64 s[2:3], s[0:1], 0x0
	v_lshrrev_b32_e32 v5, 2, v0
	s_delay_alu instid0(VALU_DEP_1) | instskip(SKIP_1) | instid1(VALU_DEP_1)
	v_lshl_or_b32 v5, s15, 5, v5
	s_waitcnt lgkmcnt(0)
	v_cmp_gt_i32_e32 vcc_lo, s2, v5
	s_and_b32 exec_lo, exec_lo, vcc_lo
	s_cbranch_execz .LBB57_23
; %bb.6:
	s_load_b256 s[4:11], s[0:1], 0x10
	v_ashrrev_i32_e32 v6, 31, v5
	v_and_b32_e32 v0, 3, v0
	s_cmp_lg_u32 s3, 0
	s_delay_alu instid0(VALU_DEP_2) | instskip(SKIP_1) | instid1(VALU_DEP_1)
	v_lshlrev_b64 v[6:7], 2, v[5:6]
	s_waitcnt lgkmcnt(0)
	v_add_co_u32 v6, vcc_lo, s4, v6
	s_delay_alu instid0(VALU_DEP_2) | instskip(SKIP_4) | instid1(VALU_DEP_2)
	v_add_co_ci_u32_e32 v7, vcc_lo, s5, v7, vcc_lo
	global_load_b64 v[6:7], v[6:7], off
	s_waitcnt vmcnt(0)
	v_subrev_nc_u32_e32 v6, s12, v6
	v_subrev_nc_u32_e32 v19, s12, v7
	v_add_nc_u32_e32 v6, v6, v0
	s_delay_alu instid0(VALU_DEP_1)
	v_cmp_lt_i32_e64 s2, v6, v19
	s_cbranch_scc0 .LBB57_12
; %bb.7:
	v_mov_b32_e32 v8, 0
	v_mov_b32_e32 v9, 0
	s_delay_alu instid0(VALU_DEP_1)
	v_dual_mov_b32 v11, v9 :: v_dual_mov_b32 v10, v8
	v_dual_mov_b32 v13, v9 :: v_dual_mov_b32 v12, v8
	s_and_saveexec_b32 s3, s2
	s_cbranch_execz .LBB57_11
; %bb.8:
	v_dual_mov_b32 v8, 0 :: v_dual_mov_b32 v17, v6
	v_dual_mov_b32 v9, 0 :: v_dual_mov_b32 v16, 0
	v_mad_u64_u32 v[14:15], null, v6, 18, 17
	s_mov_b32 s4, 0
	s_delay_alu instid0(VALU_DEP_2)
	v_dual_mov_b32 v11, v9 :: v_dual_mov_b32 v10, v8
	v_dual_mov_b32 v13, v9 :: v_dual_mov_b32 v12, v8
.LBB57_9:                               ; =>This Inner Loop Header: Depth=1
	v_ashrrev_i32_e32 v18, 31, v17
	s_delay_alu instid0(VALU_DEP_4) | instskip(SKIP_1) | instid1(VALU_DEP_3)
	v_subrev_nc_u32_e32 v15, 17, v14
	v_mov_b32_e32 v33, v16
	v_lshlrev_b64 v[20:21], 2, v[17:18]
	v_add_nc_u32_e32 v17, 4, v17
	s_delay_alu instid0(VALU_DEP_2) | instskip(NEXT) | instid1(VALU_DEP_3)
	v_add_co_u32 v20, vcc_lo, s6, v20
	v_add_co_ci_u32_e32 v21, vcc_lo, s7, v21, vcc_lo
	global_load_b32 v7, v[20:21], off
	v_lshlrev_b64 v[20:21], 3, v[15:16]
	v_add_nc_u32_e32 v15, -15, v14
	s_delay_alu instid0(VALU_DEP_1) | instskip(NEXT) | instid1(VALU_DEP_3)
	v_lshlrev_b64 v[22:23], 3, v[15:16]
	v_add_co_u32 v20, vcc_lo, s8, v20
	s_delay_alu instid0(VALU_DEP_4) | instskip(SKIP_1) | instid1(VALU_DEP_4)
	v_add_co_ci_u32_e32 v21, vcc_lo, s9, v21, vcc_lo
	v_add_nc_u32_e32 v15, -14, v14
	v_add_co_u32 v24, vcc_lo, s8, v22
	v_add_co_ci_u32_e32 v25, vcc_lo, s9, v23, vcc_lo
	s_delay_alu instid0(VALU_DEP_3) | instskip(SKIP_1) | instid1(VALU_DEP_1)
	v_lshlrev_b64 v[28:29], 3, v[15:16]
	v_add_nc_u32_e32 v15, -13, v14
	v_lshlrev_b64 v[30:31], 3, v[15:16]
	v_add_nc_u32_e32 v15, -12, v14
	s_waitcnt vmcnt(0)
	v_subrev_nc_u32_e32 v7, s12, v7
	s_delay_alu instid0(VALU_DEP_1) | instskip(NEXT) | instid1(VALU_DEP_1)
	v_mul_lo_u32 v32, v7, 6
	v_lshlrev_b64 v[22:23], 3, v[32:33]
	v_lshlrev_b64 v[33:34], 3, v[15:16]
	v_add_nc_u32_e32 v15, -11, v14
	s_delay_alu instid0(VALU_DEP_3) | instskip(NEXT) | instid1(VALU_DEP_4)
	v_add_co_u32 v26, vcc_lo, s10, v22
	v_add_co_ci_u32_e32 v27, vcc_lo, s11, v23, vcc_lo
	v_add_co_u32 v28, vcc_lo, s8, v28
	s_clause 0x1
	global_load_b128 v[20:23], v[20:21], off
	global_load_b64 v[36:37], v[24:25], off
	global_load_b128 v[24:27], v[26:27], off
	v_add_co_ci_u32_e32 v29, vcc_lo, s9, v29, vcc_lo
	v_add_co_u32 v30, vcc_lo, s8, v30
	v_add_co_ci_u32_e32 v31, vcc_lo, s9, v31, vcc_lo
	v_add_co_u32 v33, vcc_lo, s8, v33
	v_add_co_ci_u32_e32 v34, vcc_lo, s9, v34, vcc_lo
	s_clause 0x2
	global_load_b64 v[38:39], v[28:29], off
	global_load_b64 v[40:41], v[30:31], off
	global_load_b64 v[42:43], v[33:34], off
	v_lshlrev_b64 v[28:29], 3, v[15:16]
	v_add_nc_u32_e32 v15, 2, v32
	s_delay_alu instid0(VALU_DEP_1) | instskip(SKIP_1) | instid1(VALU_DEP_4)
	v_lshlrev_b64 v[30:31], 3, v[15:16]
	v_add_nc_u32_e32 v15, -10, v14
	v_add_co_u32 v28, vcc_lo, s8, v28
	v_add_co_ci_u32_e32 v29, vcc_lo, s9, v29, vcc_lo
	s_delay_alu instid0(VALU_DEP_3) | instskip(SKIP_3) | instid1(VALU_DEP_3)
	v_lshlrev_b64 v[33:34], 3, v[15:16]
	v_add_nc_u32_e32 v15, -9, v14
	v_add_co_u32 v30, vcc_lo, s10, v30
	v_add_co_ci_u32_e32 v31, vcc_lo, s11, v31, vcc_lo
	v_lshlrev_b64 v[44:45], 3, v[15:16]
	v_add_co_u32 v33, vcc_lo, s8, v33
	v_add_co_ci_u32_e32 v34, vcc_lo, s9, v34, vcc_lo
	v_add_nc_u32_e32 v15, -8, v14
	s_delay_alu instid0(VALU_DEP_4)
	v_add_co_u32 v44, vcc_lo, s8, v44
	v_add_co_ci_u32_e32 v45, vcc_lo, s9, v45, vcc_lo
	global_load_b64 v[46:47], v[28:29], off
	global_load_b128 v[28:31], v[30:31], off
	s_clause 0x1
	global_load_b64 v[48:49], v[33:34], off
	global_load_b64 v[44:45], v[44:45], off
	v_lshlrev_b64 v[33:34], 3, v[15:16]
	v_add_nc_u32_e32 v15, -7, v14
	s_delay_alu instid0(VALU_DEP_1) | instskip(SKIP_1) | instid1(VALU_DEP_4)
	v_lshlrev_b64 v[50:51], 3, v[15:16]
	v_add_nc_u32_e32 v15, -6, v14
	v_add_co_u32 v33, vcc_lo, s8, v33
	v_add_co_ci_u32_e32 v34, vcc_lo, s9, v34, vcc_lo
	s_delay_alu instid0(VALU_DEP_3) | instskip(SKIP_3) | instid1(VALU_DEP_4)
	v_lshlrev_b64 v[52:53], 3, v[15:16]
	v_add_co_u32 v50, vcc_lo, s8, v50
	v_add_co_ci_u32_e32 v51, vcc_lo, s9, v51, vcc_lo
	v_add_nc_u32_e32 v15, -5, v14
	v_add_co_u32 v52, vcc_lo, s8, v52
	v_add_co_ci_u32_e32 v53, vcc_lo, s9, v53, vcc_lo
	s_clause 0x2
	global_load_b64 v[54:55], v[33:34], off
	global_load_b64 v[50:51], v[50:51], off
	;; [unrolled: 1-line block ×3, first 2 shown]
	v_lshlrev_b64 v[33:34], 3, v[15:16]
	v_add_nc_u32_e32 v15, 4, v32
	s_delay_alu instid0(VALU_DEP_1) | instskip(SKIP_1) | instid1(VALU_DEP_4)
	v_lshlrev_b64 v[56:57], 3, v[15:16]
	v_add_nc_u32_e32 v15, -4, v14
	v_add_co_u32 v32, vcc_lo, s8, v33
	v_add_co_ci_u32_e32 v33, vcc_lo, s9, v34, vcc_lo
	s_delay_alu instid0(VALU_DEP_3) | instskip(SKIP_3) | instid1(VALU_DEP_3)
	v_lshlrev_b64 v[34:35], 3, v[15:16]
	v_add_nc_u32_e32 v15, -3, v14
	v_add_co_u32 v56, vcc_lo, s10, v56
	v_add_co_ci_u32_e32 v57, vcc_lo, s11, v57, vcc_lo
	v_lshlrev_b64 v[58:59], 3, v[15:16]
	v_add_co_u32 v60, vcc_lo, s8, v34
	v_add_co_ci_u32_e32 v61, vcc_lo, s9, v35, vcc_lo
	v_mov_b32_e32 v15, v16
	s_delay_alu instid0(VALU_DEP_4)
	v_add_co_u32 v58, vcc_lo, s8, v58
	v_add_co_ci_u32_e32 v59, vcc_lo, s9, v59, vcc_lo
	global_load_b64 v[62:63], v[32:33], off
	global_load_b128 v[32:35], v[56:57], off
	s_clause 0x1
	global_load_b64 v[56:57], v[60:61], off
	global_load_b64 v[58:59], v[58:59], off
	v_lshlrev_b64 v[60:61], 3, v[14:15]
	v_add_nc_u32_e32 v15, -2, v14
	s_delay_alu instid0(VALU_DEP_1) | instskip(SKIP_4) | instid1(VALU_DEP_4)
	v_lshlrev_b64 v[64:65], 3, v[15:16]
	v_add_nc_u32_e32 v15, -1, v14
	v_add_nc_u32_e32 v14, 0x48, v14
	v_add_co_u32 v60, vcc_lo, s8, v60
	v_add_co_ci_u32_e32 v61, vcc_lo, s9, v61, vcc_lo
	v_lshlrev_b64 v[66:67], 3, v[15:16]
	v_add_co_u32 v64, vcc_lo, s8, v64
	v_add_co_ci_u32_e32 v65, vcc_lo, s9, v65, vcc_lo
	s_delay_alu instid0(VALU_DEP_3) | instskip(NEXT) | instid1(VALU_DEP_4)
	v_add_co_u32 v66, vcc_lo, s8, v66
	v_add_co_ci_u32_e32 v67, vcc_lo, s9, v67, vcc_lo
	s_clause 0x2
	global_load_b64 v[60:61], v[60:61], off
	global_load_b64 v[64:65], v[64:65], off
	;; [unrolled: 1-line block ×3, first 2 shown]
	v_cmp_ge_i32_e32 vcc_lo, v17, v19
	s_or_b32 s4, vcc_lo, s4
	s_waitcnt vmcnt(17)
	v_fma_f64 v[7:8], v[20:21], v[24:25], v[8:9]
	v_fma_f64 v[12:13], v[22:23], v[24:25], v[12:13]
	;; [unrolled: 1-line block ×3, first 2 shown]
	s_waitcnt vmcnt(16)
	s_delay_alu instid0(VALU_DEP_3) | instskip(SKIP_1) | instid1(VALU_DEP_3)
	v_fma_f64 v[7:8], v[38:39], v[26:27], v[7:8]
	s_waitcnt vmcnt(15)
	v_fma_f64 v[11:12], v[40:41], v[26:27], v[12:13]
	s_waitcnt vmcnt(14)
	s_delay_alu instid0(VALU_DEP_3) | instskip(SKIP_1) | instid1(VALU_DEP_3)
	v_fma_f64 v[9:10], v[42:43], v[26:27], v[9:10]
	s_waitcnt vmcnt(12)
	v_fma_f64 v[7:8], v[46:47], v[28:29], v[7:8]
	s_waitcnt vmcnt(11)
	s_delay_alu instid0(VALU_DEP_3) | instskip(SKIP_1) | instid1(VALU_DEP_3)
	v_fma_f64 v[11:12], v[48:49], v[28:29], v[11:12]
	s_waitcnt vmcnt(10)
	v_fma_f64 v[9:10], v[44:45], v[28:29], v[9:10]
	s_waitcnt vmcnt(9)
	s_delay_alu instid0(VALU_DEP_3) | instskip(SKIP_1) | instid1(VALU_DEP_3)
	v_fma_f64 v[7:8], v[54:55], v[30:31], v[7:8]
	s_waitcnt vmcnt(8)
	v_fma_f64 v[11:12], v[50:51], v[30:31], v[11:12]
	s_waitcnt vmcnt(7)
	s_delay_alu instid0(VALU_DEP_3) | instskip(SKIP_1) | instid1(VALU_DEP_3)
	v_fma_f64 v[9:10], v[52:53], v[30:31], v[9:10]
	s_waitcnt vmcnt(5)
	v_fma_f64 v[7:8], v[62:63], v[32:33], v[7:8]
	s_waitcnt vmcnt(4)
	s_delay_alu instid0(VALU_DEP_3) | instskip(SKIP_1) | instid1(VALU_DEP_3)
	v_fma_f64 v[11:12], v[56:57], v[32:33], v[11:12]
	s_waitcnt vmcnt(3)
	v_fma_f64 v[20:21], v[58:59], v[32:33], v[9:10]
	s_waitcnt vmcnt(1)
	s_delay_alu instid0(VALU_DEP_3) | instskip(SKIP_1) | instid1(VALU_DEP_3)
	v_fma_f64 v[8:9], v[64:65], v[34:35], v[7:8]
	s_waitcnt vmcnt(0)
	v_fma_f64 v[12:13], v[66:67], v[34:35], v[11:12]
	s_delay_alu instid0(VALU_DEP_3)
	v_fma_f64 v[10:11], v[60:61], v[34:35], v[20:21]
	s_and_not1_b32 exec_lo, exec_lo, s4
	s_cbranch_execnz .LBB57_9
; %bb.10:
	s_or_b32 exec_lo, exec_lo, s4
.LBB57_11:
	s_delay_alu instid0(SALU_CYCLE_1)
	s_or_b32 exec_lo, exec_lo, s3
	s_cbranch_execz .LBB57_13
	s_branch .LBB57_18
.LBB57_12:
                                        ; implicit-def: $vgpr8_vgpr9
                                        ; implicit-def: $vgpr10_vgpr11
                                        ; implicit-def: $vgpr12_vgpr13
.LBB57_13:
	v_mov_b32_e32 v8, 0
	v_mov_b32_e32 v9, 0
	s_delay_alu instid0(VALU_DEP_1)
	v_dual_mov_b32 v11, v9 :: v_dual_mov_b32 v10, v8
	v_dual_mov_b32 v13, v9 :: v_dual_mov_b32 v12, v8
	s_and_saveexec_b32 s3, s2
	s_cbranch_execz .LBB57_17
; %bb.14:
	v_mov_b32_e32 v8, 0
	v_dual_mov_b32 v9, 0 :: v_dual_mov_b32 v16, 0
	v_mad_u64_u32 v[14:15], null, v6, 18, 17
	s_mov_b32 s2, 0
	s_delay_alu instid0(VALU_DEP_2)
	v_dual_mov_b32 v11, v9 :: v_dual_mov_b32 v10, v8
	v_dual_mov_b32 v13, v9 :: v_dual_mov_b32 v12, v8
.LBB57_15:                              ; =>This Inner Loop Header: Depth=1
	v_ashrrev_i32_e32 v7, 31, v6
	s_delay_alu instid0(VALU_DEP_4) | instskip(SKIP_2) | instid1(VALU_DEP_4)
	v_subrev_nc_u32_e32 v15, 17, v14
	v_dual_mov_b32 v33, v16 :: v_dual_add_nc_u32 v20, -5, v14
	v_mov_b32_e32 v21, v16
	v_lshlrev_b64 v[17:18], 2, v[6:7]
	v_add_nc_u32_e32 v6, 4, v6
	v_lshlrev_b64 v[22:23], 3, v[15:16]
	v_add_nc_u32_e32 v15, -10, v14
	v_lshlrev_b64 v[20:21], 3, v[20:21]
	v_add_co_u32 v17, vcc_lo, s6, v17
	v_add_co_ci_u32_e32 v18, vcc_lo, s7, v18, vcc_lo
	v_add_co_u32 v22, vcc_lo, s8, v22
	v_add_co_ci_u32_e32 v23, vcc_lo, s9, v23, vcc_lo
	global_load_b32 v7, v[17:18], off
	v_dual_mov_b32 v18, v16 :: v_dual_add_nc_u32 v17, -11, v14
	v_lshlrev_b64 v[28:29], 3, v[15:16]
	v_add_nc_u32_e32 v15, -4, v14
	s_delay_alu instid0(VALU_DEP_3) | instskip(NEXT) | instid1(VALU_DEP_2)
	v_lshlrev_b64 v[17:18], 3, v[17:18]
	v_lshlrev_b64 v[30:31], 3, v[15:16]
	v_add_nc_u32_e32 v15, -15, v14
	s_delay_alu instid0(VALU_DEP_3) | instskip(NEXT) | instid1(VALU_DEP_4)
	v_add_co_u32 v17, vcc_lo, s8, v17
	v_add_co_ci_u32_e32 v18, vcc_lo, s9, v18, vcc_lo
	v_add_co_u32 v24, vcc_lo, s8, v20
	v_add_co_ci_u32_e32 v25, vcc_lo, s9, v21, vcc_lo
	global_load_b128 v[20:23], v[22:23], off
	s_waitcnt vmcnt(1)
	v_subrev_nc_u32_e32 v7, s12, v7
	s_delay_alu instid0(VALU_DEP_1) | instskip(NEXT) | instid1(VALU_DEP_1)
	v_mul_lo_u32 v32, v7, 6
	v_lshlrev_b64 v[26:27], 3, v[32:33]
	s_delay_alu instid0(VALU_DEP_1) | instskip(NEXT) | instid1(VALU_DEP_2)
	v_add_co_u32 v26, vcc_lo, s10, v26
	v_add_co_ci_u32_e32 v27, vcc_lo, s11, v27, vcc_lo
	s_clause 0x1
	global_load_b64 v[17:18], v[17:18], off
	global_load_b64 v[36:37], v[24:25], off
	global_load_b128 v[24:27], v[26:27], off
	v_add_co_u32 v28, vcc_lo, s8, v28
	v_add_co_ci_u32_e32 v29, vcc_lo, s9, v29, vcc_lo
	v_add_co_u32 v30, vcc_lo, s8, v30
	v_add_co_ci_u32_e32 v31, vcc_lo, s9, v31, vcc_lo
	s_clause 0x1
	global_load_b64 v[38:39], v[28:29], off
	global_load_b64 v[40:41], v[30:31], off
	v_lshlrev_b64 v[28:29], 3, v[15:16]
	v_add_nc_u32_e32 v15, 2, v32
	s_delay_alu instid0(VALU_DEP_1) | instskip(SKIP_1) | instid1(VALU_DEP_4)
	v_lshlrev_b64 v[30:31], 3, v[15:16]
	v_add_nc_u32_e32 v15, -9, v14
	v_add_co_u32 v28, vcc_lo, s8, v28
	v_add_co_ci_u32_e32 v29, vcc_lo, s9, v29, vcc_lo
	s_delay_alu instid0(VALU_DEP_3) | instskip(SKIP_3) | instid1(VALU_DEP_3)
	v_lshlrev_b64 v[33:34], 3, v[15:16]
	v_add_nc_u32_e32 v15, -3, v14
	v_add_co_u32 v30, vcc_lo, s10, v30
	v_add_co_ci_u32_e32 v31, vcc_lo, s11, v31, vcc_lo
	v_lshlrev_b64 v[42:43], 3, v[15:16]
	v_add_co_u32 v33, vcc_lo, s8, v33
	v_add_co_ci_u32_e32 v34, vcc_lo, s9, v34, vcc_lo
	v_add_nc_u32_e32 v15, -14, v14
	s_delay_alu instid0(VALU_DEP_4)
	v_add_co_u32 v42, vcc_lo, s8, v42
	v_add_co_ci_u32_e32 v43, vcc_lo, s9, v43, vcc_lo
	global_load_b64 v[44:45], v[28:29], off
	global_load_b128 v[28:31], v[30:31], off
	s_clause 0x1
	global_load_b64 v[46:47], v[33:34], off
	global_load_b64 v[42:43], v[42:43], off
	v_lshlrev_b64 v[33:34], 3, v[15:16]
	v_add_nc_u32_e32 v15, -8, v14
	s_delay_alu instid0(VALU_DEP_1) | instskip(SKIP_1) | instid1(VALU_DEP_4)
	v_lshlrev_b64 v[48:49], 3, v[15:16]
	v_add_nc_u32_e32 v15, -2, v14
	v_add_co_u32 v33, vcc_lo, s8, v33
	v_add_co_ci_u32_e32 v34, vcc_lo, s9, v34, vcc_lo
	s_delay_alu instid0(VALU_DEP_3) | instskip(SKIP_3) | instid1(VALU_DEP_4)
	v_lshlrev_b64 v[50:51], 3, v[15:16]
	v_add_co_u32 v48, vcc_lo, s8, v48
	v_add_co_ci_u32_e32 v49, vcc_lo, s9, v49, vcc_lo
	v_add_nc_u32_e32 v15, -13, v14
	v_add_co_u32 v50, vcc_lo, s8, v50
	v_add_co_ci_u32_e32 v51, vcc_lo, s9, v51, vcc_lo
	s_clause 0x2
	global_load_b64 v[52:53], v[33:34], off
	global_load_b64 v[48:49], v[48:49], off
	;; [unrolled: 1-line block ×3, first 2 shown]
	v_lshlrev_b64 v[33:34], 3, v[15:16]
	v_add_nc_u32_e32 v15, 4, v32
	s_delay_alu instid0(VALU_DEP_1) | instskip(SKIP_1) | instid1(VALU_DEP_4)
	v_lshlrev_b64 v[54:55], 3, v[15:16]
	v_add_nc_u32_e32 v15, -7, v14
	v_add_co_u32 v32, vcc_lo, s8, v33
	v_add_co_ci_u32_e32 v33, vcc_lo, s9, v34, vcc_lo
	s_delay_alu instid0(VALU_DEP_3) | instskip(SKIP_3) | instid1(VALU_DEP_3)
	v_lshlrev_b64 v[34:35], 3, v[15:16]
	v_add_nc_u32_e32 v15, -1, v14
	v_add_co_u32 v54, vcc_lo, s10, v54
	v_add_co_ci_u32_e32 v55, vcc_lo, s11, v55, vcc_lo
	v_lshlrev_b64 v[56:57], 3, v[15:16]
	v_add_co_u32 v58, vcc_lo, s8, v34
	v_add_co_ci_u32_e32 v59, vcc_lo, s9, v35, vcc_lo
	v_mov_b32_e32 v15, v16
	s_delay_alu instid0(VALU_DEP_4)
	v_add_co_u32 v56, vcc_lo, s8, v56
	v_add_co_ci_u32_e32 v57, vcc_lo, s9, v57, vcc_lo
	global_load_b64 v[60:61], v[32:33], off
	global_load_b128 v[32:35], v[54:55], off
	s_clause 0x1
	global_load_b64 v[54:55], v[58:59], off
	global_load_b64 v[56:57], v[56:57], off
	v_lshlrev_b64 v[58:59], 3, v[14:15]
	v_add_nc_u32_e32 v15, -12, v14
	s_delay_alu instid0(VALU_DEP_1) | instskip(SKIP_4) | instid1(VALU_DEP_4)
	v_lshlrev_b64 v[62:63], 3, v[15:16]
	v_add_nc_u32_e32 v15, -6, v14
	v_add_nc_u32_e32 v14, 0x48, v14
	v_add_co_u32 v58, vcc_lo, s8, v58
	v_add_co_ci_u32_e32 v59, vcc_lo, s9, v59, vcc_lo
	v_lshlrev_b64 v[64:65], 3, v[15:16]
	v_add_co_u32 v62, vcc_lo, s8, v62
	v_add_co_ci_u32_e32 v63, vcc_lo, s9, v63, vcc_lo
	s_delay_alu instid0(VALU_DEP_3) | instskip(NEXT) | instid1(VALU_DEP_4)
	v_add_co_u32 v64, vcc_lo, s8, v64
	v_add_co_ci_u32_e32 v65, vcc_lo, s9, v65, vcc_lo
	s_clause 0x2
	global_load_b64 v[58:59], v[58:59], off
	global_load_b64 v[62:63], v[62:63], off
	;; [unrolled: 1-line block ×3, first 2 shown]
	v_cmp_ge_i32_e32 vcc_lo, v6, v19
	s_or_b32 s2, vcc_lo, s2
	s_waitcnt vmcnt(16)
	v_fma_f64 v[7:8], v[20:21], v[24:25], v[8:9]
	v_fma_f64 v[12:13], v[17:18], v[24:25], v[12:13]
	;; [unrolled: 1-line block ×3, first 2 shown]
	s_delay_alu instid0(VALU_DEP_3) | instskip(SKIP_1) | instid1(VALU_DEP_3)
	v_fma_f64 v[7:8], v[22:23], v[26:27], v[7:8]
	s_waitcnt vmcnt(15)
	v_fma_f64 v[11:12], v[38:39], v[26:27], v[12:13]
	s_waitcnt vmcnt(14)
	s_delay_alu instid0(VALU_DEP_3) | instskip(SKIP_1) | instid1(VALU_DEP_3)
	v_fma_f64 v[9:10], v[40:41], v[26:27], v[9:10]
	s_waitcnt vmcnt(12)
	v_fma_f64 v[7:8], v[44:45], v[28:29], v[7:8]
	s_waitcnt vmcnt(11)
	;; [unrolled: 5-line block ×6, first 2 shown]
	s_delay_alu instid0(VALU_DEP_3) | instskip(SKIP_1) | instid1(VALU_DEP_3)
	v_fma_f64 v[8:9], v[62:63], v[34:35], v[7:8]
	s_waitcnt vmcnt(0)
	v_fma_f64 v[12:13], v[64:65], v[34:35], v[11:12]
	s_delay_alu instid0(VALU_DEP_3)
	v_fma_f64 v[10:11], v[58:59], v[34:35], v[17:18]
	s_and_not1_b32 exec_lo, exec_lo, s2
	s_cbranch_execnz .LBB57_15
; %bb.16:
	s_or_b32 exec_lo, exec_lo, s2
.LBB57_17:
	s_delay_alu instid0(SALU_CYCLE_1)
	s_or_b32 exec_lo, exec_lo, s3
.LBB57_18:
	v_mbcnt_lo_u32_b32 v18, -1, 0
	s_delay_alu instid0(VALU_DEP_1) | instskip(NEXT) | instid1(VALU_DEP_1)
	v_xor_b32_e32 v6, 2, v18
	v_cmp_gt_i32_e32 vcc_lo, 32, v6
	v_cndmask_b32_e32 v6, v18, v6, vcc_lo
	s_delay_alu instid0(VALU_DEP_1)
	v_lshlrev_b32_e32 v17, 2, v6
	ds_bpermute_b32 v6, v17, v8
	ds_bpermute_b32 v7, v17, v9
	;; [unrolled: 1-line block ×6, first 2 shown]
	s_waitcnt lgkmcnt(4)
	v_add_f64 v[8:9], v[8:9], v[6:7]
	s_waitcnt lgkmcnt(2)
	v_add_f64 v[6:7], v[12:13], v[14:15]
	;; [unrolled: 2-line block ×3, first 2 shown]
	v_xor_b32_e32 v10, 1, v18
	s_delay_alu instid0(VALU_DEP_1) | instskip(SKIP_2) | instid1(VALU_DEP_2)
	v_cmp_gt_i32_e32 vcc_lo, 32, v10
	v_cndmask_b32_e32 v10, v18, v10, vcc_lo
	v_cmp_eq_u32_e32 vcc_lo, 3, v0
	v_lshlrev_b32_e32 v15, 2, v10
	ds_bpermute_b32 v10, v15, v8
	ds_bpermute_b32 v11, v15, v9
	;; [unrolled: 1-line block ×6, first 2 shown]
	s_and_b32 exec_lo, exec_lo, vcc_lo
	s_cbranch_execz .LBB57_23
; %bb.19:
	s_waitcnt lgkmcnt(4)
	v_add_f64 v[10:11], v[8:9], v[10:11]
	s_waitcnt lgkmcnt(2)
	v_add_f64 v[8:9], v[6:7], v[16:17]
	;; [unrolled: 2-line block ×3, first 2 shown]
	s_load_b64 s[0:1], s[0:1], 0x38
	s_mov_b32 s2, exec_lo
	v_cmpx_eq_f64_e32 0, v[3:4]
	s_xor_b32 s2, exec_lo, s2
	s_cbranch_execz .LBB57_21
; %bb.20:
	s_delay_alu instid0(VALU_DEP_4) | instskip(NEXT) | instid1(VALU_DEP_4)
	v_mul_f64 v[10:11], v[1:2], v[10:11]
	v_mul_f64 v[12:13], v[1:2], v[8:9]
	s_delay_alu instid0(VALU_DEP_4) | instskip(SKIP_1) | instid1(VALU_DEP_1)
	v_mul_f64 v[0:1], v[1:2], v[6:7]
	v_lshl_add_u32 v2, v5, 1, v5
                                        ; implicit-def: $vgpr5
                                        ; implicit-def: $vgpr8_vgpr9
                                        ; implicit-def: $vgpr6_vgpr7
	v_ashrrev_i32_e32 v3, 31, v2
	s_delay_alu instid0(VALU_DEP_1) | instskip(SKIP_1) | instid1(VALU_DEP_1)
	v_lshlrev_b64 v[2:3], 3, v[2:3]
	s_waitcnt lgkmcnt(0)
	v_add_co_u32 v2, vcc_lo, s0, v2
	s_delay_alu instid0(VALU_DEP_2)
	v_add_co_ci_u32_e32 v3, vcc_lo, s1, v3, vcc_lo
	s_clause 0x1
	global_store_b128 v[2:3], v[10:13], off
	global_store_b64 v[2:3], v[0:1], off offset:16
                                        ; implicit-def: $vgpr1_vgpr2
                                        ; implicit-def: $vgpr10_vgpr11
                                        ; implicit-def: $vgpr3_vgpr4
.LBB57_21:
	s_and_not1_saveexec_b32 s2, s2
	s_cbranch_execz .LBB57_23
; %bb.22:
	v_lshl_add_u32 v12, v5, 1, v5
	v_mul_f64 v[10:11], v[1:2], v[10:11]
	v_mul_f64 v[8:9], v[1:2], v[8:9]
	;; [unrolled: 1-line block ×3, first 2 shown]
	s_delay_alu instid0(VALU_DEP_4) | instskip(NEXT) | instid1(VALU_DEP_1)
	v_ashrrev_i32_e32 v13, 31, v12
	v_lshlrev_b64 v[12:13], 3, v[12:13]
	s_waitcnt lgkmcnt(0)
	s_delay_alu instid0(VALU_DEP_1) | instskip(NEXT) | instid1(VALU_DEP_2)
	v_add_co_u32 v16, vcc_lo, s0, v12
	v_add_co_ci_u32_e32 v17, vcc_lo, s1, v13, vcc_lo
	s_clause 0x1
	global_load_b128 v[12:15], v[16:17], off
	global_load_b64 v[18:19], v[16:17], off offset:16
	s_waitcnt vmcnt(1)
	v_fma_f64 v[5:6], v[3:4], v[12:13], v[10:11]
	v_fma_f64 v[7:8], v[3:4], v[14:15], v[8:9]
	s_waitcnt vmcnt(0)
	v_fma_f64 v[0:1], v[3:4], v[18:19], v[0:1]
	s_clause 0x1
	global_store_b128 v[16:17], v[5:8], off
	global_store_b64 v[16:17], v[0:1], off offset:16
.LBB57_23:
	s_nop 0
	s_sendmsg sendmsg(MSG_DEALLOC_VGPRS)
	s_endpgm
	.section	.rodata,"a",@progbits
	.p2align	6, 0x0
	.amdhsa_kernel _ZN9rocsparseL19gebsrmvn_3xn_kernelILj128ELj6ELj4EdEEvi20rocsparse_direction_NS_24const_host_device_scalarIT2_EEPKiS6_PKS3_S8_S4_PS3_21rocsparse_index_base_b
		.amdhsa_group_segment_fixed_size 0
		.amdhsa_private_segment_fixed_size 0
		.amdhsa_kernarg_size 72
		.amdhsa_user_sgpr_count 15
		.amdhsa_user_sgpr_dispatch_ptr 0
		.amdhsa_user_sgpr_queue_ptr 0
		.amdhsa_user_sgpr_kernarg_segment_ptr 1
		.amdhsa_user_sgpr_dispatch_id 0
		.amdhsa_user_sgpr_private_segment_size 0
		.amdhsa_wavefront_size32 1
		.amdhsa_uses_dynamic_stack 0
		.amdhsa_enable_private_segment 0
		.amdhsa_system_sgpr_workgroup_id_x 1
		.amdhsa_system_sgpr_workgroup_id_y 0
		.amdhsa_system_sgpr_workgroup_id_z 0
		.amdhsa_system_sgpr_workgroup_info 0
		.amdhsa_system_vgpr_workitem_id 0
		.amdhsa_next_free_vgpr 68
		.amdhsa_next_free_sgpr 16
		.amdhsa_reserve_vcc 1
		.amdhsa_float_round_mode_32 0
		.amdhsa_float_round_mode_16_64 0
		.amdhsa_float_denorm_mode_32 3
		.amdhsa_float_denorm_mode_16_64 3
		.amdhsa_dx10_clamp 1
		.amdhsa_ieee_mode 1
		.amdhsa_fp16_overflow 0
		.amdhsa_workgroup_processor_mode 1
		.amdhsa_memory_ordered 1
		.amdhsa_forward_progress 0
		.amdhsa_shared_vgpr_count 0
		.amdhsa_exception_fp_ieee_invalid_op 0
		.amdhsa_exception_fp_denorm_src 0
		.amdhsa_exception_fp_ieee_div_zero 0
		.amdhsa_exception_fp_ieee_overflow 0
		.amdhsa_exception_fp_ieee_underflow 0
		.amdhsa_exception_fp_ieee_inexact 0
		.amdhsa_exception_int_div_zero 0
	.end_amdhsa_kernel
	.section	.text._ZN9rocsparseL19gebsrmvn_3xn_kernelILj128ELj6ELj4EdEEvi20rocsparse_direction_NS_24const_host_device_scalarIT2_EEPKiS6_PKS3_S8_S4_PS3_21rocsparse_index_base_b,"axG",@progbits,_ZN9rocsparseL19gebsrmvn_3xn_kernelILj128ELj6ELj4EdEEvi20rocsparse_direction_NS_24const_host_device_scalarIT2_EEPKiS6_PKS3_S8_S4_PS3_21rocsparse_index_base_b,comdat
.Lfunc_end57:
	.size	_ZN9rocsparseL19gebsrmvn_3xn_kernelILj128ELj6ELj4EdEEvi20rocsparse_direction_NS_24const_host_device_scalarIT2_EEPKiS6_PKS3_S8_S4_PS3_21rocsparse_index_base_b, .Lfunc_end57-_ZN9rocsparseL19gebsrmvn_3xn_kernelILj128ELj6ELj4EdEEvi20rocsparse_direction_NS_24const_host_device_scalarIT2_EEPKiS6_PKS3_S8_S4_PS3_21rocsparse_index_base_b
                                        ; -- End function
	.section	.AMDGPU.csdata,"",@progbits
; Kernel info:
; codeLenInByte = 3068
; NumSgprs: 18
; NumVgprs: 68
; ScratchSize: 0
; MemoryBound: 0
; FloatMode: 240
; IeeeMode: 1
; LDSByteSize: 0 bytes/workgroup (compile time only)
; SGPRBlocks: 2
; VGPRBlocks: 8
; NumSGPRsForWavesPerEU: 18
; NumVGPRsForWavesPerEU: 68
; Occupancy: 16
; WaveLimiterHint : 1
; COMPUTE_PGM_RSRC2:SCRATCH_EN: 0
; COMPUTE_PGM_RSRC2:USER_SGPR: 15
; COMPUTE_PGM_RSRC2:TRAP_HANDLER: 0
; COMPUTE_PGM_RSRC2:TGID_X_EN: 1
; COMPUTE_PGM_RSRC2:TGID_Y_EN: 0
; COMPUTE_PGM_RSRC2:TGID_Z_EN: 0
; COMPUTE_PGM_RSRC2:TIDIG_COMP_CNT: 0
	.section	.text._ZN9rocsparseL19gebsrmvn_3xn_kernelILj128ELj6ELj8EdEEvi20rocsparse_direction_NS_24const_host_device_scalarIT2_EEPKiS6_PKS3_S8_S4_PS3_21rocsparse_index_base_b,"axG",@progbits,_ZN9rocsparseL19gebsrmvn_3xn_kernelILj128ELj6ELj8EdEEvi20rocsparse_direction_NS_24const_host_device_scalarIT2_EEPKiS6_PKS3_S8_S4_PS3_21rocsparse_index_base_b,comdat
	.globl	_ZN9rocsparseL19gebsrmvn_3xn_kernelILj128ELj6ELj8EdEEvi20rocsparse_direction_NS_24const_host_device_scalarIT2_EEPKiS6_PKS3_S8_S4_PS3_21rocsparse_index_base_b ; -- Begin function _ZN9rocsparseL19gebsrmvn_3xn_kernelILj128ELj6ELj8EdEEvi20rocsparse_direction_NS_24const_host_device_scalarIT2_EEPKiS6_PKS3_S8_S4_PS3_21rocsparse_index_base_b
	.p2align	8
	.type	_ZN9rocsparseL19gebsrmvn_3xn_kernelILj128ELj6ELj8EdEEvi20rocsparse_direction_NS_24const_host_device_scalarIT2_EEPKiS6_PKS3_S8_S4_PS3_21rocsparse_index_base_b,@function
_ZN9rocsparseL19gebsrmvn_3xn_kernelILj128ELj6ELj8EdEEvi20rocsparse_direction_NS_24const_host_device_scalarIT2_EEPKiS6_PKS3_S8_S4_PS3_21rocsparse_index_base_b: ; @_ZN9rocsparseL19gebsrmvn_3xn_kernelILj128ELj6ELj8EdEEvi20rocsparse_direction_NS_24const_host_device_scalarIT2_EEPKiS6_PKS3_S8_S4_PS3_21rocsparse_index_base_b
; %bb.0:
	s_clause 0x2
	s_load_b64 s[12:13], s[0:1], 0x40
	s_load_b64 s[4:5], s[0:1], 0x8
	;; [unrolled: 1-line block ×3, first 2 shown]
	s_waitcnt lgkmcnt(0)
	s_bitcmp1_b32 s13, 0
	v_dual_mov_b32 v1, s4 :: v_dual_mov_b32 v2, s5
	s_cselect_b32 s6, -1, 0
	s_delay_alu instid0(SALU_CYCLE_1)
	s_and_b32 vcc_lo, exec_lo, s6
	s_xor_b32 s6, s6, -1
	s_cbranch_vccnz .LBB58_2
; %bb.1:
	v_dual_mov_b32 v1, s4 :: v_dual_mov_b32 v2, s5
	flat_load_b64 v[1:2], v[1:2]
.LBB58_2:
	v_dual_mov_b32 v4, s3 :: v_dual_mov_b32 v3, s2
	s_and_not1_b32 vcc_lo, exec_lo, s6
	s_cbranch_vccnz .LBB58_4
; %bb.3:
	v_dual_mov_b32 v4, s3 :: v_dual_mov_b32 v3, s2
	flat_load_b64 v[3:4], v[3:4]
.LBB58_4:
	s_waitcnt vmcnt(0) lgkmcnt(0)
	v_cmp_neq_f64_e32 vcc_lo, 0, v[1:2]
	v_cmp_neq_f64_e64 s2, 1.0, v[3:4]
	s_delay_alu instid0(VALU_DEP_1) | instskip(NEXT) | instid1(SALU_CYCLE_1)
	s_or_b32 s2, vcc_lo, s2
	s_and_saveexec_b32 s3, s2
	s_cbranch_execz .LBB58_23
; %bb.5:
	s_load_b64 s[2:3], s[0:1], 0x0
	v_lshrrev_b32_e32 v5, 3, v0
	s_delay_alu instid0(VALU_DEP_1) | instskip(SKIP_1) | instid1(VALU_DEP_1)
	v_lshl_or_b32 v5, s15, 4, v5
	s_waitcnt lgkmcnt(0)
	v_cmp_gt_i32_e32 vcc_lo, s2, v5
	s_and_b32 exec_lo, exec_lo, vcc_lo
	s_cbranch_execz .LBB58_23
; %bb.6:
	s_load_b256 s[4:11], s[0:1], 0x10
	v_ashrrev_i32_e32 v6, 31, v5
	v_and_b32_e32 v0, 7, v0
	s_cmp_lg_u32 s3, 0
	s_delay_alu instid0(VALU_DEP_2) | instskip(SKIP_1) | instid1(VALU_DEP_1)
	v_lshlrev_b64 v[6:7], 2, v[5:6]
	s_waitcnt lgkmcnt(0)
	v_add_co_u32 v6, vcc_lo, s4, v6
	s_delay_alu instid0(VALU_DEP_2) | instskip(SKIP_4) | instid1(VALU_DEP_2)
	v_add_co_ci_u32_e32 v7, vcc_lo, s5, v7, vcc_lo
	global_load_b64 v[6:7], v[6:7], off
	s_waitcnt vmcnt(0)
	v_subrev_nc_u32_e32 v6, s12, v6
	v_subrev_nc_u32_e32 v19, s12, v7
	v_add_nc_u32_e32 v8, v6, v0
	s_delay_alu instid0(VALU_DEP_1)
	v_cmp_lt_i32_e64 s2, v8, v19
	s_cbranch_scc0 .LBB58_12
; %bb.7:
	v_mov_b32_e32 v6, 0
	v_mov_b32_e32 v7, 0
	s_delay_alu instid0(VALU_DEP_1)
	v_dual_mov_b32 v11, v7 :: v_dual_mov_b32 v10, v6
	v_dual_mov_b32 v13, v7 :: v_dual_mov_b32 v12, v6
	s_and_saveexec_b32 s3, s2
	s_cbranch_execz .LBB58_11
; %bb.8:
	v_dual_mov_b32 v6, 0 :: v_dual_mov_b32 v17, v8
	v_dual_mov_b32 v7, 0 :: v_dual_mov_b32 v16, 0
	v_mad_u64_u32 v[14:15], null, v8, 18, 17
	s_mov_b32 s4, 0
	s_delay_alu instid0(VALU_DEP_2)
	v_dual_mov_b32 v11, v7 :: v_dual_mov_b32 v10, v6
	v_dual_mov_b32 v13, v7 :: v_dual_mov_b32 v12, v6
.LBB58_9:                               ; =>This Inner Loop Header: Depth=1
	v_ashrrev_i32_e32 v18, 31, v17
	s_delay_alu instid0(VALU_DEP_4) | instskip(SKIP_1) | instid1(VALU_DEP_3)
	v_subrev_nc_u32_e32 v15, 17, v14
	v_mov_b32_e32 v33, v16
	v_lshlrev_b64 v[20:21], 2, v[17:18]
	v_add_nc_u32_e32 v17, 8, v17
	s_delay_alu instid0(VALU_DEP_2) | instskip(NEXT) | instid1(VALU_DEP_3)
	v_add_co_u32 v20, vcc_lo, s6, v20
	v_add_co_ci_u32_e32 v21, vcc_lo, s7, v21, vcc_lo
	global_load_b32 v9, v[20:21], off
	v_lshlrev_b64 v[20:21], 3, v[15:16]
	v_add_nc_u32_e32 v15, -15, v14
	s_delay_alu instid0(VALU_DEP_1) | instskip(NEXT) | instid1(VALU_DEP_3)
	v_lshlrev_b64 v[22:23], 3, v[15:16]
	v_add_co_u32 v20, vcc_lo, s8, v20
	s_delay_alu instid0(VALU_DEP_4) | instskip(SKIP_1) | instid1(VALU_DEP_4)
	v_add_co_ci_u32_e32 v21, vcc_lo, s9, v21, vcc_lo
	v_add_nc_u32_e32 v15, -14, v14
	v_add_co_u32 v24, vcc_lo, s8, v22
	v_add_co_ci_u32_e32 v25, vcc_lo, s9, v23, vcc_lo
	s_delay_alu instid0(VALU_DEP_3) | instskip(SKIP_1) | instid1(VALU_DEP_1)
	v_lshlrev_b64 v[28:29], 3, v[15:16]
	v_add_nc_u32_e32 v15, -13, v14
	v_lshlrev_b64 v[30:31], 3, v[15:16]
	v_add_nc_u32_e32 v15, -12, v14
	s_waitcnt vmcnt(0)
	v_subrev_nc_u32_e32 v9, s12, v9
	s_delay_alu instid0(VALU_DEP_1) | instskip(NEXT) | instid1(VALU_DEP_1)
	v_mul_lo_u32 v32, v9, 6
	v_lshlrev_b64 v[22:23], 3, v[32:33]
	v_lshlrev_b64 v[33:34], 3, v[15:16]
	v_add_nc_u32_e32 v15, -11, v14
	s_delay_alu instid0(VALU_DEP_3) | instskip(NEXT) | instid1(VALU_DEP_4)
	v_add_co_u32 v26, vcc_lo, s10, v22
	v_add_co_ci_u32_e32 v27, vcc_lo, s11, v23, vcc_lo
	v_add_co_u32 v28, vcc_lo, s8, v28
	s_clause 0x1
	global_load_b128 v[20:23], v[20:21], off
	global_load_b64 v[36:37], v[24:25], off
	global_load_b128 v[24:27], v[26:27], off
	v_add_co_ci_u32_e32 v29, vcc_lo, s9, v29, vcc_lo
	v_add_co_u32 v30, vcc_lo, s8, v30
	v_add_co_ci_u32_e32 v31, vcc_lo, s9, v31, vcc_lo
	v_add_co_u32 v33, vcc_lo, s8, v33
	v_add_co_ci_u32_e32 v34, vcc_lo, s9, v34, vcc_lo
	s_clause 0x2
	global_load_b64 v[38:39], v[28:29], off
	global_load_b64 v[40:41], v[30:31], off
	;; [unrolled: 1-line block ×3, first 2 shown]
	v_lshlrev_b64 v[28:29], 3, v[15:16]
	v_add_nc_u32_e32 v15, 2, v32
	s_delay_alu instid0(VALU_DEP_1) | instskip(SKIP_1) | instid1(VALU_DEP_4)
	v_lshlrev_b64 v[30:31], 3, v[15:16]
	v_add_nc_u32_e32 v15, -10, v14
	v_add_co_u32 v28, vcc_lo, s8, v28
	v_add_co_ci_u32_e32 v29, vcc_lo, s9, v29, vcc_lo
	s_delay_alu instid0(VALU_DEP_3) | instskip(SKIP_3) | instid1(VALU_DEP_3)
	v_lshlrev_b64 v[33:34], 3, v[15:16]
	v_add_nc_u32_e32 v15, -9, v14
	v_add_co_u32 v30, vcc_lo, s10, v30
	v_add_co_ci_u32_e32 v31, vcc_lo, s11, v31, vcc_lo
	v_lshlrev_b64 v[44:45], 3, v[15:16]
	v_add_co_u32 v33, vcc_lo, s8, v33
	v_add_co_ci_u32_e32 v34, vcc_lo, s9, v34, vcc_lo
	v_add_nc_u32_e32 v15, -8, v14
	s_delay_alu instid0(VALU_DEP_4)
	v_add_co_u32 v44, vcc_lo, s8, v44
	v_add_co_ci_u32_e32 v45, vcc_lo, s9, v45, vcc_lo
	global_load_b64 v[46:47], v[28:29], off
	global_load_b128 v[28:31], v[30:31], off
	s_clause 0x1
	global_load_b64 v[48:49], v[33:34], off
	global_load_b64 v[44:45], v[44:45], off
	v_lshlrev_b64 v[33:34], 3, v[15:16]
	v_add_nc_u32_e32 v15, -7, v14
	s_delay_alu instid0(VALU_DEP_1) | instskip(SKIP_1) | instid1(VALU_DEP_4)
	v_lshlrev_b64 v[50:51], 3, v[15:16]
	v_add_nc_u32_e32 v15, -6, v14
	v_add_co_u32 v33, vcc_lo, s8, v33
	v_add_co_ci_u32_e32 v34, vcc_lo, s9, v34, vcc_lo
	s_delay_alu instid0(VALU_DEP_3) | instskip(SKIP_3) | instid1(VALU_DEP_4)
	v_lshlrev_b64 v[52:53], 3, v[15:16]
	v_add_co_u32 v50, vcc_lo, s8, v50
	v_add_co_ci_u32_e32 v51, vcc_lo, s9, v51, vcc_lo
	v_add_nc_u32_e32 v15, -5, v14
	v_add_co_u32 v52, vcc_lo, s8, v52
	v_add_co_ci_u32_e32 v53, vcc_lo, s9, v53, vcc_lo
	s_clause 0x2
	global_load_b64 v[54:55], v[33:34], off
	global_load_b64 v[50:51], v[50:51], off
	;; [unrolled: 1-line block ×3, first 2 shown]
	v_lshlrev_b64 v[33:34], 3, v[15:16]
	v_add_nc_u32_e32 v15, 4, v32
	s_delay_alu instid0(VALU_DEP_1) | instskip(SKIP_1) | instid1(VALU_DEP_4)
	v_lshlrev_b64 v[56:57], 3, v[15:16]
	v_add_nc_u32_e32 v15, -4, v14
	v_add_co_u32 v32, vcc_lo, s8, v33
	v_add_co_ci_u32_e32 v33, vcc_lo, s9, v34, vcc_lo
	s_delay_alu instid0(VALU_DEP_3) | instskip(SKIP_3) | instid1(VALU_DEP_3)
	v_lshlrev_b64 v[34:35], 3, v[15:16]
	v_add_nc_u32_e32 v15, -3, v14
	v_add_co_u32 v56, vcc_lo, s10, v56
	v_add_co_ci_u32_e32 v57, vcc_lo, s11, v57, vcc_lo
	v_lshlrev_b64 v[58:59], 3, v[15:16]
	v_add_co_u32 v60, vcc_lo, s8, v34
	v_add_co_ci_u32_e32 v61, vcc_lo, s9, v35, vcc_lo
	v_mov_b32_e32 v15, v16
	s_delay_alu instid0(VALU_DEP_4)
	v_add_co_u32 v58, vcc_lo, s8, v58
	v_add_co_ci_u32_e32 v59, vcc_lo, s9, v59, vcc_lo
	global_load_b64 v[62:63], v[32:33], off
	global_load_b128 v[32:35], v[56:57], off
	s_clause 0x1
	global_load_b64 v[56:57], v[60:61], off
	global_load_b64 v[58:59], v[58:59], off
	v_lshlrev_b64 v[60:61], 3, v[14:15]
	v_add_nc_u32_e32 v15, -2, v14
	s_delay_alu instid0(VALU_DEP_1) | instskip(SKIP_4) | instid1(VALU_DEP_4)
	v_lshlrev_b64 v[64:65], 3, v[15:16]
	v_add_nc_u32_e32 v15, -1, v14
	v_add_nc_u32_e32 v14, 0x90, v14
	v_add_co_u32 v60, vcc_lo, s8, v60
	v_add_co_ci_u32_e32 v61, vcc_lo, s9, v61, vcc_lo
	v_lshlrev_b64 v[66:67], 3, v[15:16]
	v_add_co_u32 v64, vcc_lo, s8, v64
	v_add_co_ci_u32_e32 v65, vcc_lo, s9, v65, vcc_lo
	s_delay_alu instid0(VALU_DEP_3) | instskip(NEXT) | instid1(VALU_DEP_4)
	v_add_co_u32 v66, vcc_lo, s8, v66
	v_add_co_ci_u32_e32 v67, vcc_lo, s9, v67, vcc_lo
	s_clause 0x2
	global_load_b64 v[60:61], v[60:61], off
	global_load_b64 v[64:65], v[64:65], off
	;; [unrolled: 1-line block ×3, first 2 shown]
	v_cmp_ge_i32_e32 vcc_lo, v17, v19
	s_or_b32 s4, vcc_lo, s4
	s_waitcnt vmcnt(17)
	v_fma_f64 v[6:7], v[20:21], v[24:25], v[6:7]
	v_fma_f64 v[12:13], v[22:23], v[24:25], v[12:13]
	;; [unrolled: 1-line block ×3, first 2 shown]
	s_waitcnt vmcnt(16)
	s_delay_alu instid0(VALU_DEP_3) | instskip(SKIP_1) | instid1(VALU_DEP_3)
	v_fma_f64 v[6:7], v[38:39], v[26:27], v[6:7]
	s_waitcnt vmcnt(15)
	v_fma_f64 v[11:12], v[40:41], v[26:27], v[12:13]
	s_waitcnt vmcnt(14)
	s_delay_alu instid0(VALU_DEP_3) | instskip(SKIP_1) | instid1(VALU_DEP_3)
	v_fma_f64 v[9:10], v[42:43], v[26:27], v[9:10]
	s_waitcnt vmcnt(12)
	v_fma_f64 v[6:7], v[46:47], v[28:29], v[6:7]
	;; [unrolled: 5-line block ×7, first 2 shown]
	s_delay_alu instid0(VALU_DEP_3)
	v_fma_f64 v[10:11], v[60:61], v[34:35], v[9:10]
	s_and_not1_b32 exec_lo, exec_lo, s4
	s_cbranch_execnz .LBB58_9
; %bb.10:
	s_or_b32 exec_lo, exec_lo, s4
.LBB58_11:
	s_delay_alu instid0(SALU_CYCLE_1)
	s_or_b32 exec_lo, exec_lo, s3
	s_cbranch_execz .LBB58_13
	s_branch .LBB58_18
.LBB58_12:
                                        ; implicit-def: $vgpr6_vgpr7
                                        ; implicit-def: $vgpr10_vgpr11
                                        ; implicit-def: $vgpr12_vgpr13
.LBB58_13:
	v_mov_b32_e32 v6, 0
	v_mov_b32_e32 v7, 0
	s_delay_alu instid0(VALU_DEP_1)
	v_dual_mov_b32 v11, v7 :: v_dual_mov_b32 v10, v6
	v_dual_mov_b32 v13, v7 :: v_dual_mov_b32 v12, v6
	s_and_saveexec_b32 s3, s2
	s_cbranch_execz .LBB58_17
; %bb.14:
	v_mov_b32_e32 v6, 0
	v_dual_mov_b32 v7, 0 :: v_dual_mov_b32 v16, 0
	v_mad_u64_u32 v[14:15], null, v8, 18, 17
	s_mov_b32 s2, 0
	s_delay_alu instid0(VALU_DEP_2)
	v_dual_mov_b32 v11, v7 :: v_dual_mov_b32 v10, v6
	v_dual_mov_b32 v13, v7 :: v_dual_mov_b32 v12, v6
.LBB58_15:                              ; =>This Inner Loop Header: Depth=1
	v_ashrrev_i32_e32 v9, 31, v8
	s_delay_alu instid0(VALU_DEP_4) | instskip(SKIP_2) | instid1(VALU_DEP_4)
	v_subrev_nc_u32_e32 v15, 17, v14
	v_dual_mov_b32 v33, v16 :: v_dual_add_nc_u32 v20, -5, v14
	v_mov_b32_e32 v21, v16
	v_lshlrev_b64 v[17:18], 2, v[8:9]
	v_add_nc_u32_e32 v8, 8, v8
	v_lshlrev_b64 v[22:23], 3, v[15:16]
	v_add_nc_u32_e32 v15, -10, v14
	v_lshlrev_b64 v[20:21], 3, v[20:21]
	v_add_co_u32 v17, vcc_lo, s6, v17
	v_add_co_ci_u32_e32 v18, vcc_lo, s7, v18, vcc_lo
	v_add_co_u32 v22, vcc_lo, s8, v22
	v_add_co_ci_u32_e32 v23, vcc_lo, s9, v23, vcc_lo
	global_load_b32 v9, v[17:18], off
	v_dual_mov_b32 v18, v16 :: v_dual_add_nc_u32 v17, -11, v14
	v_lshlrev_b64 v[28:29], 3, v[15:16]
	v_add_nc_u32_e32 v15, -4, v14
	s_delay_alu instid0(VALU_DEP_3) | instskip(NEXT) | instid1(VALU_DEP_2)
	v_lshlrev_b64 v[17:18], 3, v[17:18]
	v_lshlrev_b64 v[30:31], 3, v[15:16]
	v_add_nc_u32_e32 v15, -15, v14
	s_delay_alu instid0(VALU_DEP_3) | instskip(NEXT) | instid1(VALU_DEP_4)
	v_add_co_u32 v17, vcc_lo, s8, v17
	v_add_co_ci_u32_e32 v18, vcc_lo, s9, v18, vcc_lo
	v_add_co_u32 v24, vcc_lo, s8, v20
	v_add_co_ci_u32_e32 v25, vcc_lo, s9, v21, vcc_lo
	global_load_b128 v[20:23], v[22:23], off
	s_waitcnt vmcnt(1)
	v_subrev_nc_u32_e32 v9, s12, v9
	s_delay_alu instid0(VALU_DEP_1) | instskip(NEXT) | instid1(VALU_DEP_1)
	v_mul_lo_u32 v32, v9, 6
	v_lshlrev_b64 v[26:27], 3, v[32:33]
	s_delay_alu instid0(VALU_DEP_1) | instskip(NEXT) | instid1(VALU_DEP_2)
	v_add_co_u32 v26, vcc_lo, s10, v26
	v_add_co_ci_u32_e32 v27, vcc_lo, s11, v27, vcc_lo
	s_clause 0x1
	global_load_b64 v[17:18], v[17:18], off
	global_load_b64 v[36:37], v[24:25], off
	global_load_b128 v[24:27], v[26:27], off
	v_add_co_u32 v28, vcc_lo, s8, v28
	v_add_co_ci_u32_e32 v29, vcc_lo, s9, v29, vcc_lo
	v_add_co_u32 v30, vcc_lo, s8, v30
	v_add_co_ci_u32_e32 v31, vcc_lo, s9, v31, vcc_lo
	s_clause 0x1
	global_load_b64 v[38:39], v[28:29], off
	global_load_b64 v[40:41], v[30:31], off
	v_lshlrev_b64 v[28:29], 3, v[15:16]
	v_add_nc_u32_e32 v15, 2, v32
	s_delay_alu instid0(VALU_DEP_1) | instskip(SKIP_1) | instid1(VALU_DEP_4)
	v_lshlrev_b64 v[30:31], 3, v[15:16]
	v_add_nc_u32_e32 v15, -9, v14
	v_add_co_u32 v28, vcc_lo, s8, v28
	v_add_co_ci_u32_e32 v29, vcc_lo, s9, v29, vcc_lo
	s_delay_alu instid0(VALU_DEP_3) | instskip(SKIP_3) | instid1(VALU_DEP_3)
	v_lshlrev_b64 v[33:34], 3, v[15:16]
	v_add_nc_u32_e32 v15, -3, v14
	v_add_co_u32 v30, vcc_lo, s10, v30
	v_add_co_ci_u32_e32 v31, vcc_lo, s11, v31, vcc_lo
	v_lshlrev_b64 v[42:43], 3, v[15:16]
	v_add_co_u32 v33, vcc_lo, s8, v33
	v_add_co_ci_u32_e32 v34, vcc_lo, s9, v34, vcc_lo
	v_add_nc_u32_e32 v15, -14, v14
	s_delay_alu instid0(VALU_DEP_4)
	v_add_co_u32 v42, vcc_lo, s8, v42
	v_add_co_ci_u32_e32 v43, vcc_lo, s9, v43, vcc_lo
	global_load_b64 v[44:45], v[28:29], off
	global_load_b128 v[28:31], v[30:31], off
	s_clause 0x1
	global_load_b64 v[46:47], v[33:34], off
	global_load_b64 v[42:43], v[42:43], off
	v_lshlrev_b64 v[33:34], 3, v[15:16]
	v_add_nc_u32_e32 v15, -8, v14
	s_delay_alu instid0(VALU_DEP_1) | instskip(SKIP_1) | instid1(VALU_DEP_4)
	v_lshlrev_b64 v[48:49], 3, v[15:16]
	v_add_nc_u32_e32 v15, -2, v14
	v_add_co_u32 v33, vcc_lo, s8, v33
	v_add_co_ci_u32_e32 v34, vcc_lo, s9, v34, vcc_lo
	s_delay_alu instid0(VALU_DEP_3) | instskip(SKIP_3) | instid1(VALU_DEP_4)
	v_lshlrev_b64 v[50:51], 3, v[15:16]
	v_add_co_u32 v48, vcc_lo, s8, v48
	v_add_co_ci_u32_e32 v49, vcc_lo, s9, v49, vcc_lo
	v_add_nc_u32_e32 v15, -13, v14
	v_add_co_u32 v50, vcc_lo, s8, v50
	v_add_co_ci_u32_e32 v51, vcc_lo, s9, v51, vcc_lo
	s_clause 0x2
	global_load_b64 v[52:53], v[33:34], off
	global_load_b64 v[48:49], v[48:49], off
	;; [unrolled: 1-line block ×3, first 2 shown]
	v_lshlrev_b64 v[33:34], 3, v[15:16]
	v_add_nc_u32_e32 v15, 4, v32
	s_delay_alu instid0(VALU_DEP_1) | instskip(SKIP_1) | instid1(VALU_DEP_4)
	v_lshlrev_b64 v[54:55], 3, v[15:16]
	v_add_nc_u32_e32 v15, -7, v14
	v_add_co_u32 v32, vcc_lo, s8, v33
	v_add_co_ci_u32_e32 v33, vcc_lo, s9, v34, vcc_lo
	s_delay_alu instid0(VALU_DEP_3) | instskip(SKIP_3) | instid1(VALU_DEP_3)
	v_lshlrev_b64 v[34:35], 3, v[15:16]
	v_add_nc_u32_e32 v15, -1, v14
	v_add_co_u32 v54, vcc_lo, s10, v54
	v_add_co_ci_u32_e32 v55, vcc_lo, s11, v55, vcc_lo
	v_lshlrev_b64 v[56:57], 3, v[15:16]
	v_add_co_u32 v58, vcc_lo, s8, v34
	v_add_co_ci_u32_e32 v59, vcc_lo, s9, v35, vcc_lo
	v_mov_b32_e32 v15, v16
	s_delay_alu instid0(VALU_DEP_4)
	v_add_co_u32 v56, vcc_lo, s8, v56
	v_add_co_ci_u32_e32 v57, vcc_lo, s9, v57, vcc_lo
	global_load_b64 v[60:61], v[32:33], off
	global_load_b128 v[32:35], v[54:55], off
	s_clause 0x1
	global_load_b64 v[54:55], v[58:59], off
	global_load_b64 v[56:57], v[56:57], off
	v_lshlrev_b64 v[58:59], 3, v[14:15]
	v_add_nc_u32_e32 v15, -12, v14
	s_delay_alu instid0(VALU_DEP_1) | instskip(SKIP_4) | instid1(VALU_DEP_4)
	v_lshlrev_b64 v[62:63], 3, v[15:16]
	v_add_nc_u32_e32 v15, -6, v14
	v_add_nc_u32_e32 v14, 0x90, v14
	v_add_co_u32 v58, vcc_lo, s8, v58
	v_add_co_ci_u32_e32 v59, vcc_lo, s9, v59, vcc_lo
	v_lshlrev_b64 v[64:65], 3, v[15:16]
	v_add_co_u32 v62, vcc_lo, s8, v62
	v_add_co_ci_u32_e32 v63, vcc_lo, s9, v63, vcc_lo
	s_delay_alu instid0(VALU_DEP_3) | instskip(NEXT) | instid1(VALU_DEP_4)
	v_add_co_u32 v64, vcc_lo, s8, v64
	v_add_co_ci_u32_e32 v65, vcc_lo, s9, v65, vcc_lo
	s_clause 0x2
	global_load_b64 v[58:59], v[58:59], off
	global_load_b64 v[62:63], v[62:63], off
	;; [unrolled: 1-line block ×3, first 2 shown]
	v_cmp_ge_i32_e32 vcc_lo, v8, v19
	s_or_b32 s2, vcc_lo, s2
	s_waitcnt vmcnt(16)
	v_fma_f64 v[6:7], v[20:21], v[24:25], v[6:7]
	v_fma_f64 v[12:13], v[17:18], v[24:25], v[12:13]
	;; [unrolled: 1-line block ×3, first 2 shown]
	s_delay_alu instid0(VALU_DEP_3) | instskip(SKIP_1) | instid1(VALU_DEP_3)
	v_fma_f64 v[6:7], v[22:23], v[26:27], v[6:7]
	s_waitcnt vmcnt(15)
	v_fma_f64 v[11:12], v[38:39], v[26:27], v[12:13]
	s_waitcnt vmcnt(14)
	s_delay_alu instid0(VALU_DEP_3) | instskip(SKIP_1) | instid1(VALU_DEP_3)
	v_fma_f64 v[9:10], v[40:41], v[26:27], v[9:10]
	s_waitcnt vmcnt(12)
	v_fma_f64 v[6:7], v[44:45], v[28:29], v[6:7]
	s_waitcnt vmcnt(11)
	;; [unrolled: 5-line block ×6, first 2 shown]
	s_delay_alu instid0(VALU_DEP_3) | instskip(SKIP_1) | instid1(VALU_DEP_3)
	v_fma_f64 v[6:7], v[62:63], v[34:35], v[6:7]
	s_waitcnt vmcnt(0)
	v_fma_f64 v[12:13], v[64:65], v[34:35], v[11:12]
	s_delay_alu instid0(VALU_DEP_3)
	v_fma_f64 v[10:11], v[58:59], v[34:35], v[9:10]
	s_and_not1_b32 exec_lo, exec_lo, s2
	s_cbranch_execnz .LBB58_15
; %bb.16:
	s_or_b32 exec_lo, exec_lo, s2
.LBB58_17:
	s_delay_alu instid0(SALU_CYCLE_1)
	s_or_b32 exec_lo, exec_lo, s3
.LBB58_18:
	v_mbcnt_lo_u32_b32 v18, -1, 0
	s_delay_alu instid0(VALU_DEP_1) | instskip(NEXT) | instid1(VALU_DEP_1)
	v_xor_b32_e32 v8, 4, v18
	v_cmp_gt_i32_e32 vcc_lo, 32, v8
	v_cndmask_b32_e32 v8, v18, v8, vcc_lo
	s_delay_alu instid0(VALU_DEP_1)
	v_lshlrev_b32_e32 v17, 2, v8
	ds_bpermute_b32 v8, v17, v6
	ds_bpermute_b32 v9, v17, v7
	;; [unrolled: 1-line block ×6, first 2 shown]
	s_waitcnt lgkmcnt(4)
	v_add_f64 v[6:7], v[6:7], v[8:9]
	v_xor_b32_e32 v8, 2, v18
	s_waitcnt lgkmcnt(2)
	v_add_f64 v[12:13], v[12:13], v[14:15]
	s_waitcnt lgkmcnt(0)
	v_add_f64 v[10:11], v[10:11], v[16:17]
	v_cmp_gt_i32_e32 vcc_lo, 32, v8
	v_cndmask_b32_e32 v8, v18, v8, vcc_lo
	s_delay_alu instid0(VALU_DEP_1)
	v_lshlrev_b32_e32 v17, 2, v8
	ds_bpermute_b32 v8, v17, v6
	ds_bpermute_b32 v9, v17, v7
	;; [unrolled: 1-line block ×6, first 2 shown]
	s_waitcnt lgkmcnt(4)
	v_add_f64 v[8:9], v[6:7], v[8:9]
	s_waitcnt lgkmcnt(2)
	v_add_f64 v[6:7], v[12:13], v[14:15]
	;; [unrolled: 2-line block ×3, first 2 shown]
	v_xor_b32_e32 v10, 1, v18
	s_delay_alu instid0(VALU_DEP_1) | instskip(SKIP_2) | instid1(VALU_DEP_2)
	v_cmp_gt_i32_e32 vcc_lo, 32, v10
	v_cndmask_b32_e32 v10, v18, v10, vcc_lo
	v_cmp_eq_u32_e32 vcc_lo, 7, v0
	v_lshlrev_b32_e32 v15, 2, v10
	ds_bpermute_b32 v10, v15, v8
	ds_bpermute_b32 v11, v15, v9
	;; [unrolled: 1-line block ×6, first 2 shown]
	s_and_b32 exec_lo, exec_lo, vcc_lo
	s_cbranch_execz .LBB58_23
; %bb.19:
	s_waitcnt lgkmcnt(4)
	v_add_f64 v[10:11], v[8:9], v[10:11]
	s_waitcnt lgkmcnt(2)
	v_add_f64 v[8:9], v[6:7], v[16:17]
	;; [unrolled: 2-line block ×3, first 2 shown]
	s_load_b64 s[0:1], s[0:1], 0x38
	s_mov_b32 s2, exec_lo
	v_cmpx_eq_f64_e32 0, v[3:4]
	s_xor_b32 s2, exec_lo, s2
	s_cbranch_execz .LBB58_21
; %bb.20:
	s_delay_alu instid0(VALU_DEP_4) | instskip(NEXT) | instid1(VALU_DEP_4)
	v_mul_f64 v[10:11], v[1:2], v[10:11]
	v_mul_f64 v[12:13], v[1:2], v[8:9]
	s_delay_alu instid0(VALU_DEP_4) | instskip(SKIP_1) | instid1(VALU_DEP_1)
	v_mul_f64 v[0:1], v[1:2], v[6:7]
	v_lshl_add_u32 v2, v5, 1, v5
                                        ; implicit-def: $vgpr5
                                        ; implicit-def: $vgpr8_vgpr9
                                        ; implicit-def: $vgpr6_vgpr7
	v_ashrrev_i32_e32 v3, 31, v2
	s_delay_alu instid0(VALU_DEP_1) | instskip(SKIP_1) | instid1(VALU_DEP_1)
	v_lshlrev_b64 v[2:3], 3, v[2:3]
	s_waitcnt lgkmcnt(0)
	v_add_co_u32 v2, vcc_lo, s0, v2
	s_delay_alu instid0(VALU_DEP_2)
	v_add_co_ci_u32_e32 v3, vcc_lo, s1, v3, vcc_lo
	s_clause 0x1
	global_store_b128 v[2:3], v[10:13], off
	global_store_b64 v[2:3], v[0:1], off offset:16
                                        ; implicit-def: $vgpr1_vgpr2
                                        ; implicit-def: $vgpr10_vgpr11
                                        ; implicit-def: $vgpr3_vgpr4
.LBB58_21:
	s_and_not1_saveexec_b32 s2, s2
	s_cbranch_execz .LBB58_23
; %bb.22:
	v_lshl_add_u32 v12, v5, 1, v5
	v_mul_f64 v[10:11], v[1:2], v[10:11]
	v_mul_f64 v[8:9], v[1:2], v[8:9]
	;; [unrolled: 1-line block ×3, first 2 shown]
	s_delay_alu instid0(VALU_DEP_4) | instskip(NEXT) | instid1(VALU_DEP_1)
	v_ashrrev_i32_e32 v13, 31, v12
	v_lshlrev_b64 v[12:13], 3, v[12:13]
	s_waitcnt lgkmcnt(0)
	s_delay_alu instid0(VALU_DEP_1) | instskip(NEXT) | instid1(VALU_DEP_2)
	v_add_co_u32 v16, vcc_lo, s0, v12
	v_add_co_ci_u32_e32 v17, vcc_lo, s1, v13, vcc_lo
	s_clause 0x1
	global_load_b128 v[12:15], v[16:17], off
	global_load_b64 v[18:19], v[16:17], off offset:16
	s_waitcnt vmcnt(1)
	v_fma_f64 v[5:6], v[3:4], v[12:13], v[10:11]
	v_fma_f64 v[7:8], v[3:4], v[14:15], v[8:9]
	s_waitcnt vmcnt(0)
	v_fma_f64 v[0:1], v[3:4], v[18:19], v[0:1]
	s_clause 0x1
	global_store_b128 v[16:17], v[5:8], off
	global_store_b64 v[16:17], v[0:1], off offset:16
.LBB58_23:
	s_nop 0
	s_sendmsg sendmsg(MSG_DEALLOC_VGPRS)
	s_endpgm
	.section	.rodata,"a",@progbits
	.p2align	6, 0x0
	.amdhsa_kernel _ZN9rocsparseL19gebsrmvn_3xn_kernelILj128ELj6ELj8EdEEvi20rocsparse_direction_NS_24const_host_device_scalarIT2_EEPKiS6_PKS3_S8_S4_PS3_21rocsparse_index_base_b
		.amdhsa_group_segment_fixed_size 0
		.amdhsa_private_segment_fixed_size 0
		.amdhsa_kernarg_size 72
		.amdhsa_user_sgpr_count 15
		.amdhsa_user_sgpr_dispatch_ptr 0
		.amdhsa_user_sgpr_queue_ptr 0
		.amdhsa_user_sgpr_kernarg_segment_ptr 1
		.amdhsa_user_sgpr_dispatch_id 0
		.amdhsa_user_sgpr_private_segment_size 0
		.amdhsa_wavefront_size32 1
		.amdhsa_uses_dynamic_stack 0
		.amdhsa_enable_private_segment 0
		.amdhsa_system_sgpr_workgroup_id_x 1
		.amdhsa_system_sgpr_workgroup_id_y 0
		.amdhsa_system_sgpr_workgroup_id_z 0
		.amdhsa_system_sgpr_workgroup_info 0
		.amdhsa_system_vgpr_workitem_id 0
		.amdhsa_next_free_vgpr 68
		.amdhsa_next_free_sgpr 16
		.amdhsa_reserve_vcc 1
		.amdhsa_float_round_mode_32 0
		.amdhsa_float_round_mode_16_64 0
		.amdhsa_float_denorm_mode_32 3
		.amdhsa_float_denorm_mode_16_64 3
		.amdhsa_dx10_clamp 1
		.amdhsa_ieee_mode 1
		.amdhsa_fp16_overflow 0
		.amdhsa_workgroup_processor_mode 1
		.amdhsa_memory_ordered 1
		.amdhsa_forward_progress 0
		.amdhsa_shared_vgpr_count 0
		.amdhsa_exception_fp_ieee_invalid_op 0
		.amdhsa_exception_fp_denorm_src 0
		.amdhsa_exception_fp_ieee_div_zero 0
		.amdhsa_exception_fp_ieee_overflow 0
		.amdhsa_exception_fp_ieee_underflow 0
		.amdhsa_exception_fp_ieee_inexact 0
		.amdhsa_exception_int_div_zero 0
	.end_amdhsa_kernel
	.section	.text._ZN9rocsparseL19gebsrmvn_3xn_kernelILj128ELj6ELj8EdEEvi20rocsparse_direction_NS_24const_host_device_scalarIT2_EEPKiS6_PKS3_S8_S4_PS3_21rocsparse_index_base_b,"axG",@progbits,_ZN9rocsparseL19gebsrmvn_3xn_kernelILj128ELj6ELj8EdEEvi20rocsparse_direction_NS_24const_host_device_scalarIT2_EEPKiS6_PKS3_S8_S4_PS3_21rocsparse_index_base_b,comdat
.Lfunc_end58:
	.size	_ZN9rocsparseL19gebsrmvn_3xn_kernelILj128ELj6ELj8EdEEvi20rocsparse_direction_NS_24const_host_device_scalarIT2_EEPKiS6_PKS3_S8_S4_PS3_21rocsparse_index_base_b, .Lfunc_end58-_ZN9rocsparseL19gebsrmvn_3xn_kernelILj128ELj6ELj8EdEEvi20rocsparse_direction_NS_24const_host_device_scalarIT2_EEPKiS6_PKS3_S8_S4_PS3_21rocsparse_index_base_b
                                        ; -- End function
	.section	.AMDGPU.csdata,"",@progbits
; Kernel info:
; codeLenInByte = 3172
; NumSgprs: 18
; NumVgprs: 68
; ScratchSize: 0
; MemoryBound: 0
; FloatMode: 240
; IeeeMode: 1
; LDSByteSize: 0 bytes/workgroup (compile time only)
; SGPRBlocks: 2
; VGPRBlocks: 8
; NumSGPRsForWavesPerEU: 18
; NumVGPRsForWavesPerEU: 68
; Occupancy: 16
; WaveLimiterHint : 1
; COMPUTE_PGM_RSRC2:SCRATCH_EN: 0
; COMPUTE_PGM_RSRC2:USER_SGPR: 15
; COMPUTE_PGM_RSRC2:TRAP_HANDLER: 0
; COMPUTE_PGM_RSRC2:TGID_X_EN: 1
; COMPUTE_PGM_RSRC2:TGID_Y_EN: 0
; COMPUTE_PGM_RSRC2:TGID_Z_EN: 0
; COMPUTE_PGM_RSRC2:TIDIG_COMP_CNT: 0
	.section	.text._ZN9rocsparseL19gebsrmvn_3xn_kernelILj128ELj6ELj16EdEEvi20rocsparse_direction_NS_24const_host_device_scalarIT2_EEPKiS6_PKS3_S8_S4_PS3_21rocsparse_index_base_b,"axG",@progbits,_ZN9rocsparseL19gebsrmvn_3xn_kernelILj128ELj6ELj16EdEEvi20rocsparse_direction_NS_24const_host_device_scalarIT2_EEPKiS6_PKS3_S8_S4_PS3_21rocsparse_index_base_b,comdat
	.globl	_ZN9rocsparseL19gebsrmvn_3xn_kernelILj128ELj6ELj16EdEEvi20rocsparse_direction_NS_24const_host_device_scalarIT2_EEPKiS6_PKS3_S8_S4_PS3_21rocsparse_index_base_b ; -- Begin function _ZN9rocsparseL19gebsrmvn_3xn_kernelILj128ELj6ELj16EdEEvi20rocsparse_direction_NS_24const_host_device_scalarIT2_EEPKiS6_PKS3_S8_S4_PS3_21rocsparse_index_base_b
	.p2align	8
	.type	_ZN9rocsparseL19gebsrmvn_3xn_kernelILj128ELj6ELj16EdEEvi20rocsparse_direction_NS_24const_host_device_scalarIT2_EEPKiS6_PKS3_S8_S4_PS3_21rocsparse_index_base_b,@function
_ZN9rocsparseL19gebsrmvn_3xn_kernelILj128ELj6ELj16EdEEvi20rocsparse_direction_NS_24const_host_device_scalarIT2_EEPKiS6_PKS3_S8_S4_PS3_21rocsparse_index_base_b: ; @_ZN9rocsparseL19gebsrmvn_3xn_kernelILj128ELj6ELj16EdEEvi20rocsparse_direction_NS_24const_host_device_scalarIT2_EEPKiS6_PKS3_S8_S4_PS3_21rocsparse_index_base_b
; %bb.0:
	s_clause 0x2
	s_load_b64 s[12:13], s[0:1], 0x40
	s_load_b64 s[4:5], s[0:1], 0x8
	;; [unrolled: 1-line block ×3, first 2 shown]
	s_waitcnt lgkmcnt(0)
	s_bitcmp1_b32 s13, 0
	v_dual_mov_b32 v1, s4 :: v_dual_mov_b32 v2, s5
	s_cselect_b32 s6, -1, 0
	s_delay_alu instid0(SALU_CYCLE_1)
	s_and_b32 vcc_lo, exec_lo, s6
	s_xor_b32 s6, s6, -1
	s_cbranch_vccnz .LBB59_2
; %bb.1:
	v_dual_mov_b32 v1, s4 :: v_dual_mov_b32 v2, s5
	flat_load_b64 v[1:2], v[1:2]
.LBB59_2:
	v_dual_mov_b32 v4, s3 :: v_dual_mov_b32 v3, s2
	s_and_not1_b32 vcc_lo, exec_lo, s6
	s_cbranch_vccnz .LBB59_4
; %bb.3:
	v_dual_mov_b32 v4, s3 :: v_dual_mov_b32 v3, s2
	flat_load_b64 v[3:4], v[3:4]
.LBB59_4:
	s_waitcnt vmcnt(0) lgkmcnt(0)
	v_cmp_neq_f64_e32 vcc_lo, 0, v[1:2]
	v_cmp_neq_f64_e64 s2, 1.0, v[3:4]
	s_delay_alu instid0(VALU_DEP_1) | instskip(NEXT) | instid1(SALU_CYCLE_1)
	s_or_b32 s2, vcc_lo, s2
	s_and_saveexec_b32 s3, s2
	s_cbranch_execz .LBB59_23
; %bb.5:
	s_load_b64 s[2:3], s[0:1], 0x0
	v_lshrrev_b32_e32 v5, 4, v0
	s_delay_alu instid0(VALU_DEP_1) | instskip(SKIP_1) | instid1(VALU_DEP_1)
	v_lshl_or_b32 v5, s15, 3, v5
	s_waitcnt lgkmcnt(0)
	v_cmp_gt_i32_e32 vcc_lo, s2, v5
	s_and_b32 exec_lo, exec_lo, vcc_lo
	s_cbranch_execz .LBB59_23
; %bb.6:
	s_load_b256 s[4:11], s[0:1], 0x10
	v_ashrrev_i32_e32 v6, 31, v5
	v_and_b32_e32 v0, 15, v0
	s_cmp_lg_u32 s3, 0
	s_delay_alu instid0(VALU_DEP_2) | instskip(SKIP_1) | instid1(VALU_DEP_1)
	v_lshlrev_b64 v[6:7], 2, v[5:6]
	s_waitcnt lgkmcnt(0)
	v_add_co_u32 v6, vcc_lo, s4, v6
	s_delay_alu instid0(VALU_DEP_2) | instskip(SKIP_4) | instid1(VALU_DEP_2)
	v_add_co_ci_u32_e32 v7, vcc_lo, s5, v7, vcc_lo
	global_load_b64 v[6:7], v[6:7], off
	s_waitcnt vmcnt(0)
	v_subrev_nc_u32_e32 v6, s12, v6
	v_subrev_nc_u32_e32 v18, s12, v7
	v_add_nc_u32_e32 v12, v6, v0
	s_delay_alu instid0(VALU_DEP_1)
	v_cmp_lt_i32_e64 s2, v12, v18
	s_cbranch_scc0 .LBB59_12
; %bb.7:
	v_mov_b32_e32 v6, 0
	v_mov_b32_e32 v7, 0
	s_delay_alu instid0(VALU_DEP_1)
	v_dual_mov_b32 v9, v7 :: v_dual_mov_b32 v8, v6
	v_dual_mov_b32 v11, v7 :: v_dual_mov_b32 v10, v6
	s_and_saveexec_b32 s3, s2
	s_cbranch_execz .LBB59_11
; %bb.8:
	v_dual_mov_b32 v6, 0 :: v_dual_mov_b32 v15, 0
	v_dual_mov_b32 v7, 0 :: v_dual_mov_b32 v16, v12
	v_mad_u64_u32 v[13:14], null, v12, 18, 17
	s_mov_b32 s4, 0
	s_delay_alu instid0(VALU_DEP_2)
	v_dual_mov_b32 v9, v7 :: v_dual_mov_b32 v8, v6
	v_dual_mov_b32 v11, v7 :: v_dual_mov_b32 v10, v6
.LBB59_9:                               ; =>This Inner Loop Header: Depth=1
	v_ashrrev_i32_e32 v17, 31, v16
	s_delay_alu instid0(VALU_DEP_4) | instskip(SKIP_1) | instid1(VALU_DEP_3)
	v_subrev_nc_u32_e32 v14, 17, v13
	v_mov_b32_e32 v32, v15
	v_lshlrev_b64 v[19:20], 2, v[16:17]
	v_add_nc_u32_e32 v16, 16, v16
	s_delay_alu instid0(VALU_DEP_2) | instskip(NEXT) | instid1(VALU_DEP_3)
	v_add_co_u32 v19, vcc_lo, s6, v19
	v_add_co_ci_u32_e32 v20, vcc_lo, s7, v20, vcc_lo
	global_load_b32 v17, v[19:20], off
	v_lshlrev_b64 v[19:20], 3, v[14:15]
	v_add_nc_u32_e32 v14, -15, v13
	s_delay_alu instid0(VALU_DEP_1) | instskip(NEXT) | instid1(VALU_DEP_3)
	v_lshlrev_b64 v[21:22], 3, v[14:15]
	v_add_co_u32 v19, vcc_lo, s8, v19
	s_delay_alu instid0(VALU_DEP_4) | instskip(NEXT) | instid1(VALU_DEP_3)
	v_add_co_ci_u32_e32 v20, vcc_lo, s9, v20, vcc_lo
	v_add_co_u32 v23, vcc_lo, s8, v21
	s_delay_alu instid0(VALU_DEP_4) | instskip(SKIP_2) | instid1(VALU_DEP_1)
	v_add_co_ci_u32_e32 v24, vcc_lo, s9, v22, vcc_lo
	s_waitcnt vmcnt(0)
	v_subrev_nc_u32_e32 v14, s12, v17
	v_mul_lo_u32 v31, v14, 6
	v_add_nc_u32_e32 v14, -14, v13
	s_delay_alu instid0(VALU_DEP_1) | instskip(SKIP_1) | instid1(VALU_DEP_4)
	v_lshlrev_b64 v[27:28], 3, v[14:15]
	v_add_nc_u32_e32 v14, -13, v13
	v_lshlrev_b64 v[21:22], 3, v[31:32]
	s_delay_alu instid0(VALU_DEP_2) | instskip(SKIP_1) | instid1(VALU_DEP_3)
	v_lshlrev_b64 v[29:30], 3, v[14:15]
	v_add_nc_u32_e32 v14, -12, v13
	v_add_co_u32 v25, vcc_lo, s10, v21
	s_delay_alu instid0(VALU_DEP_4)
	v_add_co_ci_u32_e32 v26, vcc_lo, s11, v22, vcc_lo
	v_add_co_u32 v27, vcc_lo, s8, v27
	s_clause 0x1
	global_load_b128 v[19:22], v[19:20], off
	global_load_b64 v[35:36], v[23:24], off
	global_load_b128 v[23:26], v[25:26], off
	v_lshlrev_b64 v[32:33], 3, v[14:15]
	v_add_co_ci_u32_e32 v28, vcc_lo, s9, v28, vcc_lo
	v_add_co_u32 v29, vcc_lo, s8, v29
	v_add_co_ci_u32_e32 v30, vcc_lo, s9, v30, vcc_lo
	s_delay_alu instid0(VALU_DEP_4)
	v_add_co_u32 v32, vcc_lo, s8, v32
	v_add_co_ci_u32_e32 v33, vcc_lo, s9, v33, vcc_lo
	s_clause 0x2
	global_load_b64 v[37:38], v[27:28], off
	global_load_b64 v[39:40], v[29:30], off
	;; [unrolled: 1-line block ×3, first 2 shown]
	v_add_nc_u32_e32 v14, -11, v13
	s_delay_alu instid0(VALU_DEP_1) | instskip(SKIP_1) | instid1(VALU_DEP_1)
	v_lshlrev_b64 v[27:28], 3, v[14:15]
	v_add_nc_u32_e32 v14, 2, v31
	v_lshlrev_b64 v[29:30], 3, v[14:15]
	v_add_nc_u32_e32 v14, -10, v13
	s_delay_alu instid0(VALU_DEP_4) | instskip(SKIP_1) | instid1(VALU_DEP_3)
	v_add_co_u32 v27, vcc_lo, s8, v27
	v_add_co_ci_u32_e32 v28, vcc_lo, s9, v28, vcc_lo
	v_lshlrev_b64 v[32:33], 3, v[14:15]
	v_add_nc_u32_e32 v14, -9, v13
	v_add_co_u32 v29, vcc_lo, s10, v29
	v_add_co_ci_u32_e32 v30, vcc_lo, s11, v30, vcc_lo
	s_delay_alu instid0(VALU_DEP_3) | instskip(SKIP_3) | instid1(VALU_DEP_4)
	v_lshlrev_b64 v[43:44], 3, v[14:15]
	v_add_co_u32 v32, vcc_lo, s8, v32
	v_add_co_ci_u32_e32 v33, vcc_lo, s9, v33, vcc_lo
	v_add_nc_u32_e32 v14, -8, v13
	v_add_co_u32 v43, vcc_lo, s8, v43
	v_add_co_ci_u32_e32 v44, vcc_lo, s9, v44, vcc_lo
	global_load_b64 v[45:46], v[27:28], off
	global_load_b128 v[27:30], v[29:30], off
	s_clause 0x1
	global_load_b64 v[47:48], v[32:33], off
	global_load_b64 v[43:44], v[43:44], off
	v_lshlrev_b64 v[32:33], 3, v[14:15]
	v_add_nc_u32_e32 v14, -7, v13
	s_delay_alu instid0(VALU_DEP_1) | instskip(SKIP_1) | instid1(VALU_DEP_4)
	v_lshlrev_b64 v[49:50], 3, v[14:15]
	v_add_nc_u32_e32 v14, -6, v13
	v_add_co_u32 v32, vcc_lo, s8, v32
	v_add_co_ci_u32_e32 v33, vcc_lo, s9, v33, vcc_lo
	s_delay_alu instid0(VALU_DEP_3) | instskip(SKIP_3) | instid1(VALU_DEP_4)
	v_lshlrev_b64 v[51:52], 3, v[14:15]
	v_add_co_u32 v49, vcc_lo, s8, v49
	v_add_co_ci_u32_e32 v50, vcc_lo, s9, v50, vcc_lo
	v_add_nc_u32_e32 v14, -5, v13
	v_add_co_u32 v51, vcc_lo, s8, v51
	v_add_co_ci_u32_e32 v52, vcc_lo, s9, v52, vcc_lo
	s_clause 0x2
	global_load_b64 v[53:54], v[32:33], off
	global_load_b64 v[49:50], v[49:50], off
	global_load_b64 v[51:52], v[51:52], off
	v_lshlrev_b64 v[32:33], 3, v[14:15]
	v_add_nc_u32_e32 v14, 4, v31
	s_delay_alu instid0(VALU_DEP_1) | instskip(SKIP_1) | instid1(VALU_DEP_4)
	v_lshlrev_b64 v[55:56], 3, v[14:15]
	v_add_nc_u32_e32 v14, -4, v13
	v_add_co_u32 v31, vcc_lo, s8, v32
	v_add_co_ci_u32_e32 v32, vcc_lo, s9, v33, vcc_lo
	s_delay_alu instid0(VALU_DEP_3) | instskip(SKIP_3) | instid1(VALU_DEP_3)
	v_lshlrev_b64 v[33:34], 3, v[14:15]
	v_add_nc_u32_e32 v14, -3, v13
	v_add_co_u32 v55, vcc_lo, s10, v55
	v_add_co_ci_u32_e32 v56, vcc_lo, s11, v56, vcc_lo
	v_lshlrev_b64 v[57:58], 3, v[14:15]
	v_add_co_u32 v59, vcc_lo, s8, v33
	v_add_co_ci_u32_e32 v60, vcc_lo, s9, v34, vcc_lo
	v_mov_b32_e32 v14, v15
	s_delay_alu instid0(VALU_DEP_4)
	v_add_co_u32 v57, vcc_lo, s8, v57
	v_add_co_ci_u32_e32 v58, vcc_lo, s9, v58, vcc_lo
	global_load_b64 v[61:62], v[31:32], off
	global_load_b128 v[31:34], v[55:56], off
	s_clause 0x1
	global_load_b64 v[55:56], v[59:60], off
	global_load_b64 v[57:58], v[57:58], off
	v_lshlrev_b64 v[59:60], 3, v[13:14]
	v_add_nc_u32_e32 v14, -2, v13
	s_delay_alu instid0(VALU_DEP_1) | instskip(SKIP_4) | instid1(VALU_DEP_4)
	v_lshlrev_b64 v[63:64], 3, v[14:15]
	v_add_nc_u32_e32 v14, -1, v13
	v_add_nc_u32_e32 v13, 0x120, v13
	v_add_co_u32 v59, vcc_lo, s8, v59
	v_add_co_ci_u32_e32 v60, vcc_lo, s9, v60, vcc_lo
	v_lshlrev_b64 v[65:66], 3, v[14:15]
	v_add_co_u32 v63, vcc_lo, s8, v63
	v_add_co_ci_u32_e32 v64, vcc_lo, s9, v64, vcc_lo
	s_delay_alu instid0(VALU_DEP_3) | instskip(NEXT) | instid1(VALU_DEP_4)
	v_add_co_u32 v65, vcc_lo, s8, v65
	v_add_co_ci_u32_e32 v66, vcc_lo, s9, v66, vcc_lo
	s_clause 0x2
	global_load_b64 v[59:60], v[59:60], off
	global_load_b64 v[63:64], v[63:64], off
	;; [unrolled: 1-line block ×3, first 2 shown]
	v_cmp_ge_i32_e32 vcc_lo, v16, v18
	s_or_b32 s4, vcc_lo, s4
	s_waitcnt vmcnt(17)
	v_fma_f64 v[6:7], v[19:20], v[23:24], v[6:7]
	v_fma_f64 v[10:11], v[21:22], v[23:24], v[10:11]
	;; [unrolled: 1-line block ×3, first 2 shown]
	s_waitcnt vmcnt(16)
	s_delay_alu instid0(VALU_DEP_3) | instskip(SKIP_1) | instid1(VALU_DEP_3)
	v_fma_f64 v[6:7], v[37:38], v[25:26], v[6:7]
	s_waitcnt vmcnt(15)
	v_fma_f64 v[10:11], v[39:40], v[25:26], v[10:11]
	s_waitcnt vmcnt(14)
	s_delay_alu instid0(VALU_DEP_3) | instskip(SKIP_1) | instid1(VALU_DEP_3)
	v_fma_f64 v[8:9], v[41:42], v[25:26], v[8:9]
	s_waitcnt vmcnt(12)
	v_fma_f64 v[6:7], v[45:46], v[27:28], v[6:7]
	;; [unrolled: 5-line block ×7, first 2 shown]
	s_delay_alu instid0(VALU_DEP_3)
	v_fma_f64 v[8:9], v[59:60], v[33:34], v[8:9]
	s_and_not1_b32 exec_lo, exec_lo, s4
	s_cbranch_execnz .LBB59_9
; %bb.10:
	s_or_b32 exec_lo, exec_lo, s4
.LBB59_11:
	s_delay_alu instid0(SALU_CYCLE_1)
	s_or_b32 exec_lo, exec_lo, s3
	s_cbranch_execz .LBB59_13
	s_branch .LBB59_18
.LBB59_12:
                                        ; implicit-def: $vgpr6_vgpr7
                                        ; implicit-def: $vgpr8_vgpr9
                                        ; implicit-def: $vgpr10_vgpr11
.LBB59_13:
	v_mov_b32_e32 v6, 0
	v_mov_b32_e32 v7, 0
	s_delay_alu instid0(VALU_DEP_1)
	v_dual_mov_b32 v9, v7 :: v_dual_mov_b32 v8, v6
	v_dual_mov_b32 v11, v7 :: v_dual_mov_b32 v10, v6
	s_and_saveexec_b32 s3, s2
	s_cbranch_execz .LBB59_17
; %bb.14:
	v_mov_b32_e32 v6, 0
	v_dual_mov_b32 v7, 0 :: v_dual_mov_b32 v16, 0
	v_mad_u64_u32 v[14:15], null, v12, 18, 17
	s_mov_b32 s2, 0
	s_delay_alu instid0(VALU_DEP_2)
	v_dual_mov_b32 v9, v7 :: v_dual_mov_b32 v8, v6
	v_dual_mov_b32 v11, v7 :: v_dual_mov_b32 v10, v6
.LBB59_15:                              ; =>This Inner Loop Header: Depth=1
	v_ashrrev_i32_e32 v13, 31, v12
	s_delay_alu instid0(VALU_DEP_4) | instskip(SKIP_2) | instid1(VALU_DEP_4)
	v_subrev_nc_u32_e32 v15, 17, v14
	v_dual_mov_b32 v22, v16 :: v_dual_add_nc_u32 v21, -5, v14
	v_mov_b32_e32 v32, v16
	v_lshlrev_b64 v[19:20], 2, v[12:13]
	s_delay_alu instid0(VALU_DEP_4) | instskip(SKIP_2) | instid1(VALU_DEP_4)
	v_lshlrev_b64 v[23:24], 3, v[15:16]
	v_add_nc_u32_e32 v15, -10, v14
	v_add_nc_u32_e32 v12, 16, v12
	v_add_co_u32 v19, vcc_lo, s6, v19
	v_add_co_ci_u32_e32 v20, vcc_lo, s7, v20, vcc_lo
	v_add_co_u32 v23, vcc_lo, s8, v23
	v_add_co_ci_u32_e32 v24, vcc_lo, s9, v24, vcc_lo
	global_load_b32 v13, v[19:20], off
	v_dual_mov_b32 v20, v16 :: v_dual_add_nc_u32 v19, -11, v14
	v_lshlrev_b64 v[21:22], 3, v[21:22]
	s_delay_alu instid0(VALU_DEP_2) | instskip(NEXT) | instid1(VALU_DEP_1)
	v_lshlrev_b64 v[19:20], 3, v[19:20]
	v_add_co_u32 v25, vcc_lo, s8, v19
	s_delay_alu instid0(VALU_DEP_2) | instskip(NEXT) | instid1(VALU_DEP_4)
	v_add_co_ci_u32_e32 v26, vcc_lo, s9, v20, vcc_lo
	v_add_co_u32 v27, vcc_lo, s8, v21
	v_add_co_ci_u32_e32 v28, vcc_lo, s9, v22, vcc_lo
	global_load_b128 v[19:22], v[23:24], off
	s_waitcnt vmcnt(1)
	v_subrev_nc_u32_e32 v13, s12, v13
	s_delay_alu instid0(VALU_DEP_1) | instskip(NEXT) | instid1(VALU_DEP_1)
	v_mul_lo_u32 v31, v13, 6
	v_lshlrev_b64 v[23:24], 3, v[31:32]
	s_delay_alu instid0(VALU_DEP_1) | instskip(NEXT) | instid1(VALU_DEP_2)
	v_add_co_u32 v23, vcc_lo, s10, v23
	v_add_co_ci_u32_e32 v24, vcc_lo, s11, v24, vcc_lo
	s_clause 0x1
	global_load_b64 v[35:36], v[25:26], off
	global_load_b64 v[37:38], v[27:28], off
	global_load_b128 v[23:26], v[23:24], off
	v_lshlrev_b64 v[27:28], 3, v[15:16]
	v_add_nc_u32_e32 v15, -4, v14
	s_delay_alu instid0(VALU_DEP_1) | instskip(NEXT) | instid1(VALU_DEP_3)
	v_lshlrev_b64 v[29:30], 3, v[15:16]
	v_add_co_u32 v27, vcc_lo, s8, v27
	s_delay_alu instid0(VALU_DEP_4) | instskip(SKIP_1) | instid1(VALU_DEP_4)
	v_add_co_ci_u32_e32 v28, vcc_lo, s9, v28, vcc_lo
	v_add_nc_u32_e32 v15, -15, v14
	v_add_co_u32 v29, vcc_lo, s8, v29
	v_add_co_ci_u32_e32 v30, vcc_lo, s9, v30, vcc_lo
	s_clause 0x1
	global_load_b64 v[39:40], v[27:28], off
	global_load_b64 v[41:42], v[29:30], off
	v_lshlrev_b64 v[27:28], 3, v[15:16]
	v_add_nc_u32_e32 v15, 2, v31
	s_delay_alu instid0(VALU_DEP_1) | instskip(SKIP_1) | instid1(VALU_DEP_4)
	v_lshlrev_b64 v[29:30], 3, v[15:16]
	v_add_nc_u32_e32 v15, -9, v14
	v_add_co_u32 v27, vcc_lo, s8, v27
	v_add_co_ci_u32_e32 v28, vcc_lo, s9, v28, vcc_lo
	s_delay_alu instid0(VALU_DEP_3) | instskip(SKIP_3) | instid1(VALU_DEP_3)
	v_lshlrev_b64 v[32:33], 3, v[15:16]
	v_add_nc_u32_e32 v15, -3, v14
	v_add_co_u32 v29, vcc_lo, s10, v29
	v_add_co_ci_u32_e32 v30, vcc_lo, s11, v30, vcc_lo
	v_lshlrev_b64 v[43:44], 3, v[15:16]
	v_add_co_u32 v32, vcc_lo, s8, v32
	v_add_co_ci_u32_e32 v33, vcc_lo, s9, v33, vcc_lo
	v_add_nc_u32_e32 v15, -14, v14
	s_delay_alu instid0(VALU_DEP_4)
	v_add_co_u32 v43, vcc_lo, s8, v43
	v_add_co_ci_u32_e32 v44, vcc_lo, s9, v44, vcc_lo
	global_load_b64 v[45:46], v[27:28], off
	global_load_b128 v[27:30], v[29:30], off
	s_clause 0x1
	global_load_b64 v[47:48], v[32:33], off
	global_load_b64 v[43:44], v[43:44], off
	v_lshlrev_b64 v[32:33], 3, v[15:16]
	v_add_nc_u32_e32 v15, -8, v14
	s_delay_alu instid0(VALU_DEP_1) | instskip(SKIP_1) | instid1(VALU_DEP_4)
	v_lshlrev_b64 v[49:50], 3, v[15:16]
	v_add_nc_u32_e32 v15, -2, v14
	v_add_co_u32 v32, vcc_lo, s8, v32
	v_add_co_ci_u32_e32 v33, vcc_lo, s9, v33, vcc_lo
	s_delay_alu instid0(VALU_DEP_3) | instskip(SKIP_3) | instid1(VALU_DEP_4)
	v_lshlrev_b64 v[51:52], 3, v[15:16]
	v_add_co_u32 v49, vcc_lo, s8, v49
	v_add_co_ci_u32_e32 v50, vcc_lo, s9, v50, vcc_lo
	v_add_nc_u32_e32 v15, -13, v14
	v_add_co_u32 v51, vcc_lo, s8, v51
	v_add_co_ci_u32_e32 v52, vcc_lo, s9, v52, vcc_lo
	s_clause 0x2
	global_load_b64 v[53:54], v[32:33], off
	global_load_b64 v[49:50], v[49:50], off
	;; [unrolled: 1-line block ×3, first 2 shown]
	v_lshlrev_b64 v[32:33], 3, v[15:16]
	v_add_nc_u32_e32 v15, 4, v31
	s_delay_alu instid0(VALU_DEP_1) | instskip(SKIP_1) | instid1(VALU_DEP_4)
	v_lshlrev_b64 v[55:56], 3, v[15:16]
	v_add_nc_u32_e32 v15, -7, v14
	v_add_co_u32 v31, vcc_lo, s8, v32
	v_add_co_ci_u32_e32 v32, vcc_lo, s9, v33, vcc_lo
	s_delay_alu instid0(VALU_DEP_3) | instskip(SKIP_3) | instid1(VALU_DEP_3)
	v_lshlrev_b64 v[33:34], 3, v[15:16]
	v_add_nc_u32_e32 v15, -1, v14
	v_add_co_u32 v55, vcc_lo, s10, v55
	v_add_co_ci_u32_e32 v56, vcc_lo, s11, v56, vcc_lo
	v_lshlrev_b64 v[57:58], 3, v[15:16]
	v_add_co_u32 v59, vcc_lo, s8, v33
	v_add_co_ci_u32_e32 v60, vcc_lo, s9, v34, vcc_lo
	v_mov_b32_e32 v15, v16
	s_delay_alu instid0(VALU_DEP_4)
	v_add_co_u32 v57, vcc_lo, s8, v57
	v_add_co_ci_u32_e32 v58, vcc_lo, s9, v58, vcc_lo
	global_load_b64 v[61:62], v[31:32], off
	global_load_b128 v[31:34], v[55:56], off
	s_clause 0x1
	global_load_b64 v[55:56], v[59:60], off
	global_load_b64 v[57:58], v[57:58], off
	v_lshlrev_b64 v[59:60], 3, v[14:15]
	v_add_nc_u32_e32 v15, -12, v14
	s_delay_alu instid0(VALU_DEP_1) | instskip(SKIP_1) | instid1(VALU_DEP_4)
	v_lshlrev_b64 v[63:64], 3, v[15:16]
	v_add_nc_u32_e32 v15, -6, v14
	v_add_co_u32 v59, vcc_lo, s8, v59
	v_add_co_ci_u32_e32 v60, vcc_lo, s9, v60, vcc_lo
	s_delay_alu instid0(VALU_DEP_3) | instskip(SKIP_3) | instid1(VALU_DEP_4)
	v_lshlrev_b64 v[65:66], 3, v[15:16]
	v_add_co_u32 v63, vcc_lo, s8, v63
	v_add_co_ci_u32_e32 v64, vcc_lo, s9, v64, vcc_lo
	v_add_nc_u32_e32 v14, 0x120, v14
	v_add_co_u32 v65, vcc_lo, s8, v65
	v_add_co_ci_u32_e32 v66, vcc_lo, s9, v66, vcc_lo
	s_clause 0x2
	global_load_b64 v[59:60], v[59:60], off
	global_load_b64 v[63:64], v[63:64], off
	;; [unrolled: 1-line block ×3, first 2 shown]
	v_cmp_ge_i32_e32 vcc_lo, v12, v18
	s_or_b32 s2, vcc_lo, s2
	s_waitcnt vmcnt(16)
	v_fma_f64 v[6:7], v[19:20], v[23:24], v[6:7]
	v_fma_f64 v[10:11], v[35:36], v[23:24], v[10:11]
	;; [unrolled: 1-line block ×3, first 2 shown]
	s_delay_alu instid0(VALU_DEP_3) | instskip(SKIP_1) | instid1(VALU_DEP_3)
	v_fma_f64 v[6:7], v[21:22], v[25:26], v[6:7]
	s_waitcnt vmcnt(15)
	v_fma_f64 v[10:11], v[39:40], v[25:26], v[10:11]
	s_waitcnt vmcnt(14)
	s_delay_alu instid0(VALU_DEP_3) | instskip(SKIP_1) | instid1(VALU_DEP_3)
	v_fma_f64 v[8:9], v[41:42], v[25:26], v[8:9]
	s_waitcnt vmcnt(12)
	v_fma_f64 v[6:7], v[45:46], v[27:28], v[6:7]
	s_waitcnt vmcnt(11)
	;; [unrolled: 5-line block ×6, first 2 shown]
	s_delay_alu instid0(VALU_DEP_3) | instskip(SKIP_1) | instid1(VALU_DEP_3)
	v_fma_f64 v[6:7], v[63:64], v[33:34], v[6:7]
	s_waitcnt vmcnt(0)
	v_fma_f64 v[10:11], v[65:66], v[33:34], v[10:11]
	s_delay_alu instid0(VALU_DEP_3)
	v_fma_f64 v[8:9], v[59:60], v[33:34], v[8:9]
	s_and_not1_b32 exec_lo, exec_lo, s2
	s_cbranch_execnz .LBB59_15
; %bb.16:
	s_or_b32 exec_lo, exec_lo, s2
.LBB59_17:
	s_delay_alu instid0(SALU_CYCLE_1)
	s_or_b32 exec_lo, exec_lo, s3
.LBB59_18:
	v_mbcnt_lo_u32_b32 v18, -1, 0
	s_delay_alu instid0(VALU_DEP_1) | instskip(NEXT) | instid1(VALU_DEP_1)
	v_xor_b32_e32 v12, 8, v18
	v_cmp_gt_i32_e32 vcc_lo, 32, v12
	v_cndmask_b32_e32 v12, v18, v12, vcc_lo
	s_delay_alu instid0(VALU_DEP_1)
	v_lshlrev_b32_e32 v17, 2, v12
	ds_bpermute_b32 v12, v17, v6
	ds_bpermute_b32 v13, v17, v7
	;; [unrolled: 1-line block ×6, first 2 shown]
	s_waitcnt lgkmcnt(4)
	v_add_f64 v[6:7], v[6:7], v[12:13]
	v_xor_b32_e32 v12, 4, v18
	s_waitcnt lgkmcnt(2)
	v_add_f64 v[10:11], v[10:11], v[14:15]
	s_waitcnt lgkmcnt(0)
	v_add_f64 v[8:9], v[8:9], v[16:17]
	v_cmp_gt_i32_e32 vcc_lo, 32, v12
	v_cndmask_b32_e32 v12, v18, v12, vcc_lo
	s_delay_alu instid0(VALU_DEP_1)
	v_lshlrev_b32_e32 v17, 2, v12
	ds_bpermute_b32 v12, v17, v6
	ds_bpermute_b32 v13, v17, v7
	;; [unrolled: 1-line block ×6, first 2 shown]
	s_waitcnt lgkmcnt(4)
	v_add_f64 v[6:7], v[6:7], v[12:13]
	s_waitcnt lgkmcnt(2)
	v_add_f64 v[10:11], v[10:11], v[14:15]
	;; [unrolled: 2-line block ×3, first 2 shown]
	v_xor_b32_e32 v8, 2, v18
	s_delay_alu instid0(VALU_DEP_1) | instskip(SKIP_1) | instid1(VALU_DEP_1)
	v_cmp_gt_i32_e32 vcc_lo, 32, v8
	v_cndmask_b32_e32 v8, v18, v8, vcc_lo
	v_lshlrev_b32_e32 v17, 2, v8
	ds_bpermute_b32 v8, v17, v6
	ds_bpermute_b32 v9, v17, v7
	;; [unrolled: 1-line block ×6, first 2 shown]
	s_waitcnt lgkmcnt(4)
	v_add_f64 v[8:9], v[6:7], v[8:9]
	s_waitcnt lgkmcnt(2)
	v_add_f64 v[6:7], v[10:11], v[14:15]
	v_xor_b32_e32 v10, 1, v18
	s_waitcnt lgkmcnt(0)
	v_add_f64 v[12:13], v[12:13], v[16:17]
	s_delay_alu instid0(VALU_DEP_2) | instskip(SKIP_2) | instid1(VALU_DEP_2)
	v_cmp_gt_i32_e32 vcc_lo, 32, v10
	v_cndmask_b32_e32 v10, v18, v10, vcc_lo
	v_cmp_eq_u32_e32 vcc_lo, 15, v0
	v_lshlrev_b32_e32 v15, 2, v10
	ds_bpermute_b32 v10, v15, v8
	ds_bpermute_b32 v11, v15, v9
	ds_bpermute_b32 v16, v15, v6
	ds_bpermute_b32 v17, v15, v7
	ds_bpermute_b32 v14, v15, v12
	ds_bpermute_b32 v15, v15, v13
	s_and_b32 exec_lo, exec_lo, vcc_lo
	s_cbranch_execz .LBB59_23
; %bb.19:
	s_waitcnt lgkmcnt(4)
	v_add_f64 v[10:11], v[8:9], v[10:11]
	s_waitcnt lgkmcnt(2)
	v_add_f64 v[8:9], v[6:7], v[16:17]
	s_waitcnt lgkmcnt(0)
	v_add_f64 v[6:7], v[12:13], v[14:15]
	s_load_b64 s[0:1], s[0:1], 0x38
	s_mov_b32 s2, exec_lo
	v_cmpx_eq_f64_e32 0, v[3:4]
	s_xor_b32 s2, exec_lo, s2
	s_cbranch_execz .LBB59_21
; %bb.20:
	s_delay_alu instid0(VALU_DEP_4) | instskip(NEXT) | instid1(VALU_DEP_4)
	v_mul_f64 v[10:11], v[1:2], v[10:11]
	v_mul_f64 v[12:13], v[1:2], v[8:9]
	s_delay_alu instid0(VALU_DEP_4) | instskip(SKIP_1) | instid1(VALU_DEP_1)
	v_mul_f64 v[0:1], v[1:2], v[6:7]
	v_lshl_add_u32 v2, v5, 1, v5
                                        ; implicit-def: $vgpr5
                                        ; implicit-def: $vgpr8_vgpr9
                                        ; implicit-def: $vgpr6_vgpr7
	v_ashrrev_i32_e32 v3, 31, v2
	s_delay_alu instid0(VALU_DEP_1) | instskip(SKIP_1) | instid1(VALU_DEP_1)
	v_lshlrev_b64 v[2:3], 3, v[2:3]
	s_waitcnt lgkmcnt(0)
	v_add_co_u32 v2, vcc_lo, s0, v2
	s_delay_alu instid0(VALU_DEP_2)
	v_add_co_ci_u32_e32 v3, vcc_lo, s1, v3, vcc_lo
	s_clause 0x1
	global_store_b128 v[2:3], v[10:13], off
	global_store_b64 v[2:3], v[0:1], off offset:16
                                        ; implicit-def: $vgpr1_vgpr2
                                        ; implicit-def: $vgpr10_vgpr11
                                        ; implicit-def: $vgpr3_vgpr4
.LBB59_21:
	s_and_not1_saveexec_b32 s2, s2
	s_cbranch_execz .LBB59_23
; %bb.22:
	v_lshl_add_u32 v12, v5, 1, v5
	v_mul_f64 v[10:11], v[1:2], v[10:11]
	v_mul_f64 v[8:9], v[1:2], v[8:9]
	;; [unrolled: 1-line block ×3, first 2 shown]
	s_delay_alu instid0(VALU_DEP_4) | instskip(NEXT) | instid1(VALU_DEP_1)
	v_ashrrev_i32_e32 v13, 31, v12
	v_lshlrev_b64 v[12:13], 3, v[12:13]
	s_waitcnt lgkmcnt(0)
	s_delay_alu instid0(VALU_DEP_1) | instskip(NEXT) | instid1(VALU_DEP_2)
	v_add_co_u32 v16, vcc_lo, s0, v12
	v_add_co_ci_u32_e32 v17, vcc_lo, s1, v13, vcc_lo
	s_clause 0x1
	global_load_b128 v[12:15], v[16:17], off
	global_load_b64 v[18:19], v[16:17], off offset:16
	s_waitcnt vmcnt(1)
	v_fma_f64 v[5:6], v[3:4], v[12:13], v[10:11]
	v_fma_f64 v[7:8], v[3:4], v[14:15], v[8:9]
	s_waitcnt vmcnt(0)
	v_fma_f64 v[0:1], v[3:4], v[18:19], v[0:1]
	s_clause 0x1
	global_store_b128 v[16:17], v[5:8], off
	global_store_b64 v[16:17], v[0:1], off offset:16
.LBB59_23:
	s_nop 0
	s_sendmsg sendmsg(MSG_DEALLOC_VGPRS)
	s_endpgm
	.section	.rodata,"a",@progbits
	.p2align	6, 0x0
	.amdhsa_kernel _ZN9rocsparseL19gebsrmvn_3xn_kernelILj128ELj6ELj16EdEEvi20rocsparse_direction_NS_24const_host_device_scalarIT2_EEPKiS6_PKS3_S8_S4_PS3_21rocsparse_index_base_b
		.amdhsa_group_segment_fixed_size 0
		.amdhsa_private_segment_fixed_size 0
		.amdhsa_kernarg_size 72
		.amdhsa_user_sgpr_count 15
		.amdhsa_user_sgpr_dispatch_ptr 0
		.amdhsa_user_sgpr_queue_ptr 0
		.amdhsa_user_sgpr_kernarg_segment_ptr 1
		.amdhsa_user_sgpr_dispatch_id 0
		.amdhsa_user_sgpr_private_segment_size 0
		.amdhsa_wavefront_size32 1
		.amdhsa_uses_dynamic_stack 0
		.amdhsa_enable_private_segment 0
		.amdhsa_system_sgpr_workgroup_id_x 1
		.amdhsa_system_sgpr_workgroup_id_y 0
		.amdhsa_system_sgpr_workgroup_id_z 0
		.amdhsa_system_sgpr_workgroup_info 0
		.amdhsa_system_vgpr_workitem_id 0
		.amdhsa_next_free_vgpr 67
		.amdhsa_next_free_sgpr 16
		.amdhsa_reserve_vcc 1
		.amdhsa_float_round_mode_32 0
		.amdhsa_float_round_mode_16_64 0
		.amdhsa_float_denorm_mode_32 3
		.amdhsa_float_denorm_mode_16_64 3
		.amdhsa_dx10_clamp 1
		.amdhsa_ieee_mode 1
		.amdhsa_fp16_overflow 0
		.amdhsa_workgroup_processor_mode 1
		.amdhsa_memory_ordered 1
		.amdhsa_forward_progress 0
		.amdhsa_shared_vgpr_count 0
		.amdhsa_exception_fp_ieee_invalid_op 0
		.amdhsa_exception_fp_denorm_src 0
		.amdhsa_exception_fp_ieee_div_zero 0
		.amdhsa_exception_fp_ieee_overflow 0
		.amdhsa_exception_fp_ieee_underflow 0
		.amdhsa_exception_fp_ieee_inexact 0
		.amdhsa_exception_int_div_zero 0
	.end_amdhsa_kernel
	.section	.text._ZN9rocsparseL19gebsrmvn_3xn_kernelILj128ELj6ELj16EdEEvi20rocsparse_direction_NS_24const_host_device_scalarIT2_EEPKiS6_PKS3_S8_S4_PS3_21rocsparse_index_base_b,"axG",@progbits,_ZN9rocsparseL19gebsrmvn_3xn_kernelILj128ELj6ELj16EdEEvi20rocsparse_direction_NS_24const_host_device_scalarIT2_EEPKiS6_PKS3_S8_S4_PS3_21rocsparse_index_base_b,comdat
.Lfunc_end59:
	.size	_ZN9rocsparseL19gebsrmvn_3xn_kernelILj128ELj6ELj16EdEEvi20rocsparse_direction_NS_24const_host_device_scalarIT2_EEPKiS6_PKS3_S8_S4_PS3_21rocsparse_index_base_b, .Lfunc_end59-_ZN9rocsparseL19gebsrmvn_3xn_kernelILj128ELj6ELj16EdEEvi20rocsparse_direction_NS_24const_host_device_scalarIT2_EEPKiS6_PKS3_S8_S4_PS3_21rocsparse_index_base_b
                                        ; -- End function
	.section	.AMDGPU.csdata,"",@progbits
; Kernel info:
; codeLenInByte = 3296
; NumSgprs: 18
; NumVgprs: 67
; ScratchSize: 0
; MemoryBound: 0
; FloatMode: 240
; IeeeMode: 1
; LDSByteSize: 0 bytes/workgroup (compile time only)
; SGPRBlocks: 2
; VGPRBlocks: 8
; NumSGPRsForWavesPerEU: 18
; NumVGPRsForWavesPerEU: 67
; Occupancy: 16
; WaveLimiterHint : 1
; COMPUTE_PGM_RSRC2:SCRATCH_EN: 0
; COMPUTE_PGM_RSRC2:USER_SGPR: 15
; COMPUTE_PGM_RSRC2:TRAP_HANDLER: 0
; COMPUTE_PGM_RSRC2:TGID_X_EN: 1
; COMPUTE_PGM_RSRC2:TGID_Y_EN: 0
; COMPUTE_PGM_RSRC2:TGID_Z_EN: 0
; COMPUTE_PGM_RSRC2:TIDIG_COMP_CNT: 0
	.section	.text._ZN9rocsparseL19gebsrmvn_3xn_kernelILj128ELj6ELj32EdEEvi20rocsparse_direction_NS_24const_host_device_scalarIT2_EEPKiS6_PKS3_S8_S4_PS3_21rocsparse_index_base_b,"axG",@progbits,_ZN9rocsparseL19gebsrmvn_3xn_kernelILj128ELj6ELj32EdEEvi20rocsparse_direction_NS_24const_host_device_scalarIT2_EEPKiS6_PKS3_S8_S4_PS3_21rocsparse_index_base_b,comdat
	.globl	_ZN9rocsparseL19gebsrmvn_3xn_kernelILj128ELj6ELj32EdEEvi20rocsparse_direction_NS_24const_host_device_scalarIT2_EEPKiS6_PKS3_S8_S4_PS3_21rocsparse_index_base_b ; -- Begin function _ZN9rocsparseL19gebsrmvn_3xn_kernelILj128ELj6ELj32EdEEvi20rocsparse_direction_NS_24const_host_device_scalarIT2_EEPKiS6_PKS3_S8_S4_PS3_21rocsparse_index_base_b
	.p2align	8
	.type	_ZN9rocsparseL19gebsrmvn_3xn_kernelILj128ELj6ELj32EdEEvi20rocsparse_direction_NS_24const_host_device_scalarIT2_EEPKiS6_PKS3_S8_S4_PS3_21rocsparse_index_base_b,@function
_ZN9rocsparseL19gebsrmvn_3xn_kernelILj128ELj6ELj32EdEEvi20rocsparse_direction_NS_24const_host_device_scalarIT2_EEPKiS6_PKS3_S8_S4_PS3_21rocsparse_index_base_b: ; @_ZN9rocsparseL19gebsrmvn_3xn_kernelILj128ELj6ELj32EdEEvi20rocsparse_direction_NS_24const_host_device_scalarIT2_EEPKiS6_PKS3_S8_S4_PS3_21rocsparse_index_base_b
; %bb.0:
	s_clause 0x2
	s_load_b64 s[12:13], s[0:1], 0x40
	s_load_b64 s[4:5], s[0:1], 0x8
	s_load_b64 s[2:3], s[0:1], 0x30
	s_waitcnt lgkmcnt(0)
	s_bitcmp1_b32 s13, 0
	v_dual_mov_b32 v1, s4 :: v_dual_mov_b32 v2, s5
	s_cselect_b32 s6, -1, 0
	s_delay_alu instid0(SALU_CYCLE_1)
	s_and_b32 vcc_lo, exec_lo, s6
	s_xor_b32 s6, s6, -1
	s_cbranch_vccnz .LBB60_2
; %bb.1:
	v_dual_mov_b32 v1, s4 :: v_dual_mov_b32 v2, s5
	flat_load_b64 v[1:2], v[1:2]
.LBB60_2:
	v_dual_mov_b32 v4, s3 :: v_dual_mov_b32 v3, s2
	s_and_not1_b32 vcc_lo, exec_lo, s6
	s_cbranch_vccnz .LBB60_4
; %bb.3:
	v_dual_mov_b32 v4, s3 :: v_dual_mov_b32 v3, s2
	flat_load_b64 v[3:4], v[3:4]
.LBB60_4:
	s_waitcnt vmcnt(0) lgkmcnt(0)
	v_cmp_neq_f64_e32 vcc_lo, 0, v[1:2]
	v_cmp_neq_f64_e64 s2, 1.0, v[3:4]
	s_delay_alu instid0(VALU_DEP_1) | instskip(NEXT) | instid1(SALU_CYCLE_1)
	s_or_b32 s2, vcc_lo, s2
	s_and_saveexec_b32 s3, s2
	s_cbranch_execz .LBB60_23
; %bb.5:
	s_load_b64 s[2:3], s[0:1], 0x0
	v_lshrrev_b32_e32 v5, 5, v0
	s_delay_alu instid0(VALU_DEP_1) | instskip(SKIP_1) | instid1(VALU_DEP_1)
	v_lshl_or_b32 v5, s15, 2, v5
	s_waitcnt lgkmcnt(0)
	v_cmp_gt_i32_e32 vcc_lo, s2, v5
	s_and_b32 exec_lo, exec_lo, vcc_lo
	s_cbranch_execz .LBB60_23
; %bb.6:
	s_load_b256 s[4:11], s[0:1], 0x10
	v_ashrrev_i32_e32 v6, 31, v5
	v_and_b32_e32 v0, 31, v0
	s_cmp_lg_u32 s3, 0
	s_delay_alu instid0(VALU_DEP_2) | instskip(SKIP_1) | instid1(VALU_DEP_1)
	v_lshlrev_b64 v[6:7], 2, v[5:6]
	s_waitcnt lgkmcnt(0)
	v_add_co_u32 v6, vcc_lo, s4, v6
	s_delay_alu instid0(VALU_DEP_2) | instskip(SKIP_4) | instid1(VALU_DEP_2)
	v_add_co_ci_u32_e32 v7, vcc_lo, s5, v7, vcc_lo
	global_load_b64 v[6:7], v[6:7], off
	s_waitcnt vmcnt(0)
	v_subrev_nc_u32_e32 v6, s12, v6
	v_subrev_nc_u32_e32 v18, s12, v7
	v_add_nc_u32_e32 v12, v6, v0
	s_delay_alu instid0(VALU_DEP_1)
	v_cmp_lt_i32_e64 s2, v12, v18
	s_cbranch_scc0 .LBB60_12
; %bb.7:
	v_mov_b32_e32 v6, 0
	v_mov_b32_e32 v7, 0
	s_delay_alu instid0(VALU_DEP_1)
	v_dual_mov_b32 v9, v7 :: v_dual_mov_b32 v8, v6
	v_dual_mov_b32 v11, v7 :: v_dual_mov_b32 v10, v6
	s_and_saveexec_b32 s3, s2
	s_cbranch_execz .LBB60_11
; %bb.8:
	v_dual_mov_b32 v6, 0 :: v_dual_mov_b32 v15, 0
	v_dual_mov_b32 v7, 0 :: v_dual_mov_b32 v16, v12
	v_mad_u64_u32 v[13:14], null, v12, 18, 17
	s_mov_b32 s4, 0
	s_delay_alu instid0(VALU_DEP_2)
	v_dual_mov_b32 v9, v7 :: v_dual_mov_b32 v8, v6
	v_dual_mov_b32 v11, v7 :: v_dual_mov_b32 v10, v6
.LBB60_9:                               ; =>This Inner Loop Header: Depth=1
	v_ashrrev_i32_e32 v17, 31, v16
	s_delay_alu instid0(VALU_DEP_4) | instskip(SKIP_1) | instid1(VALU_DEP_3)
	v_subrev_nc_u32_e32 v14, 17, v13
	v_mov_b32_e32 v32, v15
	v_lshlrev_b64 v[19:20], 2, v[16:17]
	v_add_nc_u32_e32 v16, 32, v16
	s_delay_alu instid0(VALU_DEP_2) | instskip(NEXT) | instid1(VALU_DEP_3)
	v_add_co_u32 v19, vcc_lo, s6, v19
	v_add_co_ci_u32_e32 v20, vcc_lo, s7, v20, vcc_lo
	global_load_b32 v17, v[19:20], off
	v_lshlrev_b64 v[19:20], 3, v[14:15]
	v_add_nc_u32_e32 v14, -15, v13
	s_delay_alu instid0(VALU_DEP_1) | instskip(NEXT) | instid1(VALU_DEP_3)
	v_lshlrev_b64 v[21:22], 3, v[14:15]
	v_add_co_u32 v19, vcc_lo, s8, v19
	s_delay_alu instid0(VALU_DEP_4) | instskip(NEXT) | instid1(VALU_DEP_3)
	v_add_co_ci_u32_e32 v20, vcc_lo, s9, v20, vcc_lo
	v_add_co_u32 v23, vcc_lo, s8, v21
	s_delay_alu instid0(VALU_DEP_4) | instskip(SKIP_2) | instid1(VALU_DEP_1)
	v_add_co_ci_u32_e32 v24, vcc_lo, s9, v22, vcc_lo
	s_waitcnt vmcnt(0)
	v_subrev_nc_u32_e32 v14, s12, v17
	v_mul_lo_u32 v31, v14, 6
	v_add_nc_u32_e32 v14, -14, v13
	s_delay_alu instid0(VALU_DEP_1) | instskip(SKIP_1) | instid1(VALU_DEP_4)
	v_lshlrev_b64 v[27:28], 3, v[14:15]
	v_add_nc_u32_e32 v14, -13, v13
	v_lshlrev_b64 v[21:22], 3, v[31:32]
	s_delay_alu instid0(VALU_DEP_2) | instskip(SKIP_1) | instid1(VALU_DEP_3)
	v_lshlrev_b64 v[29:30], 3, v[14:15]
	v_add_nc_u32_e32 v14, -12, v13
	v_add_co_u32 v25, vcc_lo, s10, v21
	s_delay_alu instid0(VALU_DEP_4)
	v_add_co_ci_u32_e32 v26, vcc_lo, s11, v22, vcc_lo
	v_add_co_u32 v27, vcc_lo, s8, v27
	s_clause 0x1
	global_load_b128 v[19:22], v[19:20], off
	global_load_b64 v[35:36], v[23:24], off
	global_load_b128 v[23:26], v[25:26], off
	v_lshlrev_b64 v[32:33], 3, v[14:15]
	v_add_co_ci_u32_e32 v28, vcc_lo, s9, v28, vcc_lo
	v_add_co_u32 v29, vcc_lo, s8, v29
	v_add_co_ci_u32_e32 v30, vcc_lo, s9, v30, vcc_lo
	s_delay_alu instid0(VALU_DEP_4)
	v_add_co_u32 v32, vcc_lo, s8, v32
	v_add_co_ci_u32_e32 v33, vcc_lo, s9, v33, vcc_lo
	s_clause 0x2
	global_load_b64 v[37:38], v[27:28], off
	global_load_b64 v[39:40], v[29:30], off
	;; [unrolled: 1-line block ×3, first 2 shown]
	v_add_nc_u32_e32 v14, -11, v13
	s_delay_alu instid0(VALU_DEP_1) | instskip(SKIP_1) | instid1(VALU_DEP_1)
	v_lshlrev_b64 v[27:28], 3, v[14:15]
	v_add_nc_u32_e32 v14, 2, v31
	v_lshlrev_b64 v[29:30], 3, v[14:15]
	v_add_nc_u32_e32 v14, -10, v13
	s_delay_alu instid0(VALU_DEP_4) | instskip(SKIP_1) | instid1(VALU_DEP_3)
	v_add_co_u32 v27, vcc_lo, s8, v27
	v_add_co_ci_u32_e32 v28, vcc_lo, s9, v28, vcc_lo
	v_lshlrev_b64 v[32:33], 3, v[14:15]
	v_add_nc_u32_e32 v14, -9, v13
	v_add_co_u32 v29, vcc_lo, s10, v29
	v_add_co_ci_u32_e32 v30, vcc_lo, s11, v30, vcc_lo
	s_delay_alu instid0(VALU_DEP_3) | instskip(SKIP_3) | instid1(VALU_DEP_4)
	v_lshlrev_b64 v[43:44], 3, v[14:15]
	v_add_co_u32 v32, vcc_lo, s8, v32
	v_add_co_ci_u32_e32 v33, vcc_lo, s9, v33, vcc_lo
	v_add_nc_u32_e32 v14, -8, v13
	v_add_co_u32 v43, vcc_lo, s8, v43
	v_add_co_ci_u32_e32 v44, vcc_lo, s9, v44, vcc_lo
	global_load_b64 v[45:46], v[27:28], off
	global_load_b128 v[27:30], v[29:30], off
	s_clause 0x1
	global_load_b64 v[47:48], v[32:33], off
	global_load_b64 v[43:44], v[43:44], off
	v_lshlrev_b64 v[32:33], 3, v[14:15]
	v_add_nc_u32_e32 v14, -7, v13
	s_delay_alu instid0(VALU_DEP_1) | instskip(SKIP_1) | instid1(VALU_DEP_4)
	v_lshlrev_b64 v[49:50], 3, v[14:15]
	v_add_nc_u32_e32 v14, -6, v13
	v_add_co_u32 v32, vcc_lo, s8, v32
	v_add_co_ci_u32_e32 v33, vcc_lo, s9, v33, vcc_lo
	s_delay_alu instid0(VALU_DEP_3) | instskip(SKIP_3) | instid1(VALU_DEP_4)
	v_lshlrev_b64 v[51:52], 3, v[14:15]
	v_add_co_u32 v49, vcc_lo, s8, v49
	v_add_co_ci_u32_e32 v50, vcc_lo, s9, v50, vcc_lo
	v_add_nc_u32_e32 v14, -5, v13
	v_add_co_u32 v51, vcc_lo, s8, v51
	v_add_co_ci_u32_e32 v52, vcc_lo, s9, v52, vcc_lo
	s_clause 0x2
	global_load_b64 v[53:54], v[32:33], off
	global_load_b64 v[49:50], v[49:50], off
	;; [unrolled: 1-line block ×3, first 2 shown]
	v_lshlrev_b64 v[32:33], 3, v[14:15]
	v_add_nc_u32_e32 v14, 4, v31
	s_delay_alu instid0(VALU_DEP_1) | instskip(SKIP_1) | instid1(VALU_DEP_4)
	v_lshlrev_b64 v[55:56], 3, v[14:15]
	v_add_nc_u32_e32 v14, -4, v13
	v_add_co_u32 v31, vcc_lo, s8, v32
	v_add_co_ci_u32_e32 v32, vcc_lo, s9, v33, vcc_lo
	s_delay_alu instid0(VALU_DEP_3) | instskip(SKIP_3) | instid1(VALU_DEP_3)
	v_lshlrev_b64 v[33:34], 3, v[14:15]
	v_add_nc_u32_e32 v14, -3, v13
	v_add_co_u32 v55, vcc_lo, s10, v55
	v_add_co_ci_u32_e32 v56, vcc_lo, s11, v56, vcc_lo
	v_lshlrev_b64 v[57:58], 3, v[14:15]
	v_add_co_u32 v59, vcc_lo, s8, v33
	v_add_co_ci_u32_e32 v60, vcc_lo, s9, v34, vcc_lo
	v_mov_b32_e32 v14, v15
	s_delay_alu instid0(VALU_DEP_4)
	v_add_co_u32 v57, vcc_lo, s8, v57
	v_add_co_ci_u32_e32 v58, vcc_lo, s9, v58, vcc_lo
	global_load_b64 v[61:62], v[31:32], off
	global_load_b128 v[31:34], v[55:56], off
	s_clause 0x1
	global_load_b64 v[55:56], v[59:60], off
	global_load_b64 v[57:58], v[57:58], off
	v_lshlrev_b64 v[59:60], 3, v[13:14]
	v_add_nc_u32_e32 v14, -2, v13
	s_delay_alu instid0(VALU_DEP_1) | instskip(SKIP_4) | instid1(VALU_DEP_4)
	v_lshlrev_b64 v[63:64], 3, v[14:15]
	v_add_nc_u32_e32 v14, -1, v13
	v_add_nc_u32_e32 v13, 0x240, v13
	v_add_co_u32 v59, vcc_lo, s8, v59
	v_add_co_ci_u32_e32 v60, vcc_lo, s9, v60, vcc_lo
	v_lshlrev_b64 v[65:66], 3, v[14:15]
	v_add_co_u32 v63, vcc_lo, s8, v63
	v_add_co_ci_u32_e32 v64, vcc_lo, s9, v64, vcc_lo
	s_delay_alu instid0(VALU_DEP_3) | instskip(NEXT) | instid1(VALU_DEP_4)
	v_add_co_u32 v65, vcc_lo, s8, v65
	v_add_co_ci_u32_e32 v66, vcc_lo, s9, v66, vcc_lo
	s_clause 0x2
	global_load_b64 v[59:60], v[59:60], off
	global_load_b64 v[63:64], v[63:64], off
	;; [unrolled: 1-line block ×3, first 2 shown]
	v_cmp_ge_i32_e32 vcc_lo, v16, v18
	s_or_b32 s4, vcc_lo, s4
	s_waitcnt vmcnt(17)
	v_fma_f64 v[6:7], v[19:20], v[23:24], v[6:7]
	v_fma_f64 v[10:11], v[21:22], v[23:24], v[10:11]
	;; [unrolled: 1-line block ×3, first 2 shown]
	s_waitcnt vmcnt(16)
	s_delay_alu instid0(VALU_DEP_3) | instskip(SKIP_1) | instid1(VALU_DEP_3)
	v_fma_f64 v[6:7], v[37:38], v[25:26], v[6:7]
	s_waitcnt vmcnt(15)
	v_fma_f64 v[10:11], v[39:40], v[25:26], v[10:11]
	s_waitcnt vmcnt(14)
	s_delay_alu instid0(VALU_DEP_3) | instskip(SKIP_1) | instid1(VALU_DEP_3)
	v_fma_f64 v[8:9], v[41:42], v[25:26], v[8:9]
	s_waitcnt vmcnt(12)
	v_fma_f64 v[6:7], v[45:46], v[27:28], v[6:7]
	;; [unrolled: 5-line block ×7, first 2 shown]
	s_delay_alu instid0(VALU_DEP_3)
	v_fma_f64 v[8:9], v[59:60], v[33:34], v[8:9]
	s_and_not1_b32 exec_lo, exec_lo, s4
	s_cbranch_execnz .LBB60_9
; %bb.10:
	s_or_b32 exec_lo, exec_lo, s4
.LBB60_11:
	s_delay_alu instid0(SALU_CYCLE_1)
	s_or_b32 exec_lo, exec_lo, s3
	s_cbranch_execz .LBB60_13
	s_branch .LBB60_18
.LBB60_12:
                                        ; implicit-def: $vgpr6_vgpr7
                                        ; implicit-def: $vgpr8_vgpr9
                                        ; implicit-def: $vgpr10_vgpr11
.LBB60_13:
	v_mov_b32_e32 v6, 0
	v_mov_b32_e32 v7, 0
	s_delay_alu instid0(VALU_DEP_1)
	v_dual_mov_b32 v9, v7 :: v_dual_mov_b32 v8, v6
	v_dual_mov_b32 v11, v7 :: v_dual_mov_b32 v10, v6
	s_and_saveexec_b32 s3, s2
	s_cbranch_execz .LBB60_17
; %bb.14:
	v_mov_b32_e32 v6, 0
	v_dual_mov_b32 v7, 0 :: v_dual_mov_b32 v16, 0
	v_mad_u64_u32 v[14:15], null, v12, 18, 17
	s_mov_b32 s2, 0
	s_delay_alu instid0(VALU_DEP_2)
	v_dual_mov_b32 v9, v7 :: v_dual_mov_b32 v8, v6
	v_dual_mov_b32 v11, v7 :: v_dual_mov_b32 v10, v6
.LBB60_15:                              ; =>This Inner Loop Header: Depth=1
	v_ashrrev_i32_e32 v13, 31, v12
	s_delay_alu instid0(VALU_DEP_4) | instskip(SKIP_2) | instid1(VALU_DEP_4)
	v_subrev_nc_u32_e32 v15, 17, v14
	v_dual_mov_b32 v22, v16 :: v_dual_add_nc_u32 v21, -5, v14
	v_mov_b32_e32 v32, v16
	v_lshlrev_b64 v[19:20], 2, v[12:13]
	s_delay_alu instid0(VALU_DEP_4) | instskip(SKIP_2) | instid1(VALU_DEP_4)
	v_lshlrev_b64 v[23:24], 3, v[15:16]
	v_add_nc_u32_e32 v15, -10, v14
	v_add_nc_u32_e32 v12, 32, v12
	v_add_co_u32 v19, vcc_lo, s6, v19
	v_add_co_ci_u32_e32 v20, vcc_lo, s7, v20, vcc_lo
	v_add_co_u32 v23, vcc_lo, s8, v23
	v_add_co_ci_u32_e32 v24, vcc_lo, s9, v24, vcc_lo
	global_load_b32 v13, v[19:20], off
	v_dual_mov_b32 v20, v16 :: v_dual_add_nc_u32 v19, -11, v14
	v_lshlrev_b64 v[21:22], 3, v[21:22]
	s_delay_alu instid0(VALU_DEP_2) | instskip(NEXT) | instid1(VALU_DEP_1)
	v_lshlrev_b64 v[19:20], 3, v[19:20]
	v_add_co_u32 v25, vcc_lo, s8, v19
	s_delay_alu instid0(VALU_DEP_2) | instskip(NEXT) | instid1(VALU_DEP_4)
	v_add_co_ci_u32_e32 v26, vcc_lo, s9, v20, vcc_lo
	v_add_co_u32 v27, vcc_lo, s8, v21
	v_add_co_ci_u32_e32 v28, vcc_lo, s9, v22, vcc_lo
	global_load_b128 v[19:22], v[23:24], off
	s_waitcnt vmcnt(1)
	v_subrev_nc_u32_e32 v13, s12, v13
	s_delay_alu instid0(VALU_DEP_1) | instskip(NEXT) | instid1(VALU_DEP_1)
	v_mul_lo_u32 v31, v13, 6
	v_lshlrev_b64 v[23:24], 3, v[31:32]
	s_delay_alu instid0(VALU_DEP_1) | instskip(NEXT) | instid1(VALU_DEP_2)
	v_add_co_u32 v23, vcc_lo, s10, v23
	v_add_co_ci_u32_e32 v24, vcc_lo, s11, v24, vcc_lo
	s_clause 0x1
	global_load_b64 v[35:36], v[25:26], off
	global_load_b64 v[37:38], v[27:28], off
	global_load_b128 v[23:26], v[23:24], off
	v_lshlrev_b64 v[27:28], 3, v[15:16]
	v_add_nc_u32_e32 v15, -4, v14
	s_delay_alu instid0(VALU_DEP_1) | instskip(NEXT) | instid1(VALU_DEP_3)
	v_lshlrev_b64 v[29:30], 3, v[15:16]
	v_add_co_u32 v27, vcc_lo, s8, v27
	s_delay_alu instid0(VALU_DEP_4) | instskip(SKIP_1) | instid1(VALU_DEP_4)
	v_add_co_ci_u32_e32 v28, vcc_lo, s9, v28, vcc_lo
	v_add_nc_u32_e32 v15, -15, v14
	v_add_co_u32 v29, vcc_lo, s8, v29
	v_add_co_ci_u32_e32 v30, vcc_lo, s9, v30, vcc_lo
	s_clause 0x1
	global_load_b64 v[39:40], v[27:28], off
	global_load_b64 v[41:42], v[29:30], off
	v_lshlrev_b64 v[27:28], 3, v[15:16]
	v_add_nc_u32_e32 v15, 2, v31
	s_delay_alu instid0(VALU_DEP_1) | instskip(SKIP_1) | instid1(VALU_DEP_4)
	v_lshlrev_b64 v[29:30], 3, v[15:16]
	v_add_nc_u32_e32 v15, -9, v14
	v_add_co_u32 v27, vcc_lo, s8, v27
	v_add_co_ci_u32_e32 v28, vcc_lo, s9, v28, vcc_lo
	s_delay_alu instid0(VALU_DEP_3) | instskip(SKIP_3) | instid1(VALU_DEP_3)
	v_lshlrev_b64 v[32:33], 3, v[15:16]
	v_add_nc_u32_e32 v15, -3, v14
	v_add_co_u32 v29, vcc_lo, s10, v29
	v_add_co_ci_u32_e32 v30, vcc_lo, s11, v30, vcc_lo
	v_lshlrev_b64 v[43:44], 3, v[15:16]
	v_add_co_u32 v32, vcc_lo, s8, v32
	v_add_co_ci_u32_e32 v33, vcc_lo, s9, v33, vcc_lo
	v_add_nc_u32_e32 v15, -14, v14
	s_delay_alu instid0(VALU_DEP_4)
	v_add_co_u32 v43, vcc_lo, s8, v43
	v_add_co_ci_u32_e32 v44, vcc_lo, s9, v44, vcc_lo
	global_load_b64 v[45:46], v[27:28], off
	global_load_b128 v[27:30], v[29:30], off
	s_clause 0x1
	global_load_b64 v[47:48], v[32:33], off
	global_load_b64 v[43:44], v[43:44], off
	v_lshlrev_b64 v[32:33], 3, v[15:16]
	v_add_nc_u32_e32 v15, -8, v14
	s_delay_alu instid0(VALU_DEP_1) | instskip(SKIP_1) | instid1(VALU_DEP_4)
	v_lshlrev_b64 v[49:50], 3, v[15:16]
	v_add_nc_u32_e32 v15, -2, v14
	v_add_co_u32 v32, vcc_lo, s8, v32
	v_add_co_ci_u32_e32 v33, vcc_lo, s9, v33, vcc_lo
	s_delay_alu instid0(VALU_DEP_3) | instskip(SKIP_3) | instid1(VALU_DEP_4)
	v_lshlrev_b64 v[51:52], 3, v[15:16]
	v_add_co_u32 v49, vcc_lo, s8, v49
	v_add_co_ci_u32_e32 v50, vcc_lo, s9, v50, vcc_lo
	v_add_nc_u32_e32 v15, -13, v14
	v_add_co_u32 v51, vcc_lo, s8, v51
	v_add_co_ci_u32_e32 v52, vcc_lo, s9, v52, vcc_lo
	s_clause 0x2
	global_load_b64 v[53:54], v[32:33], off
	global_load_b64 v[49:50], v[49:50], off
	;; [unrolled: 1-line block ×3, first 2 shown]
	v_lshlrev_b64 v[32:33], 3, v[15:16]
	v_add_nc_u32_e32 v15, 4, v31
	s_delay_alu instid0(VALU_DEP_1) | instskip(SKIP_1) | instid1(VALU_DEP_4)
	v_lshlrev_b64 v[55:56], 3, v[15:16]
	v_add_nc_u32_e32 v15, -7, v14
	v_add_co_u32 v31, vcc_lo, s8, v32
	v_add_co_ci_u32_e32 v32, vcc_lo, s9, v33, vcc_lo
	s_delay_alu instid0(VALU_DEP_3) | instskip(SKIP_3) | instid1(VALU_DEP_3)
	v_lshlrev_b64 v[33:34], 3, v[15:16]
	v_add_nc_u32_e32 v15, -1, v14
	v_add_co_u32 v55, vcc_lo, s10, v55
	v_add_co_ci_u32_e32 v56, vcc_lo, s11, v56, vcc_lo
	v_lshlrev_b64 v[57:58], 3, v[15:16]
	v_add_co_u32 v59, vcc_lo, s8, v33
	v_add_co_ci_u32_e32 v60, vcc_lo, s9, v34, vcc_lo
	v_mov_b32_e32 v15, v16
	s_delay_alu instid0(VALU_DEP_4)
	v_add_co_u32 v57, vcc_lo, s8, v57
	v_add_co_ci_u32_e32 v58, vcc_lo, s9, v58, vcc_lo
	global_load_b64 v[61:62], v[31:32], off
	global_load_b128 v[31:34], v[55:56], off
	s_clause 0x1
	global_load_b64 v[55:56], v[59:60], off
	global_load_b64 v[57:58], v[57:58], off
	v_lshlrev_b64 v[59:60], 3, v[14:15]
	v_add_nc_u32_e32 v15, -12, v14
	s_delay_alu instid0(VALU_DEP_1) | instskip(SKIP_1) | instid1(VALU_DEP_4)
	v_lshlrev_b64 v[63:64], 3, v[15:16]
	v_add_nc_u32_e32 v15, -6, v14
	v_add_co_u32 v59, vcc_lo, s8, v59
	v_add_co_ci_u32_e32 v60, vcc_lo, s9, v60, vcc_lo
	s_delay_alu instid0(VALU_DEP_3) | instskip(SKIP_3) | instid1(VALU_DEP_4)
	v_lshlrev_b64 v[65:66], 3, v[15:16]
	v_add_co_u32 v63, vcc_lo, s8, v63
	v_add_co_ci_u32_e32 v64, vcc_lo, s9, v64, vcc_lo
	v_add_nc_u32_e32 v14, 0x240, v14
	v_add_co_u32 v65, vcc_lo, s8, v65
	v_add_co_ci_u32_e32 v66, vcc_lo, s9, v66, vcc_lo
	s_clause 0x2
	global_load_b64 v[59:60], v[59:60], off
	global_load_b64 v[63:64], v[63:64], off
	;; [unrolled: 1-line block ×3, first 2 shown]
	v_cmp_ge_i32_e32 vcc_lo, v12, v18
	s_or_b32 s2, vcc_lo, s2
	s_waitcnt vmcnt(16)
	v_fma_f64 v[6:7], v[19:20], v[23:24], v[6:7]
	v_fma_f64 v[10:11], v[35:36], v[23:24], v[10:11]
	;; [unrolled: 1-line block ×3, first 2 shown]
	s_delay_alu instid0(VALU_DEP_3) | instskip(SKIP_1) | instid1(VALU_DEP_3)
	v_fma_f64 v[6:7], v[21:22], v[25:26], v[6:7]
	s_waitcnt vmcnt(15)
	v_fma_f64 v[10:11], v[39:40], v[25:26], v[10:11]
	s_waitcnt vmcnt(14)
	s_delay_alu instid0(VALU_DEP_3) | instskip(SKIP_1) | instid1(VALU_DEP_3)
	v_fma_f64 v[8:9], v[41:42], v[25:26], v[8:9]
	s_waitcnt vmcnt(12)
	v_fma_f64 v[6:7], v[45:46], v[27:28], v[6:7]
	s_waitcnt vmcnt(11)
	;; [unrolled: 5-line block ×6, first 2 shown]
	s_delay_alu instid0(VALU_DEP_3) | instskip(SKIP_1) | instid1(VALU_DEP_3)
	v_fma_f64 v[6:7], v[63:64], v[33:34], v[6:7]
	s_waitcnt vmcnt(0)
	v_fma_f64 v[10:11], v[65:66], v[33:34], v[10:11]
	s_delay_alu instid0(VALU_DEP_3)
	v_fma_f64 v[8:9], v[59:60], v[33:34], v[8:9]
	s_and_not1_b32 exec_lo, exec_lo, s2
	s_cbranch_execnz .LBB60_15
; %bb.16:
	s_or_b32 exec_lo, exec_lo, s2
.LBB60_17:
	s_delay_alu instid0(SALU_CYCLE_1)
	s_or_b32 exec_lo, exec_lo, s3
.LBB60_18:
	v_mbcnt_lo_u32_b32 v18, -1, 0
	s_delay_alu instid0(VALU_DEP_1) | instskip(NEXT) | instid1(VALU_DEP_1)
	v_xor_b32_e32 v12, 16, v18
	v_cmp_gt_i32_e32 vcc_lo, 32, v12
	v_cndmask_b32_e32 v12, v18, v12, vcc_lo
	s_delay_alu instid0(VALU_DEP_1)
	v_lshlrev_b32_e32 v17, 2, v12
	ds_bpermute_b32 v12, v17, v6
	ds_bpermute_b32 v13, v17, v7
	;; [unrolled: 1-line block ×6, first 2 shown]
	s_waitcnt lgkmcnt(4)
	v_add_f64 v[6:7], v[6:7], v[12:13]
	v_xor_b32_e32 v12, 8, v18
	s_waitcnt lgkmcnt(2)
	v_add_f64 v[10:11], v[10:11], v[14:15]
	s_waitcnt lgkmcnt(0)
	v_add_f64 v[8:9], v[8:9], v[16:17]
	v_cmp_gt_i32_e32 vcc_lo, 32, v12
	v_cndmask_b32_e32 v12, v18, v12, vcc_lo
	s_delay_alu instid0(VALU_DEP_1)
	v_lshlrev_b32_e32 v17, 2, v12
	ds_bpermute_b32 v12, v17, v6
	ds_bpermute_b32 v13, v17, v7
	;; [unrolled: 1-line block ×6, first 2 shown]
	s_waitcnt lgkmcnt(4)
	v_add_f64 v[6:7], v[6:7], v[12:13]
	v_xor_b32_e32 v12, 4, v18
	s_waitcnt lgkmcnt(2)
	v_add_f64 v[10:11], v[10:11], v[14:15]
	s_waitcnt lgkmcnt(0)
	v_add_f64 v[8:9], v[8:9], v[16:17]
	v_cmp_gt_i32_e32 vcc_lo, 32, v12
	v_cndmask_b32_e32 v12, v18, v12, vcc_lo
	s_delay_alu instid0(VALU_DEP_1)
	v_lshlrev_b32_e32 v17, 2, v12
	ds_bpermute_b32 v12, v17, v6
	ds_bpermute_b32 v13, v17, v7
	;; [unrolled: 1-line block ×6, first 2 shown]
	s_waitcnt lgkmcnt(4)
	v_add_f64 v[6:7], v[6:7], v[12:13]
	s_waitcnt lgkmcnt(2)
	v_add_f64 v[10:11], v[10:11], v[14:15]
	;; [unrolled: 2-line block ×3, first 2 shown]
	v_xor_b32_e32 v8, 2, v18
	s_delay_alu instid0(VALU_DEP_1) | instskip(SKIP_1) | instid1(VALU_DEP_1)
	v_cmp_gt_i32_e32 vcc_lo, 32, v8
	v_cndmask_b32_e32 v8, v18, v8, vcc_lo
	v_lshlrev_b32_e32 v17, 2, v8
	ds_bpermute_b32 v8, v17, v6
	ds_bpermute_b32 v9, v17, v7
	;; [unrolled: 1-line block ×6, first 2 shown]
	s_waitcnt lgkmcnt(4)
	v_add_f64 v[8:9], v[6:7], v[8:9]
	s_waitcnt lgkmcnt(2)
	v_add_f64 v[6:7], v[10:11], v[14:15]
	v_xor_b32_e32 v10, 1, v18
	s_waitcnt lgkmcnt(0)
	v_add_f64 v[12:13], v[12:13], v[16:17]
	s_delay_alu instid0(VALU_DEP_2) | instskip(SKIP_2) | instid1(VALU_DEP_2)
	v_cmp_gt_i32_e32 vcc_lo, 32, v10
	v_cndmask_b32_e32 v10, v18, v10, vcc_lo
	v_cmp_eq_u32_e32 vcc_lo, 31, v0
	v_lshlrev_b32_e32 v15, 2, v10
	ds_bpermute_b32 v10, v15, v8
	ds_bpermute_b32 v11, v15, v9
	;; [unrolled: 1-line block ×6, first 2 shown]
	s_and_b32 exec_lo, exec_lo, vcc_lo
	s_cbranch_execz .LBB60_23
; %bb.19:
	s_waitcnt lgkmcnt(4)
	v_add_f64 v[10:11], v[8:9], v[10:11]
	s_waitcnt lgkmcnt(2)
	v_add_f64 v[8:9], v[6:7], v[16:17]
	;; [unrolled: 2-line block ×3, first 2 shown]
	s_load_b64 s[0:1], s[0:1], 0x38
	s_mov_b32 s2, exec_lo
	v_cmpx_eq_f64_e32 0, v[3:4]
	s_xor_b32 s2, exec_lo, s2
	s_cbranch_execz .LBB60_21
; %bb.20:
	s_delay_alu instid0(VALU_DEP_4) | instskip(NEXT) | instid1(VALU_DEP_4)
	v_mul_f64 v[10:11], v[1:2], v[10:11]
	v_mul_f64 v[12:13], v[1:2], v[8:9]
	s_delay_alu instid0(VALU_DEP_4) | instskip(SKIP_1) | instid1(VALU_DEP_1)
	v_mul_f64 v[0:1], v[1:2], v[6:7]
	v_lshl_add_u32 v2, v5, 1, v5
                                        ; implicit-def: $vgpr5
                                        ; implicit-def: $vgpr8_vgpr9
                                        ; implicit-def: $vgpr6_vgpr7
	v_ashrrev_i32_e32 v3, 31, v2
	s_delay_alu instid0(VALU_DEP_1) | instskip(SKIP_1) | instid1(VALU_DEP_1)
	v_lshlrev_b64 v[2:3], 3, v[2:3]
	s_waitcnt lgkmcnt(0)
	v_add_co_u32 v2, vcc_lo, s0, v2
	s_delay_alu instid0(VALU_DEP_2)
	v_add_co_ci_u32_e32 v3, vcc_lo, s1, v3, vcc_lo
	s_clause 0x1
	global_store_b128 v[2:3], v[10:13], off
	global_store_b64 v[2:3], v[0:1], off offset:16
                                        ; implicit-def: $vgpr1_vgpr2
                                        ; implicit-def: $vgpr10_vgpr11
                                        ; implicit-def: $vgpr3_vgpr4
.LBB60_21:
	s_and_not1_saveexec_b32 s2, s2
	s_cbranch_execz .LBB60_23
; %bb.22:
	v_lshl_add_u32 v12, v5, 1, v5
	v_mul_f64 v[10:11], v[1:2], v[10:11]
	v_mul_f64 v[8:9], v[1:2], v[8:9]
	;; [unrolled: 1-line block ×3, first 2 shown]
	s_delay_alu instid0(VALU_DEP_4) | instskip(NEXT) | instid1(VALU_DEP_1)
	v_ashrrev_i32_e32 v13, 31, v12
	v_lshlrev_b64 v[12:13], 3, v[12:13]
	s_waitcnt lgkmcnt(0)
	s_delay_alu instid0(VALU_DEP_1) | instskip(NEXT) | instid1(VALU_DEP_2)
	v_add_co_u32 v16, vcc_lo, s0, v12
	v_add_co_ci_u32_e32 v17, vcc_lo, s1, v13, vcc_lo
	s_clause 0x1
	global_load_b128 v[12:15], v[16:17], off
	global_load_b64 v[18:19], v[16:17], off offset:16
	s_waitcnt vmcnt(1)
	v_fma_f64 v[5:6], v[3:4], v[12:13], v[10:11]
	v_fma_f64 v[7:8], v[3:4], v[14:15], v[8:9]
	s_waitcnt vmcnt(0)
	v_fma_f64 v[0:1], v[3:4], v[18:19], v[0:1]
	s_clause 0x1
	global_store_b128 v[16:17], v[5:8], off
	global_store_b64 v[16:17], v[0:1], off offset:16
.LBB60_23:
	s_nop 0
	s_sendmsg sendmsg(MSG_DEALLOC_VGPRS)
	s_endpgm
	.section	.rodata,"a",@progbits
	.p2align	6, 0x0
	.amdhsa_kernel _ZN9rocsparseL19gebsrmvn_3xn_kernelILj128ELj6ELj32EdEEvi20rocsparse_direction_NS_24const_host_device_scalarIT2_EEPKiS6_PKS3_S8_S4_PS3_21rocsparse_index_base_b
		.amdhsa_group_segment_fixed_size 0
		.amdhsa_private_segment_fixed_size 0
		.amdhsa_kernarg_size 72
		.amdhsa_user_sgpr_count 15
		.amdhsa_user_sgpr_dispatch_ptr 0
		.amdhsa_user_sgpr_queue_ptr 0
		.amdhsa_user_sgpr_kernarg_segment_ptr 1
		.amdhsa_user_sgpr_dispatch_id 0
		.amdhsa_user_sgpr_private_segment_size 0
		.amdhsa_wavefront_size32 1
		.amdhsa_uses_dynamic_stack 0
		.amdhsa_enable_private_segment 0
		.amdhsa_system_sgpr_workgroup_id_x 1
		.amdhsa_system_sgpr_workgroup_id_y 0
		.amdhsa_system_sgpr_workgroup_id_z 0
		.amdhsa_system_sgpr_workgroup_info 0
		.amdhsa_system_vgpr_workitem_id 0
		.amdhsa_next_free_vgpr 67
		.amdhsa_next_free_sgpr 16
		.amdhsa_reserve_vcc 1
		.amdhsa_float_round_mode_32 0
		.amdhsa_float_round_mode_16_64 0
		.amdhsa_float_denorm_mode_32 3
		.amdhsa_float_denorm_mode_16_64 3
		.amdhsa_dx10_clamp 1
		.amdhsa_ieee_mode 1
		.amdhsa_fp16_overflow 0
		.amdhsa_workgroup_processor_mode 1
		.amdhsa_memory_ordered 1
		.amdhsa_forward_progress 0
		.amdhsa_shared_vgpr_count 0
		.amdhsa_exception_fp_ieee_invalid_op 0
		.amdhsa_exception_fp_denorm_src 0
		.amdhsa_exception_fp_ieee_div_zero 0
		.amdhsa_exception_fp_ieee_overflow 0
		.amdhsa_exception_fp_ieee_underflow 0
		.amdhsa_exception_fp_ieee_inexact 0
		.amdhsa_exception_int_div_zero 0
	.end_amdhsa_kernel
	.section	.text._ZN9rocsparseL19gebsrmvn_3xn_kernelILj128ELj6ELj32EdEEvi20rocsparse_direction_NS_24const_host_device_scalarIT2_EEPKiS6_PKS3_S8_S4_PS3_21rocsparse_index_base_b,"axG",@progbits,_ZN9rocsparseL19gebsrmvn_3xn_kernelILj128ELj6ELj32EdEEvi20rocsparse_direction_NS_24const_host_device_scalarIT2_EEPKiS6_PKS3_S8_S4_PS3_21rocsparse_index_base_b,comdat
.Lfunc_end60:
	.size	_ZN9rocsparseL19gebsrmvn_3xn_kernelILj128ELj6ELj32EdEEvi20rocsparse_direction_NS_24const_host_device_scalarIT2_EEPKiS6_PKS3_S8_S4_PS3_21rocsparse_index_base_b, .Lfunc_end60-_ZN9rocsparseL19gebsrmvn_3xn_kernelILj128ELj6ELj32EdEEvi20rocsparse_direction_NS_24const_host_device_scalarIT2_EEPKiS6_PKS3_S8_S4_PS3_21rocsparse_index_base_b
                                        ; -- End function
	.section	.AMDGPU.csdata,"",@progbits
; Kernel info:
; codeLenInByte = 3400
; NumSgprs: 18
; NumVgprs: 67
; ScratchSize: 0
; MemoryBound: 0
; FloatMode: 240
; IeeeMode: 1
; LDSByteSize: 0 bytes/workgroup (compile time only)
; SGPRBlocks: 2
; VGPRBlocks: 8
; NumSGPRsForWavesPerEU: 18
; NumVGPRsForWavesPerEU: 67
; Occupancy: 16
; WaveLimiterHint : 1
; COMPUTE_PGM_RSRC2:SCRATCH_EN: 0
; COMPUTE_PGM_RSRC2:USER_SGPR: 15
; COMPUTE_PGM_RSRC2:TRAP_HANDLER: 0
; COMPUTE_PGM_RSRC2:TGID_X_EN: 1
; COMPUTE_PGM_RSRC2:TGID_Y_EN: 0
; COMPUTE_PGM_RSRC2:TGID_Z_EN: 0
; COMPUTE_PGM_RSRC2:TIDIG_COMP_CNT: 0
	.section	.text._ZN9rocsparseL19gebsrmvn_3xn_kernelILj128ELj6ELj64EdEEvi20rocsparse_direction_NS_24const_host_device_scalarIT2_EEPKiS6_PKS3_S8_S4_PS3_21rocsparse_index_base_b,"axG",@progbits,_ZN9rocsparseL19gebsrmvn_3xn_kernelILj128ELj6ELj64EdEEvi20rocsparse_direction_NS_24const_host_device_scalarIT2_EEPKiS6_PKS3_S8_S4_PS3_21rocsparse_index_base_b,comdat
	.globl	_ZN9rocsparseL19gebsrmvn_3xn_kernelILj128ELj6ELj64EdEEvi20rocsparse_direction_NS_24const_host_device_scalarIT2_EEPKiS6_PKS3_S8_S4_PS3_21rocsparse_index_base_b ; -- Begin function _ZN9rocsparseL19gebsrmvn_3xn_kernelILj128ELj6ELj64EdEEvi20rocsparse_direction_NS_24const_host_device_scalarIT2_EEPKiS6_PKS3_S8_S4_PS3_21rocsparse_index_base_b
	.p2align	8
	.type	_ZN9rocsparseL19gebsrmvn_3xn_kernelILj128ELj6ELj64EdEEvi20rocsparse_direction_NS_24const_host_device_scalarIT2_EEPKiS6_PKS3_S8_S4_PS3_21rocsparse_index_base_b,@function
_ZN9rocsparseL19gebsrmvn_3xn_kernelILj128ELj6ELj64EdEEvi20rocsparse_direction_NS_24const_host_device_scalarIT2_EEPKiS6_PKS3_S8_S4_PS3_21rocsparse_index_base_b: ; @_ZN9rocsparseL19gebsrmvn_3xn_kernelILj128ELj6ELj64EdEEvi20rocsparse_direction_NS_24const_host_device_scalarIT2_EEPKiS6_PKS3_S8_S4_PS3_21rocsparse_index_base_b
; %bb.0:
	s_clause 0x2
	s_load_b64 s[12:13], s[0:1], 0x40
	s_load_b64 s[4:5], s[0:1], 0x8
	;; [unrolled: 1-line block ×3, first 2 shown]
	s_waitcnt lgkmcnt(0)
	s_bitcmp1_b32 s13, 0
	v_dual_mov_b32 v1, s4 :: v_dual_mov_b32 v2, s5
	s_cselect_b32 s6, -1, 0
	s_delay_alu instid0(SALU_CYCLE_1)
	s_and_b32 vcc_lo, exec_lo, s6
	s_xor_b32 s6, s6, -1
	s_cbranch_vccnz .LBB61_2
; %bb.1:
	v_dual_mov_b32 v1, s4 :: v_dual_mov_b32 v2, s5
	flat_load_b64 v[1:2], v[1:2]
.LBB61_2:
	v_dual_mov_b32 v4, s3 :: v_dual_mov_b32 v3, s2
	s_and_not1_b32 vcc_lo, exec_lo, s6
	s_cbranch_vccnz .LBB61_4
; %bb.3:
	v_dual_mov_b32 v4, s3 :: v_dual_mov_b32 v3, s2
	flat_load_b64 v[3:4], v[3:4]
.LBB61_4:
	s_waitcnt vmcnt(0) lgkmcnt(0)
	v_cmp_neq_f64_e32 vcc_lo, 0, v[1:2]
	v_cmp_neq_f64_e64 s2, 1.0, v[3:4]
	s_delay_alu instid0(VALU_DEP_1) | instskip(NEXT) | instid1(SALU_CYCLE_1)
	s_or_b32 s2, vcc_lo, s2
	s_and_saveexec_b32 s3, s2
	s_cbranch_execz .LBB61_23
; %bb.5:
	s_load_b64 s[2:3], s[0:1], 0x0
	v_lshrrev_b32_e32 v5, 6, v0
	s_delay_alu instid0(VALU_DEP_1) | instskip(SKIP_1) | instid1(VALU_DEP_1)
	v_lshl_or_b32 v5, s15, 1, v5
	s_waitcnt lgkmcnt(0)
	v_cmp_gt_i32_e32 vcc_lo, s2, v5
	s_and_b32 exec_lo, exec_lo, vcc_lo
	s_cbranch_execz .LBB61_23
; %bb.6:
	s_load_b256 s[4:11], s[0:1], 0x10
	v_ashrrev_i32_e32 v6, 31, v5
	v_and_b32_e32 v0, 63, v0
	s_cmp_lg_u32 s3, 0
	s_delay_alu instid0(VALU_DEP_2) | instskip(SKIP_1) | instid1(VALU_DEP_1)
	v_lshlrev_b64 v[6:7], 2, v[5:6]
	s_waitcnt lgkmcnt(0)
	v_add_co_u32 v6, vcc_lo, s4, v6
	s_delay_alu instid0(VALU_DEP_2) | instskip(SKIP_4) | instid1(VALU_DEP_2)
	v_add_co_ci_u32_e32 v7, vcc_lo, s5, v7, vcc_lo
	global_load_b64 v[6:7], v[6:7], off
	s_waitcnt vmcnt(0)
	v_subrev_nc_u32_e32 v6, s12, v6
	v_subrev_nc_u32_e32 v18, s12, v7
	v_add_nc_u32_e32 v12, v6, v0
	s_delay_alu instid0(VALU_DEP_1)
	v_cmp_lt_i32_e64 s2, v12, v18
	s_cbranch_scc0 .LBB61_12
; %bb.7:
	v_mov_b32_e32 v6, 0
	v_mov_b32_e32 v7, 0
	s_delay_alu instid0(VALU_DEP_1)
	v_dual_mov_b32 v9, v7 :: v_dual_mov_b32 v8, v6
	v_dual_mov_b32 v11, v7 :: v_dual_mov_b32 v10, v6
	s_and_saveexec_b32 s3, s2
	s_cbranch_execz .LBB61_11
; %bb.8:
	v_dual_mov_b32 v6, 0 :: v_dual_mov_b32 v15, 0
	v_dual_mov_b32 v7, 0 :: v_dual_mov_b32 v16, v12
	v_mad_u64_u32 v[13:14], null, v12, 18, 17
	s_mov_b32 s4, 0
	s_delay_alu instid0(VALU_DEP_2)
	v_dual_mov_b32 v9, v7 :: v_dual_mov_b32 v8, v6
	v_dual_mov_b32 v11, v7 :: v_dual_mov_b32 v10, v6
.LBB61_9:                               ; =>This Inner Loop Header: Depth=1
	v_ashrrev_i32_e32 v17, 31, v16
	s_delay_alu instid0(VALU_DEP_4) | instskip(SKIP_1) | instid1(VALU_DEP_3)
	v_subrev_nc_u32_e32 v14, 17, v13
	v_mov_b32_e32 v32, v15
	v_lshlrev_b64 v[19:20], 2, v[16:17]
	v_add_nc_u32_e32 v16, 64, v16
	s_delay_alu instid0(VALU_DEP_2) | instskip(NEXT) | instid1(VALU_DEP_3)
	v_add_co_u32 v19, vcc_lo, s6, v19
	v_add_co_ci_u32_e32 v20, vcc_lo, s7, v20, vcc_lo
	global_load_b32 v17, v[19:20], off
	v_lshlrev_b64 v[19:20], 3, v[14:15]
	v_add_nc_u32_e32 v14, -15, v13
	s_delay_alu instid0(VALU_DEP_1) | instskip(NEXT) | instid1(VALU_DEP_3)
	v_lshlrev_b64 v[21:22], 3, v[14:15]
	v_add_co_u32 v19, vcc_lo, s8, v19
	s_delay_alu instid0(VALU_DEP_4) | instskip(NEXT) | instid1(VALU_DEP_3)
	v_add_co_ci_u32_e32 v20, vcc_lo, s9, v20, vcc_lo
	v_add_co_u32 v23, vcc_lo, s8, v21
	s_delay_alu instid0(VALU_DEP_4) | instskip(SKIP_2) | instid1(VALU_DEP_1)
	v_add_co_ci_u32_e32 v24, vcc_lo, s9, v22, vcc_lo
	s_waitcnt vmcnt(0)
	v_subrev_nc_u32_e32 v14, s12, v17
	v_mul_lo_u32 v31, v14, 6
	v_add_nc_u32_e32 v14, -14, v13
	s_delay_alu instid0(VALU_DEP_1) | instskip(SKIP_1) | instid1(VALU_DEP_4)
	v_lshlrev_b64 v[27:28], 3, v[14:15]
	v_add_nc_u32_e32 v14, -13, v13
	v_lshlrev_b64 v[21:22], 3, v[31:32]
	s_delay_alu instid0(VALU_DEP_2) | instskip(SKIP_1) | instid1(VALU_DEP_3)
	v_lshlrev_b64 v[29:30], 3, v[14:15]
	v_add_nc_u32_e32 v14, -12, v13
	v_add_co_u32 v25, vcc_lo, s10, v21
	s_delay_alu instid0(VALU_DEP_4)
	v_add_co_ci_u32_e32 v26, vcc_lo, s11, v22, vcc_lo
	v_add_co_u32 v27, vcc_lo, s8, v27
	s_clause 0x1
	global_load_b128 v[19:22], v[19:20], off
	global_load_b64 v[35:36], v[23:24], off
	global_load_b128 v[23:26], v[25:26], off
	v_lshlrev_b64 v[32:33], 3, v[14:15]
	v_add_co_ci_u32_e32 v28, vcc_lo, s9, v28, vcc_lo
	v_add_co_u32 v29, vcc_lo, s8, v29
	v_add_co_ci_u32_e32 v30, vcc_lo, s9, v30, vcc_lo
	s_delay_alu instid0(VALU_DEP_4)
	v_add_co_u32 v32, vcc_lo, s8, v32
	v_add_co_ci_u32_e32 v33, vcc_lo, s9, v33, vcc_lo
	s_clause 0x2
	global_load_b64 v[37:38], v[27:28], off
	global_load_b64 v[39:40], v[29:30], off
	;; [unrolled: 1-line block ×3, first 2 shown]
	v_add_nc_u32_e32 v14, -11, v13
	s_delay_alu instid0(VALU_DEP_1) | instskip(SKIP_1) | instid1(VALU_DEP_1)
	v_lshlrev_b64 v[27:28], 3, v[14:15]
	v_add_nc_u32_e32 v14, 2, v31
	v_lshlrev_b64 v[29:30], 3, v[14:15]
	v_add_nc_u32_e32 v14, -10, v13
	s_delay_alu instid0(VALU_DEP_4) | instskip(SKIP_1) | instid1(VALU_DEP_3)
	v_add_co_u32 v27, vcc_lo, s8, v27
	v_add_co_ci_u32_e32 v28, vcc_lo, s9, v28, vcc_lo
	v_lshlrev_b64 v[32:33], 3, v[14:15]
	v_add_nc_u32_e32 v14, -9, v13
	v_add_co_u32 v29, vcc_lo, s10, v29
	v_add_co_ci_u32_e32 v30, vcc_lo, s11, v30, vcc_lo
	s_delay_alu instid0(VALU_DEP_3) | instskip(SKIP_3) | instid1(VALU_DEP_4)
	v_lshlrev_b64 v[43:44], 3, v[14:15]
	v_add_co_u32 v32, vcc_lo, s8, v32
	v_add_co_ci_u32_e32 v33, vcc_lo, s9, v33, vcc_lo
	v_add_nc_u32_e32 v14, -8, v13
	v_add_co_u32 v43, vcc_lo, s8, v43
	v_add_co_ci_u32_e32 v44, vcc_lo, s9, v44, vcc_lo
	global_load_b64 v[45:46], v[27:28], off
	global_load_b128 v[27:30], v[29:30], off
	s_clause 0x1
	global_load_b64 v[47:48], v[32:33], off
	global_load_b64 v[43:44], v[43:44], off
	v_lshlrev_b64 v[32:33], 3, v[14:15]
	v_add_nc_u32_e32 v14, -7, v13
	s_delay_alu instid0(VALU_DEP_1) | instskip(SKIP_1) | instid1(VALU_DEP_4)
	v_lshlrev_b64 v[49:50], 3, v[14:15]
	v_add_nc_u32_e32 v14, -6, v13
	v_add_co_u32 v32, vcc_lo, s8, v32
	v_add_co_ci_u32_e32 v33, vcc_lo, s9, v33, vcc_lo
	s_delay_alu instid0(VALU_DEP_3) | instskip(SKIP_3) | instid1(VALU_DEP_4)
	v_lshlrev_b64 v[51:52], 3, v[14:15]
	v_add_co_u32 v49, vcc_lo, s8, v49
	v_add_co_ci_u32_e32 v50, vcc_lo, s9, v50, vcc_lo
	v_add_nc_u32_e32 v14, -5, v13
	v_add_co_u32 v51, vcc_lo, s8, v51
	v_add_co_ci_u32_e32 v52, vcc_lo, s9, v52, vcc_lo
	s_clause 0x2
	global_load_b64 v[53:54], v[32:33], off
	global_load_b64 v[49:50], v[49:50], off
	global_load_b64 v[51:52], v[51:52], off
	v_lshlrev_b64 v[32:33], 3, v[14:15]
	v_add_nc_u32_e32 v14, 4, v31
	s_delay_alu instid0(VALU_DEP_1) | instskip(SKIP_1) | instid1(VALU_DEP_4)
	v_lshlrev_b64 v[55:56], 3, v[14:15]
	v_add_nc_u32_e32 v14, -4, v13
	v_add_co_u32 v31, vcc_lo, s8, v32
	v_add_co_ci_u32_e32 v32, vcc_lo, s9, v33, vcc_lo
	s_delay_alu instid0(VALU_DEP_3) | instskip(SKIP_3) | instid1(VALU_DEP_3)
	v_lshlrev_b64 v[33:34], 3, v[14:15]
	v_add_nc_u32_e32 v14, -3, v13
	v_add_co_u32 v55, vcc_lo, s10, v55
	v_add_co_ci_u32_e32 v56, vcc_lo, s11, v56, vcc_lo
	v_lshlrev_b64 v[57:58], 3, v[14:15]
	v_add_co_u32 v59, vcc_lo, s8, v33
	v_add_co_ci_u32_e32 v60, vcc_lo, s9, v34, vcc_lo
	v_mov_b32_e32 v14, v15
	s_delay_alu instid0(VALU_DEP_4)
	v_add_co_u32 v57, vcc_lo, s8, v57
	v_add_co_ci_u32_e32 v58, vcc_lo, s9, v58, vcc_lo
	global_load_b64 v[61:62], v[31:32], off
	global_load_b128 v[31:34], v[55:56], off
	s_clause 0x1
	global_load_b64 v[55:56], v[59:60], off
	global_load_b64 v[57:58], v[57:58], off
	v_lshlrev_b64 v[59:60], 3, v[13:14]
	v_add_nc_u32_e32 v14, -2, v13
	s_delay_alu instid0(VALU_DEP_1) | instskip(SKIP_4) | instid1(VALU_DEP_4)
	v_lshlrev_b64 v[63:64], 3, v[14:15]
	v_add_nc_u32_e32 v14, -1, v13
	v_add_nc_u32_e32 v13, 0x480, v13
	v_add_co_u32 v59, vcc_lo, s8, v59
	v_add_co_ci_u32_e32 v60, vcc_lo, s9, v60, vcc_lo
	v_lshlrev_b64 v[65:66], 3, v[14:15]
	v_add_co_u32 v63, vcc_lo, s8, v63
	v_add_co_ci_u32_e32 v64, vcc_lo, s9, v64, vcc_lo
	s_delay_alu instid0(VALU_DEP_3) | instskip(NEXT) | instid1(VALU_DEP_4)
	v_add_co_u32 v65, vcc_lo, s8, v65
	v_add_co_ci_u32_e32 v66, vcc_lo, s9, v66, vcc_lo
	s_clause 0x2
	global_load_b64 v[59:60], v[59:60], off
	global_load_b64 v[63:64], v[63:64], off
	;; [unrolled: 1-line block ×3, first 2 shown]
	v_cmp_ge_i32_e32 vcc_lo, v16, v18
	s_or_b32 s4, vcc_lo, s4
	s_waitcnt vmcnt(17)
	v_fma_f64 v[6:7], v[19:20], v[23:24], v[6:7]
	v_fma_f64 v[10:11], v[21:22], v[23:24], v[10:11]
	;; [unrolled: 1-line block ×3, first 2 shown]
	s_waitcnt vmcnt(16)
	s_delay_alu instid0(VALU_DEP_3) | instskip(SKIP_1) | instid1(VALU_DEP_3)
	v_fma_f64 v[6:7], v[37:38], v[25:26], v[6:7]
	s_waitcnt vmcnt(15)
	v_fma_f64 v[10:11], v[39:40], v[25:26], v[10:11]
	s_waitcnt vmcnt(14)
	s_delay_alu instid0(VALU_DEP_3) | instskip(SKIP_1) | instid1(VALU_DEP_3)
	v_fma_f64 v[8:9], v[41:42], v[25:26], v[8:9]
	s_waitcnt vmcnt(12)
	v_fma_f64 v[6:7], v[45:46], v[27:28], v[6:7]
	;; [unrolled: 5-line block ×7, first 2 shown]
	s_delay_alu instid0(VALU_DEP_3)
	v_fma_f64 v[8:9], v[59:60], v[33:34], v[8:9]
	s_and_not1_b32 exec_lo, exec_lo, s4
	s_cbranch_execnz .LBB61_9
; %bb.10:
	s_or_b32 exec_lo, exec_lo, s4
.LBB61_11:
	s_delay_alu instid0(SALU_CYCLE_1)
	s_or_b32 exec_lo, exec_lo, s3
	s_cbranch_execz .LBB61_13
	s_branch .LBB61_18
.LBB61_12:
                                        ; implicit-def: $vgpr6_vgpr7
                                        ; implicit-def: $vgpr8_vgpr9
                                        ; implicit-def: $vgpr10_vgpr11
.LBB61_13:
	v_mov_b32_e32 v6, 0
	v_mov_b32_e32 v7, 0
	s_delay_alu instid0(VALU_DEP_1)
	v_dual_mov_b32 v9, v7 :: v_dual_mov_b32 v8, v6
	v_dual_mov_b32 v11, v7 :: v_dual_mov_b32 v10, v6
	s_and_saveexec_b32 s3, s2
	s_cbranch_execz .LBB61_17
; %bb.14:
	v_mov_b32_e32 v6, 0
	v_dual_mov_b32 v7, 0 :: v_dual_mov_b32 v16, 0
	v_mad_u64_u32 v[14:15], null, v12, 18, 17
	s_mov_b32 s2, 0
	s_delay_alu instid0(VALU_DEP_2)
	v_dual_mov_b32 v9, v7 :: v_dual_mov_b32 v8, v6
	v_dual_mov_b32 v11, v7 :: v_dual_mov_b32 v10, v6
.LBB61_15:                              ; =>This Inner Loop Header: Depth=1
	v_ashrrev_i32_e32 v13, 31, v12
	s_delay_alu instid0(VALU_DEP_4) | instskip(SKIP_2) | instid1(VALU_DEP_4)
	v_subrev_nc_u32_e32 v15, 17, v14
	v_dual_mov_b32 v22, v16 :: v_dual_add_nc_u32 v21, -5, v14
	v_mov_b32_e32 v32, v16
	v_lshlrev_b64 v[19:20], 2, v[12:13]
	s_delay_alu instid0(VALU_DEP_4) | instskip(SKIP_2) | instid1(VALU_DEP_4)
	v_lshlrev_b64 v[23:24], 3, v[15:16]
	v_add_nc_u32_e32 v15, -10, v14
	v_add_nc_u32_e32 v12, 64, v12
	v_add_co_u32 v19, vcc_lo, s6, v19
	v_add_co_ci_u32_e32 v20, vcc_lo, s7, v20, vcc_lo
	v_add_co_u32 v23, vcc_lo, s8, v23
	v_add_co_ci_u32_e32 v24, vcc_lo, s9, v24, vcc_lo
	global_load_b32 v13, v[19:20], off
	v_dual_mov_b32 v20, v16 :: v_dual_add_nc_u32 v19, -11, v14
	v_lshlrev_b64 v[21:22], 3, v[21:22]
	s_delay_alu instid0(VALU_DEP_2) | instskip(NEXT) | instid1(VALU_DEP_1)
	v_lshlrev_b64 v[19:20], 3, v[19:20]
	v_add_co_u32 v25, vcc_lo, s8, v19
	s_delay_alu instid0(VALU_DEP_2) | instskip(NEXT) | instid1(VALU_DEP_4)
	v_add_co_ci_u32_e32 v26, vcc_lo, s9, v20, vcc_lo
	v_add_co_u32 v27, vcc_lo, s8, v21
	v_add_co_ci_u32_e32 v28, vcc_lo, s9, v22, vcc_lo
	global_load_b128 v[19:22], v[23:24], off
	s_waitcnt vmcnt(1)
	v_subrev_nc_u32_e32 v13, s12, v13
	s_delay_alu instid0(VALU_DEP_1) | instskip(NEXT) | instid1(VALU_DEP_1)
	v_mul_lo_u32 v31, v13, 6
	v_lshlrev_b64 v[23:24], 3, v[31:32]
	s_delay_alu instid0(VALU_DEP_1) | instskip(NEXT) | instid1(VALU_DEP_2)
	v_add_co_u32 v23, vcc_lo, s10, v23
	v_add_co_ci_u32_e32 v24, vcc_lo, s11, v24, vcc_lo
	s_clause 0x1
	global_load_b64 v[35:36], v[25:26], off
	global_load_b64 v[37:38], v[27:28], off
	global_load_b128 v[23:26], v[23:24], off
	v_lshlrev_b64 v[27:28], 3, v[15:16]
	v_add_nc_u32_e32 v15, -4, v14
	s_delay_alu instid0(VALU_DEP_1) | instskip(NEXT) | instid1(VALU_DEP_3)
	v_lshlrev_b64 v[29:30], 3, v[15:16]
	v_add_co_u32 v27, vcc_lo, s8, v27
	s_delay_alu instid0(VALU_DEP_4) | instskip(SKIP_1) | instid1(VALU_DEP_4)
	v_add_co_ci_u32_e32 v28, vcc_lo, s9, v28, vcc_lo
	v_add_nc_u32_e32 v15, -15, v14
	v_add_co_u32 v29, vcc_lo, s8, v29
	v_add_co_ci_u32_e32 v30, vcc_lo, s9, v30, vcc_lo
	s_clause 0x1
	global_load_b64 v[39:40], v[27:28], off
	global_load_b64 v[41:42], v[29:30], off
	v_lshlrev_b64 v[27:28], 3, v[15:16]
	v_add_nc_u32_e32 v15, 2, v31
	s_delay_alu instid0(VALU_DEP_1) | instskip(SKIP_1) | instid1(VALU_DEP_4)
	v_lshlrev_b64 v[29:30], 3, v[15:16]
	v_add_nc_u32_e32 v15, -9, v14
	v_add_co_u32 v27, vcc_lo, s8, v27
	v_add_co_ci_u32_e32 v28, vcc_lo, s9, v28, vcc_lo
	s_delay_alu instid0(VALU_DEP_3) | instskip(SKIP_3) | instid1(VALU_DEP_3)
	v_lshlrev_b64 v[32:33], 3, v[15:16]
	v_add_nc_u32_e32 v15, -3, v14
	v_add_co_u32 v29, vcc_lo, s10, v29
	v_add_co_ci_u32_e32 v30, vcc_lo, s11, v30, vcc_lo
	v_lshlrev_b64 v[43:44], 3, v[15:16]
	v_add_co_u32 v32, vcc_lo, s8, v32
	v_add_co_ci_u32_e32 v33, vcc_lo, s9, v33, vcc_lo
	v_add_nc_u32_e32 v15, -14, v14
	s_delay_alu instid0(VALU_DEP_4)
	v_add_co_u32 v43, vcc_lo, s8, v43
	v_add_co_ci_u32_e32 v44, vcc_lo, s9, v44, vcc_lo
	global_load_b64 v[45:46], v[27:28], off
	global_load_b128 v[27:30], v[29:30], off
	s_clause 0x1
	global_load_b64 v[47:48], v[32:33], off
	global_load_b64 v[43:44], v[43:44], off
	v_lshlrev_b64 v[32:33], 3, v[15:16]
	v_add_nc_u32_e32 v15, -8, v14
	s_delay_alu instid0(VALU_DEP_1) | instskip(SKIP_1) | instid1(VALU_DEP_4)
	v_lshlrev_b64 v[49:50], 3, v[15:16]
	v_add_nc_u32_e32 v15, -2, v14
	v_add_co_u32 v32, vcc_lo, s8, v32
	v_add_co_ci_u32_e32 v33, vcc_lo, s9, v33, vcc_lo
	s_delay_alu instid0(VALU_DEP_3) | instskip(SKIP_3) | instid1(VALU_DEP_4)
	v_lshlrev_b64 v[51:52], 3, v[15:16]
	v_add_co_u32 v49, vcc_lo, s8, v49
	v_add_co_ci_u32_e32 v50, vcc_lo, s9, v50, vcc_lo
	v_add_nc_u32_e32 v15, -13, v14
	v_add_co_u32 v51, vcc_lo, s8, v51
	v_add_co_ci_u32_e32 v52, vcc_lo, s9, v52, vcc_lo
	s_clause 0x2
	global_load_b64 v[53:54], v[32:33], off
	global_load_b64 v[49:50], v[49:50], off
	;; [unrolled: 1-line block ×3, first 2 shown]
	v_lshlrev_b64 v[32:33], 3, v[15:16]
	v_add_nc_u32_e32 v15, 4, v31
	s_delay_alu instid0(VALU_DEP_1) | instskip(SKIP_1) | instid1(VALU_DEP_4)
	v_lshlrev_b64 v[55:56], 3, v[15:16]
	v_add_nc_u32_e32 v15, -7, v14
	v_add_co_u32 v31, vcc_lo, s8, v32
	v_add_co_ci_u32_e32 v32, vcc_lo, s9, v33, vcc_lo
	s_delay_alu instid0(VALU_DEP_3) | instskip(SKIP_3) | instid1(VALU_DEP_3)
	v_lshlrev_b64 v[33:34], 3, v[15:16]
	v_add_nc_u32_e32 v15, -1, v14
	v_add_co_u32 v55, vcc_lo, s10, v55
	v_add_co_ci_u32_e32 v56, vcc_lo, s11, v56, vcc_lo
	v_lshlrev_b64 v[57:58], 3, v[15:16]
	v_add_co_u32 v59, vcc_lo, s8, v33
	v_add_co_ci_u32_e32 v60, vcc_lo, s9, v34, vcc_lo
	v_mov_b32_e32 v15, v16
	s_delay_alu instid0(VALU_DEP_4)
	v_add_co_u32 v57, vcc_lo, s8, v57
	v_add_co_ci_u32_e32 v58, vcc_lo, s9, v58, vcc_lo
	global_load_b64 v[61:62], v[31:32], off
	global_load_b128 v[31:34], v[55:56], off
	s_clause 0x1
	global_load_b64 v[55:56], v[59:60], off
	global_load_b64 v[57:58], v[57:58], off
	v_lshlrev_b64 v[59:60], 3, v[14:15]
	v_add_nc_u32_e32 v15, -12, v14
	s_delay_alu instid0(VALU_DEP_1) | instskip(SKIP_1) | instid1(VALU_DEP_4)
	v_lshlrev_b64 v[63:64], 3, v[15:16]
	v_add_nc_u32_e32 v15, -6, v14
	v_add_co_u32 v59, vcc_lo, s8, v59
	v_add_co_ci_u32_e32 v60, vcc_lo, s9, v60, vcc_lo
	s_delay_alu instid0(VALU_DEP_3) | instskip(SKIP_3) | instid1(VALU_DEP_4)
	v_lshlrev_b64 v[65:66], 3, v[15:16]
	v_add_co_u32 v63, vcc_lo, s8, v63
	v_add_co_ci_u32_e32 v64, vcc_lo, s9, v64, vcc_lo
	v_add_nc_u32_e32 v14, 0x480, v14
	v_add_co_u32 v65, vcc_lo, s8, v65
	v_add_co_ci_u32_e32 v66, vcc_lo, s9, v66, vcc_lo
	s_clause 0x2
	global_load_b64 v[59:60], v[59:60], off
	global_load_b64 v[63:64], v[63:64], off
	;; [unrolled: 1-line block ×3, first 2 shown]
	v_cmp_ge_i32_e32 vcc_lo, v12, v18
	s_or_b32 s2, vcc_lo, s2
	s_waitcnt vmcnt(16)
	v_fma_f64 v[6:7], v[19:20], v[23:24], v[6:7]
	v_fma_f64 v[10:11], v[35:36], v[23:24], v[10:11]
	;; [unrolled: 1-line block ×3, first 2 shown]
	s_delay_alu instid0(VALU_DEP_3) | instskip(SKIP_1) | instid1(VALU_DEP_3)
	v_fma_f64 v[6:7], v[21:22], v[25:26], v[6:7]
	s_waitcnt vmcnt(15)
	v_fma_f64 v[10:11], v[39:40], v[25:26], v[10:11]
	s_waitcnt vmcnt(14)
	s_delay_alu instid0(VALU_DEP_3) | instskip(SKIP_1) | instid1(VALU_DEP_3)
	v_fma_f64 v[8:9], v[41:42], v[25:26], v[8:9]
	s_waitcnt vmcnt(12)
	v_fma_f64 v[6:7], v[45:46], v[27:28], v[6:7]
	s_waitcnt vmcnt(11)
	;; [unrolled: 5-line block ×6, first 2 shown]
	s_delay_alu instid0(VALU_DEP_3) | instskip(SKIP_1) | instid1(VALU_DEP_3)
	v_fma_f64 v[6:7], v[63:64], v[33:34], v[6:7]
	s_waitcnt vmcnt(0)
	v_fma_f64 v[10:11], v[65:66], v[33:34], v[10:11]
	s_delay_alu instid0(VALU_DEP_3)
	v_fma_f64 v[8:9], v[59:60], v[33:34], v[8:9]
	s_and_not1_b32 exec_lo, exec_lo, s2
	s_cbranch_execnz .LBB61_15
; %bb.16:
	s_or_b32 exec_lo, exec_lo, s2
.LBB61_17:
	s_delay_alu instid0(SALU_CYCLE_1)
	s_or_b32 exec_lo, exec_lo, s3
.LBB61_18:
	v_mbcnt_lo_u32_b32 v18, -1, 0
	s_delay_alu instid0(VALU_DEP_1) | instskip(NEXT) | instid1(VALU_DEP_1)
	v_or_b32_e32 v12, 32, v18
	v_cmp_gt_i32_e32 vcc_lo, 32, v12
	v_cndmask_b32_e32 v12, v18, v12, vcc_lo
	s_delay_alu instid0(VALU_DEP_1)
	v_lshlrev_b32_e32 v17, 2, v12
	ds_bpermute_b32 v12, v17, v6
	ds_bpermute_b32 v13, v17, v7
	ds_bpermute_b32 v14, v17, v10
	ds_bpermute_b32 v15, v17, v11
	ds_bpermute_b32 v16, v17, v8
	ds_bpermute_b32 v17, v17, v9
	s_waitcnt lgkmcnt(4)
	v_add_f64 v[6:7], v[6:7], v[12:13]
	v_xor_b32_e32 v12, 16, v18
	s_waitcnt lgkmcnt(2)
	v_add_f64 v[10:11], v[10:11], v[14:15]
	s_waitcnt lgkmcnt(0)
	v_add_f64 v[8:9], v[8:9], v[16:17]
	v_cmp_gt_i32_e32 vcc_lo, 32, v12
	v_cndmask_b32_e32 v12, v18, v12, vcc_lo
	s_delay_alu instid0(VALU_DEP_1)
	v_lshlrev_b32_e32 v17, 2, v12
	ds_bpermute_b32 v12, v17, v6
	ds_bpermute_b32 v13, v17, v7
	ds_bpermute_b32 v14, v17, v10
	ds_bpermute_b32 v15, v17, v11
	ds_bpermute_b32 v16, v17, v8
	ds_bpermute_b32 v17, v17, v9
	s_waitcnt lgkmcnt(4)
	v_add_f64 v[6:7], v[6:7], v[12:13]
	v_xor_b32_e32 v12, 8, v18
	s_waitcnt lgkmcnt(2)
	v_add_f64 v[10:11], v[10:11], v[14:15]
	s_waitcnt lgkmcnt(0)
	v_add_f64 v[8:9], v[8:9], v[16:17]
	;; [unrolled: 17-line block ×3, first 2 shown]
	v_cmp_gt_i32_e32 vcc_lo, 32, v12
	v_cndmask_b32_e32 v12, v18, v12, vcc_lo
	s_delay_alu instid0(VALU_DEP_1)
	v_lshlrev_b32_e32 v17, 2, v12
	ds_bpermute_b32 v12, v17, v6
	ds_bpermute_b32 v13, v17, v7
	;; [unrolled: 1-line block ×6, first 2 shown]
	s_waitcnt lgkmcnt(4)
	v_add_f64 v[6:7], v[6:7], v[12:13]
	s_waitcnt lgkmcnt(2)
	v_add_f64 v[10:11], v[10:11], v[14:15]
	;; [unrolled: 2-line block ×3, first 2 shown]
	v_xor_b32_e32 v8, 2, v18
	s_delay_alu instid0(VALU_DEP_1) | instskip(SKIP_1) | instid1(VALU_DEP_1)
	v_cmp_gt_i32_e32 vcc_lo, 32, v8
	v_cndmask_b32_e32 v8, v18, v8, vcc_lo
	v_lshlrev_b32_e32 v17, 2, v8
	ds_bpermute_b32 v8, v17, v6
	ds_bpermute_b32 v9, v17, v7
	;; [unrolled: 1-line block ×6, first 2 shown]
	s_waitcnt lgkmcnt(4)
	v_add_f64 v[8:9], v[6:7], v[8:9]
	s_waitcnt lgkmcnt(2)
	v_add_f64 v[6:7], v[10:11], v[14:15]
	v_xor_b32_e32 v10, 1, v18
	s_waitcnt lgkmcnt(0)
	v_add_f64 v[12:13], v[12:13], v[16:17]
	s_delay_alu instid0(VALU_DEP_2) | instskip(SKIP_2) | instid1(VALU_DEP_2)
	v_cmp_gt_i32_e32 vcc_lo, 32, v10
	v_cndmask_b32_e32 v10, v18, v10, vcc_lo
	v_cmp_eq_u32_e32 vcc_lo, 63, v0
	v_lshlrev_b32_e32 v15, 2, v10
	ds_bpermute_b32 v10, v15, v8
	ds_bpermute_b32 v11, v15, v9
	;; [unrolled: 1-line block ×6, first 2 shown]
	s_and_b32 exec_lo, exec_lo, vcc_lo
	s_cbranch_execz .LBB61_23
; %bb.19:
	s_waitcnt lgkmcnt(4)
	v_add_f64 v[10:11], v[8:9], v[10:11]
	s_waitcnt lgkmcnt(2)
	v_add_f64 v[8:9], v[6:7], v[16:17]
	;; [unrolled: 2-line block ×3, first 2 shown]
	s_load_b64 s[0:1], s[0:1], 0x38
	s_mov_b32 s2, exec_lo
	v_cmpx_eq_f64_e32 0, v[3:4]
	s_xor_b32 s2, exec_lo, s2
	s_cbranch_execz .LBB61_21
; %bb.20:
	s_delay_alu instid0(VALU_DEP_4) | instskip(NEXT) | instid1(VALU_DEP_4)
	v_mul_f64 v[10:11], v[1:2], v[10:11]
	v_mul_f64 v[12:13], v[1:2], v[8:9]
	s_delay_alu instid0(VALU_DEP_4) | instskip(SKIP_1) | instid1(VALU_DEP_1)
	v_mul_f64 v[0:1], v[1:2], v[6:7]
	v_lshl_add_u32 v2, v5, 1, v5
                                        ; implicit-def: $vgpr5
                                        ; implicit-def: $vgpr8_vgpr9
                                        ; implicit-def: $vgpr6_vgpr7
	v_ashrrev_i32_e32 v3, 31, v2
	s_delay_alu instid0(VALU_DEP_1) | instskip(SKIP_1) | instid1(VALU_DEP_1)
	v_lshlrev_b64 v[2:3], 3, v[2:3]
	s_waitcnt lgkmcnt(0)
	v_add_co_u32 v2, vcc_lo, s0, v2
	s_delay_alu instid0(VALU_DEP_2)
	v_add_co_ci_u32_e32 v3, vcc_lo, s1, v3, vcc_lo
	s_clause 0x1
	global_store_b128 v[2:3], v[10:13], off
	global_store_b64 v[2:3], v[0:1], off offset:16
                                        ; implicit-def: $vgpr1_vgpr2
                                        ; implicit-def: $vgpr10_vgpr11
                                        ; implicit-def: $vgpr3_vgpr4
.LBB61_21:
	s_and_not1_saveexec_b32 s2, s2
	s_cbranch_execz .LBB61_23
; %bb.22:
	v_lshl_add_u32 v12, v5, 1, v5
	v_mul_f64 v[10:11], v[1:2], v[10:11]
	v_mul_f64 v[8:9], v[1:2], v[8:9]
	;; [unrolled: 1-line block ×3, first 2 shown]
	s_delay_alu instid0(VALU_DEP_4) | instskip(NEXT) | instid1(VALU_DEP_1)
	v_ashrrev_i32_e32 v13, 31, v12
	v_lshlrev_b64 v[12:13], 3, v[12:13]
	s_waitcnt lgkmcnt(0)
	s_delay_alu instid0(VALU_DEP_1) | instskip(NEXT) | instid1(VALU_DEP_2)
	v_add_co_u32 v16, vcc_lo, s0, v12
	v_add_co_ci_u32_e32 v17, vcc_lo, s1, v13, vcc_lo
	s_clause 0x1
	global_load_b128 v[12:15], v[16:17], off
	global_load_b64 v[18:19], v[16:17], off offset:16
	s_waitcnt vmcnt(1)
	v_fma_f64 v[5:6], v[3:4], v[12:13], v[10:11]
	v_fma_f64 v[7:8], v[3:4], v[14:15], v[8:9]
	s_waitcnt vmcnt(0)
	v_fma_f64 v[0:1], v[3:4], v[18:19], v[0:1]
	s_clause 0x1
	global_store_b128 v[16:17], v[5:8], off
	global_store_b64 v[16:17], v[0:1], off offset:16
.LBB61_23:
	s_nop 0
	s_sendmsg sendmsg(MSG_DEALLOC_VGPRS)
	s_endpgm
	.section	.rodata,"a",@progbits
	.p2align	6, 0x0
	.amdhsa_kernel _ZN9rocsparseL19gebsrmvn_3xn_kernelILj128ELj6ELj64EdEEvi20rocsparse_direction_NS_24const_host_device_scalarIT2_EEPKiS6_PKS3_S8_S4_PS3_21rocsparse_index_base_b
		.amdhsa_group_segment_fixed_size 0
		.amdhsa_private_segment_fixed_size 0
		.amdhsa_kernarg_size 72
		.amdhsa_user_sgpr_count 15
		.amdhsa_user_sgpr_dispatch_ptr 0
		.amdhsa_user_sgpr_queue_ptr 0
		.amdhsa_user_sgpr_kernarg_segment_ptr 1
		.amdhsa_user_sgpr_dispatch_id 0
		.amdhsa_user_sgpr_private_segment_size 0
		.amdhsa_wavefront_size32 1
		.amdhsa_uses_dynamic_stack 0
		.amdhsa_enable_private_segment 0
		.amdhsa_system_sgpr_workgroup_id_x 1
		.amdhsa_system_sgpr_workgroup_id_y 0
		.amdhsa_system_sgpr_workgroup_id_z 0
		.amdhsa_system_sgpr_workgroup_info 0
		.amdhsa_system_vgpr_workitem_id 0
		.amdhsa_next_free_vgpr 67
		.amdhsa_next_free_sgpr 16
		.amdhsa_reserve_vcc 1
		.amdhsa_float_round_mode_32 0
		.amdhsa_float_round_mode_16_64 0
		.amdhsa_float_denorm_mode_32 3
		.amdhsa_float_denorm_mode_16_64 3
		.amdhsa_dx10_clamp 1
		.amdhsa_ieee_mode 1
		.amdhsa_fp16_overflow 0
		.amdhsa_workgroup_processor_mode 1
		.amdhsa_memory_ordered 1
		.amdhsa_forward_progress 0
		.amdhsa_shared_vgpr_count 0
		.amdhsa_exception_fp_ieee_invalid_op 0
		.amdhsa_exception_fp_denorm_src 0
		.amdhsa_exception_fp_ieee_div_zero 0
		.amdhsa_exception_fp_ieee_overflow 0
		.amdhsa_exception_fp_ieee_underflow 0
		.amdhsa_exception_fp_ieee_inexact 0
		.amdhsa_exception_int_div_zero 0
	.end_amdhsa_kernel
	.section	.text._ZN9rocsparseL19gebsrmvn_3xn_kernelILj128ELj6ELj64EdEEvi20rocsparse_direction_NS_24const_host_device_scalarIT2_EEPKiS6_PKS3_S8_S4_PS3_21rocsparse_index_base_b,"axG",@progbits,_ZN9rocsparseL19gebsrmvn_3xn_kernelILj128ELj6ELj64EdEEvi20rocsparse_direction_NS_24const_host_device_scalarIT2_EEPKiS6_PKS3_S8_S4_PS3_21rocsparse_index_base_b,comdat
.Lfunc_end61:
	.size	_ZN9rocsparseL19gebsrmvn_3xn_kernelILj128ELj6ELj64EdEEvi20rocsparse_direction_NS_24const_host_device_scalarIT2_EEPKiS6_PKS3_S8_S4_PS3_21rocsparse_index_base_b, .Lfunc_end61-_ZN9rocsparseL19gebsrmvn_3xn_kernelILj128ELj6ELj64EdEEvi20rocsparse_direction_NS_24const_host_device_scalarIT2_EEPKiS6_PKS3_S8_S4_PS3_21rocsparse_index_base_b
                                        ; -- End function
	.section	.AMDGPU.csdata,"",@progbits
; Kernel info:
; codeLenInByte = 3504
; NumSgprs: 18
; NumVgprs: 67
; ScratchSize: 0
; MemoryBound: 0
; FloatMode: 240
; IeeeMode: 1
; LDSByteSize: 0 bytes/workgroup (compile time only)
; SGPRBlocks: 2
; VGPRBlocks: 8
; NumSGPRsForWavesPerEU: 18
; NumVGPRsForWavesPerEU: 67
; Occupancy: 16
; WaveLimiterHint : 1
; COMPUTE_PGM_RSRC2:SCRATCH_EN: 0
; COMPUTE_PGM_RSRC2:USER_SGPR: 15
; COMPUTE_PGM_RSRC2:TRAP_HANDLER: 0
; COMPUTE_PGM_RSRC2:TGID_X_EN: 1
; COMPUTE_PGM_RSRC2:TGID_Y_EN: 0
; COMPUTE_PGM_RSRC2:TGID_Z_EN: 0
; COMPUTE_PGM_RSRC2:TIDIG_COMP_CNT: 0
	.section	.text._ZN9rocsparseL19gebsrmvn_3xn_kernelILj128ELj7ELj4EdEEvi20rocsparse_direction_NS_24const_host_device_scalarIT2_EEPKiS6_PKS3_S8_S4_PS3_21rocsparse_index_base_b,"axG",@progbits,_ZN9rocsparseL19gebsrmvn_3xn_kernelILj128ELj7ELj4EdEEvi20rocsparse_direction_NS_24const_host_device_scalarIT2_EEPKiS6_PKS3_S8_S4_PS3_21rocsparse_index_base_b,comdat
	.globl	_ZN9rocsparseL19gebsrmvn_3xn_kernelILj128ELj7ELj4EdEEvi20rocsparse_direction_NS_24const_host_device_scalarIT2_EEPKiS6_PKS3_S8_S4_PS3_21rocsparse_index_base_b ; -- Begin function _ZN9rocsparseL19gebsrmvn_3xn_kernelILj128ELj7ELj4EdEEvi20rocsparse_direction_NS_24const_host_device_scalarIT2_EEPKiS6_PKS3_S8_S4_PS3_21rocsparse_index_base_b
	.p2align	8
	.type	_ZN9rocsparseL19gebsrmvn_3xn_kernelILj128ELj7ELj4EdEEvi20rocsparse_direction_NS_24const_host_device_scalarIT2_EEPKiS6_PKS3_S8_S4_PS3_21rocsparse_index_base_b,@function
_ZN9rocsparseL19gebsrmvn_3xn_kernelILj128ELj7ELj4EdEEvi20rocsparse_direction_NS_24const_host_device_scalarIT2_EEPKiS6_PKS3_S8_S4_PS3_21rocsparse_index_base_b: ; @_ZN9rocsparseL19gebsrmvn_3xn_kernelILj128ELj7ELj4EdEEvi20rocsparse_direction_NS_24const_host_device_scalarIT2_EEPKiS6_PKS3_S8_S4_PS3_21rocsparse_index_base_b
; %bb.0:
	s_clause 0x2
	s_load_b64 s[12:13], s[0:1], 0x40
	s_load_b64 s[4:5], s[0:1], 0x8
	;; [unrolled: 1-line block ×3, first 2 shown]
	s_waitcnt lgkmcnt(0)
	s_bitcmp1_b32 s13, 0
	v_dual_mov_b32 v1, s4 :: v_dual_mov_b32 v2, s5
	s_cselect_b32 s6, -1, 0
	s_delay_alu instid0(SALU_CYCLE_1)
	s_and_b32 vcc_lo, exec_lo, s6
	s_xor_b32 s6, s6, -1
	s_cbranch_vccnz .LBB62_2
; %bb.1:
	v_dual_mov_b32 v1, s4 :: v_dual_mov_b32 v2, s5
	flat_load_b64 v[1:2], v[1:2]
.LBB62_2:
	v_dual_mov_b32 v4, s3 :: v_dual_mov_b32 v3, s2
	s_and_not1_b32 vcc_lo, exec_lo, s6
	s_cbranch_vccnz .LBB62_4
; %bb.3:
	v_dual_mov_b32 v4, s3 :: v_dual_mov_b32 v3, s2
	flat_load_b64 v[3:4], v[3:4]
.LBB62_4:
	s_waitcnt vmcnt(0) lgkmcnt(0)
	v_cmp_neq_f64_e32 vcc_lo, 0, v[1:2]
	v_cmp_neq_f64_e64 s2, 1.0, v[3:4]
	s_delay_alu instid0(VALU_DEP_1) | instskip(NEXT) | instid1(SALU_CYCLE_1)
	s_or_b32 s2, vcc_lo, s2
	s_and_saveexec_b32 s3, s2
	s_cbranch_execz .LBB62_23
; %bb.5:
	s_load_b64 s[2:3], s[0:1], 0x0
	v_lshrrev_b32_e32 v5, 2, v0
	s_delay_alu instid0(VALU_DEP_1) | instskip(SKIP_1) | instid1(VALU_DEP_1)
	v_lshl_or_b32 v5, s15, 5, v5
	s_waitcnt lgkmcnt(0)
	v_cmp_gt_i32_e32 vcc_lo, s2, v5
	s_and_b32 exec_lo, exec_lo, vcc_lo
	s_cbranch_execz .LBB62_23
; %bb.6:
	s_load_b256 s[4:11], s[0:1], 0x10
	v_ashrrev_i32_e32 v6, 31, v5
	v_and_b32_e32 v0, 3, v0
	s_cmp_lg_u32 s3, 0
	s_delay_alu instid0(VALU_DEP_2) | instskip(SKIP_1) | instid1(VALU_DEP_1)
	v_lshlrev_b64 v[6:7], 2, v[5:6]
	s_waitcnt lgkmcnt(0)
	v_add_co_u32 v6, vcc_lo, s4, v6
	s_delay_alu instid0(VALU_DEP_2) | instskip(SKIP_4) | instid1(VALU_DEP_2)
	v_add_co_ci_u32_e32 v7, vcc_lo, s5, v7, vcc_lo
	global_load_b64 v[6:7], v[6:7], off
	s_waitcnt vmcnt(0)
	v_subrev_nc_u32_e32 v6, s12, v6
	v_subrev_nc_u32_e32 v20, s12, v7
	v_add_nc_u32_e32 v6, v6, v0
	s_delay_alu instid0(VALU_DEP_1)
	v_cmp_lt_i32_e64 s2, v6, v20
	s_cbranch_scc0 .LBB62_12
; %bb.7:
	v_mov_b32_e32 v8, 0
	v_mov_b32_e32 v9, 0
	s_delay_alu instid0(VALU_DEP_1)
	v_dual_mov_b32 v11, v9 :: v_dual_mov_b32 v10, v8
	v_dual_mov_b32 v13, v9 :: v_dual_mov_b32 v12, v8
	s_and_saveexec_b32 s3, s2
	s_cbranch_execz .LBB62_11
; %bb.8:
	v_dual_mov_b32 v8, 0 :: v_dual_mov_b32 v17, 0
	v_dual_mov_b32 v9, 0 :: v_dual_mov_b32 v18, v6
	v_mad_u64_u32 v[14:15], null, v6, 21, 20
	s_mov_b32 s4, 0
	s_delay_alu instid0(VALU_DEP_2)
	v_dual_mov_b32 v11, v9 :: v_dual_mov_b32 v10, v8
	v_dual_mov_b32 v13, v9 :: v_dual_mov_b32 v12, v8
.LBB62_9:                               ; =>This Inner Loop Header: Depth=1
	v_ashrrev_i32_e32 v19, 31, v18
	v_mov_b32_e32 v22, v17
	s_delay_alu instid0(VALU_DEP_2) | instskip(SKIP_1) | instid1(VALU_DEP_2)
	v_lshlrev_b64 v[15:16], 2, v[18:19]
	v_add_nc_u32_e32 v18, 4, v18
	v_add_co_u32 v15, vcc_lo, s6, v15
	s_delay_alu instid0(VALU_DEP_3) | instskip(SKIP_2) | instid1(VALU_DEP_1)
	v_add_co_ci_u32_e32 v16, vcc_lo, s7, v16, vcc_lo
	global_load_b32 v7, v[15:16], off
	v_subrev_nc_u32_e32 v16, 20, v14
	v_lshlrev_b64 v[23:24], 3, v[16:17]
	v_subrev_nc_u32_e32 v16, 19, v14
	s_delay_alu instid0(VALU_DEP_1) | instskip(SKIP_1) | instid1(VALU_DEP_4)
	v_lshlrev_b64 v[25:26], 3, v[16:17]
	v_subrev_nc_u32_e32 v16, 18, v14
	v_add_co_u32 v23, vcc_lo, s8, v23
	v_add_co_ci_u32_e32 v24, vcc_lo, s9, v24, vcc_lo
	s_delay_alu instid0(VALU_DEP_3) | instskip(SKIP_3) | instid1(VALU_DEP_3)
	v_lshlrev_b64 v[27:28], 3, v[16:17]
	v_subrev_nc_u32_e32 v16, 17, v14
	v_add_co_u32 v25, vcc_lo, s8, v25
	v_add_co_ci_u32_e32 v26, vcc_lo, s9, v26, vcc_lo
	v_lshlrev_b64 v[29:30], 3, v[16:17]
	v_add_co_u32 v27, vcc_lo, s8, v27
	v_add_co_ci_u32_e32 v28, vcc_lo, s9, v28, vcc_lo
	s_clause 0x1
	global_load_b64 v[23:24], v[23:24], off
	global_load_b64 v[25:26], v[25:26], off
	v_add_co_u32 v29, vcc_lo, s8, v29
	v_add_co_ci_u32_e32 v30, vcc_lo, s9, v30, vcc_lo
	s_waitcnt vmcnt(2)
	v_subrev_nc_u32_e32 v7, s12, v7
	s_delay_alu instid0(VALU_DEP_1) | instskip(NEXT) | instid1(VALU_DEP_1)
	v_mul_lo_u32 v21, v7, 7
	v_dual_mov_b32 v15, v17 :: v_dual_add_nc_u32 v16, 1, v21
	v_lshlrev_b64 v[31:32], 3, v[21:22]
	s_delay_alu instid0(VALU_DEP_2) | instskip(SKIP_1) | instid1(VALU_DEP_3)
	v_lshlrev_b64 v[33:34], 3, v[16:17]
	v_add_nc_u32_e32 v16, -16, v14
	v_add_co_u32 v31, vcc_lo, s10, v31
	s_delay_alu instid0(VALU_DEP_4)
	v_add_co_ci_u32_e32 v32, vcc_lo, s11, v32, vcc_lo
	s_clause 0x1
	global_load_b64 v[27:28], v[27:28], off
	global_load_b64 v[29:30], v[29:30], off
	;; [unrolled: 1-line block ×3, first 2 shown]
	v_lshlrev_b64 v[35:36], 3, v[16:17]
	v_add_nc_u32_e32 v16, -15, v14
	v_add_co_u32 v33, vcc_lo, s10, v33
	v_add_co_ci_u32_e32 v34, vcc_lo, s11, v34, vcc_lo
	s_delay_alu instid0(VALU_DEP_3)
	v_lshlrev_b64 v[37:38], 3, v[16:17]
	v_add_co_u32 v35, vcc_lo, s8, v35
	v_add_co_ci_u32_e32 v36, vcc_lo, s9, v36, vcc_lo
	global_load_b64 v[33:34], v[33:34], off
	v_add_co_u32 v37, vcc_lo, s8, v37
	v_add_co_ci_u32_e32 v38, vcc_lo, s9, v38, vcc_lo
	s_clause 0x1
	global_load_b64 v[35:36], v[35:36], off
	global_load_b64 v[37:38], v[37:38], off
	v_add_nc_u32_e32 v16, -14, v14
	s_delay_alu instid0(VALU_DEP_1) | instskip(SKIP_1) | instid1(VALU_DEP_1)
	v_lshlrev_b64 v[39:40], 3, v[16:17]
	v_add_nc_u32_e32 v16, 2, v21
	v_lshlrev_b64 v[41:42], 3, v[16:17]
	v_add_nc_u32_e32 v16, -13, v14
	s_delay_alu instid0(VALU_DEP_4) | instskip(SKIP_1) | instid1(VALU_DEP_3)
	v_add_co_u32 v39, vcc_lo, s8, v39
	v_add_co_ci_u32_e32 v40, vcc_lo, s9, v40, vcc_lo
	v_lshlrev_b64 v[43:44], 3, v[16:17]
	v_add_nc_u32_e32 v16, -12, v14
	v_add_co_u32 v41, vcc_lo, s10, v41
	v_add_co_ci_u32_e32 v42, vcc_lo, s11, v42, vcc_lo
	s_delay_alu instid0(VALU_DEP_3)
	v_lshlrev_b64 v[45:46], 3, v[16:17]
	v_add_co_u32 v43, vcc_lo, s8, v43
	v_add_co_ci_u32_e32 v44, vcc_lo, s9, v44, vcc_lo
	global_load_b64 v[39:40], v[39:40], off
	v_add_co_u32 v45, vcc_lo, s8, v45
	v_add_co_ci_u32_e32 v46, vcc_lo, s9, v46, vcc_lo
	global_load_b64 v[41:42], v[41:42], off
	s_clause 0x1
	global_load_b64 v[43:44], v[43:44], off
	global_load_b64 v[45:46], v[45:46], off
	v_add_nc_u32_e32 v16, -11, v14
	s_delay_alu instid0(VALU_DEP_1) | instskip(SKIP_1) | instid1(VALU_DEP_1)
	v_lshlrev_b64 v[47:48], 3, v[16:17]
	v_add_nc_u32_e32 v16, 3, v21
	v_lshlrev_b64 v[49:50], 3, v[16:17]
	v_add_nc_u32_e32 v16, -10, v14
	s_delay_alu instid0(VALU_DEP_4) | instskip(SKIP_1) | instid1(VALU_DEP_3)
	v_add_co_u32 v47, vcc_lo, s8, v47
	v_add_co_ci_u32_e32 v48, vcc_lo, s9, v48, vcc_lo
	v_lshlrev_b64 v[51:52], 3, v[16:17]
	v_add_nc_u32_e32 v16, -9, v14
	v_add_co_u32 v49, vcc_lo, s10, v49
	v_add_co_ci_u32_e32 v50, vcc_lo, s11, v50, vcc_lo
	s_delay_alu instid0(VALU_DEP_3)
	v_lshlrev_b64 v[53:54], 3, v[16:17]
	v_add_co_u32 v51, vcc_lo, s8, v51
	v_add_co_ci_u32_e32 v52, vcc_lo, s9, v52, vcc_lo
	global_load_b64 v[47:48], v[47:48], off
	v_add_co_u32 v53, vcc_lo, s8, v53
	v_add_co_ci_u32_e32 v54, vcc_lo, s9, v54, vcc_lo
	global_load_b64 v[49:50], v[49:50], off
	;; [unrolled: 24-line block ×4, first 2 shown]
	s_clause 0x1
	global_load_b64 v[67:68], v[67:68], off
	global_load_b64 v[69:70], v[69:70], off
	v_lshlrev_b64 v[15:16], 3, v[14:15]
	s_delay_alu instid0(VALU_DEP_1) | instskip(NEXT) | instid1(VALU_DEP_2)
	v_add_co_u32 v71, vcc_lo, s8, v15
	v_add_co_ci_u32_e32 v72, vcc_lo, s9, v16, vcc_lo
	v_add_nc_u32_e32 v16, -2, v14
	s_delay_alu instid0(VALU_DEP_1) | instskip(SKIP_1) | instid1(VALU_DEP_1)
	v_lshlrev_b64 v[73:74], 3, v[16:17]
	v_add_nc_u32_e32 v16, 6, v21
	v_lshlrev_b64 v[21:22], 3, v[16:17]
	v_add_nc_u32_e32 v16, -1, v14
	s_delay_alu instid0(VALU_DEP_4) | instskip(SKIP_1) | instid1(VALU_DEP_3)
	v_add_co_u32 v73, vcc_lo, s8, v73
	v_add_co_ci_u32_e32 v74, vcc_lo, s9, v74, vcc_lo
	v_lshlrev_b64 v[15:16], 3, v[16:17]
	v_add_co_u32 v21, vcc_lo, s10, v21
	v_add_co_ci_u32_e32 v22, vcc_lo, s11, v22, vcc_lo
	v_add_nc_u32_e32 v14, 0x54, v14
	s_delay_alu instid0(VALU_DEP_4)
	v_add_co_u32 v15, vcc_lo, s8, v15
	v_add_co_ci_u32_e32 v16, vcc_lo, s9, v16, vcc_lo
	global_load_b64 v[73:74], v[73:74], off
	global_load_b64 v[21:22], v[21:22], off
	s_clause 0x1
	global_load_b64 v[15:16], v[15:16], off
	global_load_b64 v[71:72], v[71:72], off
	v_cmp_ge_i32_e32 vcc_lo, v18, v20
	s_or_b32 s4, vcc_lo, s4
	s_waitcnt vmcnt(23)
	v_fma_f64 v[7:8], v[23:24], v[31:32], v[8:9]
	v_fma_f64 v[12:13], v[25:26], v[31:32], v[12:13]
	;; [unrolled: 1-line block ×3, first 2 shown]
	s_waitcnt vmcnt(22)
	s_delay_alu instid0(VALU_DEP_3) | instskip(SKIP_1) | instid1(VALU_DEP_3)
	v_fma_f64 v[7:8], v[29:30], v[33:34], v[7:8]
	s_waitcnt vmcnt(21)
	v_fma_f64 v[11:12], v[35:36], v[33:34], v[12:13]
	s_waitcnt vmcnt(20)
	s_delay_alu instid0(VALU_DEP_3) | instskip(SKIP_1) | instid1(VALU_DEP_3)
	v_fma_f64 v[9:10], v[37:38], v[33:34], v[9:10]
	s_waitcnt vmcnt(18)
	v_fma_f64 v[7:8], v[39:40], v[41:42], v[7:8]
	;; [unrolled: 5-line block ×9, first 2 shown]
	s_and_not1_b32 exec_lo, exec_lo, s4
	s_cbranch_execnz .LBB62_9
; %bb.10:
	s_or_b32 exec_lo, exec_lo, s4
.LBB62_11:
	s_delay_alu instid0(SALU_CYCLE_1)
	s_or_b32 exec_lo, exec_lo, s3
	s_cbranch_execz .LBB62_13
	s_branch .LBB62_18
.LBB62_12:
                                        ; implicit-def: $vgpr8_vgpr9
                                        ; implicit-def: $vgpr10_vgpr11
                                        ; implicit-def: $vgpr12_vgpr13
.LBB62_13:
	v_mov_b32_e32 v8, 0
	v_mov_b32_e32 v9, 0
	s_delay_alu instid0(VALU_DEP_1)
	v_dual_mov_b32 v11, v9 :: v_dual_mov_b32 v10, v8
	v_dual_mov_b32 v13, v9 :: v_dual_mov_b32 v12, v8
	s_and_saveexec_b32 s3, s2
	s_cbranch_execz .LBB62_17
; %bb.14:
	v_dual_mov_b32 v8, 0 :: v_dual_mov_b32 v17, 0
	v_mov_b32_e32 v9, 0
	v_mad_u64_u32 v[14:15], null, v6, 21, 20
	s_mov_b32 s2, 0
	s_delay_alu instid0(VALU_DEP_2)
	v_dual_mov_b32 v11, v9 :: v_dual_mov_b32 v10, v8
	v_dual_mov_b32 v13, v9 :: v_dual_mov_b32 v12, v8
.LBB62_15:                              ; =>This Inner Loop Header: Depth=1
	v_ashrrev_i32_e32 v7, 31, v6
	s_delay_alu instid0(VALU_DEP_4) | instskip(SKIP_2) | instid1(VALU_DEP_4)
	v_dual_mov_b32 v23, v17 :: v_dual_add_nc_u32 v18, -13, v14
	v_mov_b32_e32 v19, v17
	v_dual_mov_b32 v22, v17 :: v_dual_add_nc_u32 v21, -6, v14
	v_lshlrev_b64 v[15:16], 2, v[6:7]
	v_add_nc_u32_e32 v6, 4, v6
	s_delay_alu instid0(VALU_DEP_4) | instskip(NEXT) | instid1(VALU_DEP_4)
	v_lshlrev_b64 v[18:19], 3, v[18:19]
	v_lshlrev_b64 v[21:22], 3, v[21:22]
	s_delay_alu instid0(VALU_DEP_4) | instskip(SKIP_4) | instid1(VALU_DEP_2)
	v_add_co_u32 v15, vcc_lo, s6, v15
	v_add_co_ci_u32_e32 v16, vcc_lo, s7, v16, vcc_lo
	global_load_b32 v7, v[15:16], off
	v_subrev_nc_u32_e32 v16, 20, v14
	v_mov_b32_e32 v15, v17
	v_lshlrev_b64 v[24:25], 3, v[16:17]
	v_subrev_nc_u32_e32 v16, 19, v14
	s_delay_alu instid0(VALU_DEP_1) | instskip(NEXT) | instid1(VALU_DEP_3)
	v_lshlrev_b64 v[26:27], 3, v[16:17]
	v_add_co_u32 v24, vcc_lo, s8, v24
	s_delay_alu instid0(VALU_DEP_4)
	v_add_co_ci_u32_e32 v25, vcc_lo, s9, v25, vcc_lo
	v_add_co_u32 v18, vcc_lo, s8, v18
	v_add_co_ci_u32_e32 v19, vcc_lo, s9, v19, vcc_lo
	v_add_co_u32 v28, vcc_lo, s8, v21
	;; [unrolled: 2-line block ×3, first 2 shown]
	v_add_co_ci_u32_e32 v27, vcc_lo, s9, v27, vcc_lo
	s_clause 0x1
	global_load_b64 v[24:25], v[24:25], off
	global_load_b64 v[18:19], v[18:19], off
	s_waitcnt vmcnt(2)
	v_subrev_nc_u32_e32 v7, s12, v7
	s_delay_alu instid0(VALU_DEP_1) | instskip(NEXT) | instid1(VALU_DEP_1)
	v_mul_lo_u32 v22, v7, 7
	v_lshlrev_b64 v[30:31], 3, v[22:23]
	v_add_nc_u32_e32 v16, 1, v22
	s_delay_alu instid0(VALU_DEP_1) | instskip(SKIP_1) | instid1(VALU_DEP_4)
	v_lshlrev_b64 v[32:33], 3, v[16:17]
	v_add_nc_u32_e32 v16, -12, v14
	v_add_co_u32 v30, vcc_lo, s10, v30
	v_add_co_ci_u32_e32 v31, vcc_lo, s11, v31, vcc_lo
	s_clause 0x1
	global_load_b64 v[28:29], v[28:29], off
	global_load_b64 v[26:27], v[26:27], off
	;; [unrolled: 1-line block ×3, first 2 shown]
	v_lshlrev_b64 v[34:35], 3, v[16:17]
	v_add_nc_u32_e32 v16, -5, v14
	v_add_co_u32 v32, vcc_lo, s10, v32
	v_add_co_ci_u32_e32 v33, vcc_lo, s11, v33, vcc_lo
	s_delay_alu instid0(VALU_DEP_3)
	v_lshlrev_b64 v[36:37], 3, v[16:17]
	v_add_co_u32 v34, vcc_lo, s8, v34
	v_add_co_ci_u32_e32 v35, vcc_lo, s9, v35, vcc_lo
	global_load_b64 v[32:33], v[32:33], off
	v_add_co_u32 v36, vcc_lo, s8, v36
	v_add_co_ci_u32_e32 v37, vcc_lo, s9, v37, vcc_lo
	s_clause 0x1
	global_load_b64 v[34:35], v[34:35], off
	global_load_b64 v[36:37], v[36:37], off
	v_subrev_nc_u32_e32 v16, 18, v14
	s_delay_alu instid0(VALU_DEP_1) | instskip(SKIP_1) | instid1(VALU_DEP_1)
	v_lshlrev_b64 v[38:39], 3, v[16:17]
	v_add_nc_u32_e32 v16, 2, v22
	v_lshlrev_b64 v[40:41], 3, v[16:17]
	v_add_nc_u32_e32 v16, -11, v14
	s_delay_alu instid0(VALU_DEP_4) | instskip(SKIP_1) | instid1(VALU_DEP_3)
	v_add_co_u32 v38, vcc_lo, s8, v38
	v_add_co_ci_u32_e32 v39, vcc_lo, s9, v39, vcc_lo
	v_lshlrev_b64 v[42:43], 3, v[16:17]
	v_add_nc_u32_e32 v16, -4, v14
	v_add_co_u32 v40, vcc_lo, s10, v40
	v_add_co_ci_u32_e32 v41, vcc_lo, s11, v41, vcc_lo
	s_delay_alu instid0(VALU_DEP_3)
	v_lshlrev_b64 v[44:45], 3, v[16:17]
	v_add_co_u32 v42, vcc_lo, s8, v42
	v_add_co_ci_u32_e32 v43, vcc_lo, s9, v43, vcc_lo
	global_load_b64 v[38:39], v[38:39], off
	v_add_co_u32 v44, vcc_lo, s8, v44
	v_add_co_ci_u32_e32 v45, vcc_lo, s9, v45, vcc_lo
	global_load_b64 v[40:41], v[40:41], off
	s_clause 0x1
	global_load_b64 v[42:43], v[42:43], off
	global_load_b64 v[44:45], v[44:45], off
	v_subrev_nc_u32_e32 v16, 17, v14
	s_delay_alu instid0(VALU_DEP_1) | instskip(SKIP_1) | instid1(VALU_DEP_1)
	v_lshlrev_b64 v[46:47], 3, v[16:17]
	v_add_nc_u32_e32 v16, 3, v22
	v_lshlrev_b64 v[48:49], 3, v[16:17]
	v_add_nc_u32_e32 v16, -10, v14
	s_delay_alu instid0(VALU_DEP_4) | instskip(SKIP_1) | instid1(VALU_DEP_3)
	v_add_co_u32 v46, vcc_lo, s8, v46
	v_add_co_ci_u32_e32 v47, vcc_lo, s9, v47, vcc_lo
	v_lshlrev_b64 v[50:51], 3, v[16:17]
	v_add_nc_u32_e32 v16, -3, v14
	v_add_co_u32 v48, vcc_lo, s10, v48
	v_add_co_ci_u32_e32 v49, vcc_lo, s11, v49, vcc_lo
	s_delay_alu instid0(VALU_DEP_3)
	v_lshlrev_b64 v[52:53], 3, v[16:17]
	v_add_co_u32 v50, vcc_lo, s8, v50
	v_add_co_ci_u32_e32 v51, vcc_lo, s9, v51, vcc_lo
	global_load_b64 v[46:47], v[46:47], off
	v_add_co_u32 v52, vcc_lo, s8, v52
	v_add_co_ci_u32_e32 v53, vcc_lo, s9, v53, vcc_lo
	global_load_b64 v[48:49], v[48:49], off
	s_clause 0x1
	global_load_b64 v[50:51], v[50:51], off
	global_load_b64 v[52:53], v[52:53], off
	v_add_nc_u32_e32 v16, -16, v14
	s_delay_alu instid0(VALU_DEP_1) | instskip(SKIP_1) | instid1(VALU_DEP_1)
	v_lshlrev_b64 v[54:55], 3, v[16:17]
	v_add_nc_u32_e32 v16, 4, v22
	v_lshlrev_b64 v[56:57], 3, v[16:17]
	v_add_nc_u32_e32 v16, -9, v14
	s_delay_alu instid0(VALU_DEP_4) | instskip(SKIP_1) | instid1(VALU_DEP_3)
	v_add_co_u32 v54, vcc_lo, s8, v54
	v_add_co_ci_u32_e32 v55, vcc_lo, s9, v55, vcc_lo
	v_lshlrev_b64 v[58:59], 3, v[16:17]
	v_add_nc_u32_e32 v16, -2, v14
	v_add_co_u32 v56, vcc_lo, s10, v56
	v_add_co_ci_u32_e32 v57, vcc_lo, s11, v57, vcc_lo
	s_delay_alu instid0(VALU_DEP_3)
	v_lshlrev_b64 v[60:61], 3, v[16:17]
	v_add_co_u32 v58, vcc_lo, s8, v58
	v_add_co_ci_u32_e32 v59, vcc_lo, s9, v59, vcc_lo
	global_load_b64 v[54:55], v[54:55], off
	v_add_co_u32 v60, vcc_lo, s8, v60
	v_add_co_ci_u32_e32 v61, vcc_lo, s9, v61, vcc_lo
	global_load_b64 v[56:57], v[56:57], off
	s_clause 0x1
	global_load_b64 v[58:59], v[58:59], off
	global_load_b64 v[60:61], v[60:61], off
	v_add_nc_u32_e32 v16, -15, v14
	s_delay_alu instid0(VALU_DEP_1) | instskip(SKIP_1) | instid1(VALU_DEP_1)
	v_lshlrev_b64 v[62:63], 3, v[16:17]
	v_add_nc_u32_e32 v16, 5, v22
	v_lshlrev_b64 v[64:65], 3, v[16:17]
	v_add_nc_u32_e32 v16, -8, v14
	s_delay_alu instid0(VALU_DEP_4) | instskip(SKIP_1) | instid1(VALU_DEP_3)
	v_add_co_u32 v62, vcc_lo, s8, v62
	v_add_co_ci_u32_e32 v63, vcc_lo, s9, v63, vcc_lo
	v_lshlrev_b64 v[66:67], 3, v[16:17]
	v_add_nc_u32_e32 v16, -1, v14
	v_add_co_u32 v64, vcc_lo, s10, v64
	v_add_co_ci_u32_e32 v65, vcc_lo, s11, v65, vcc_lo
	s_delay_alu instid0(VALU_DEP_3)
	v_lshlrev_b64 v[68:69], 3, v[16:17]
	v_add_co_u32 v66, vcc_lo, s8, v66
	v_add_co_ci_u32_e32 v67, vcc_lo, s9, v67, vcc_lo
	global_load_b64 v[62:63], v[62:63], off
	v_add_co_u32 v68, vcc_lo, s8, v68
	v_add_co_ci_u32_e32 v69, vcc_lo, s9, v69, vcc_lo
	global_load_b64 v[64:65], v[64:65], off
	s_clause 0x1
	global_load_b64 v[66:67], v[66:67], off
	global_load_b64 v[68:69], v[68:69], off
	v_lshlrev_b64 v[15:16], 3, v[14:15]
	s_delay_alu instid0(VALU_DEP_1) | instskip(NEXT) | instid1(VALU_DEP_2)
	v_add_co_u32 v70, vcc_lo, s8, v15
	v_add_co_ci_u32_e32 v71, vcc_lo, s9, v16, vcc_lo
	v_add_nc_u32_e32 v16, -14, v14
	s_delay_alu instid0(VALU_DEP_1) | instskip(SKIP_1) | instid1(VALU_DEP_1)
	v_lshlrev_b64 v[72:73], 3, v[16:17]
	v_add_nc_u32_e32 v16, 6, v22
	v_lshlrev_b64 v[21:22], 3, v[16:17]
	v_add_nc_u32_e32 v16, -7, v14
	s_delay_alu instid0(VALU_DEP_4) | instskip(SKIP_1) | instid1(VALU_DEP_3)
	v_add_co_u32 v72, vcc_lo, s8, v72
	v_add_co_ci_u32_e32 v73, vcc_lo, s9, v73, vcc_lo
	v_lshlrev_b64 v[15:16], 3, v[16:17]
	v_add_co_u32 v21, vcc_lo, s10, v21
	v_add_co_ci_u32_e32 v22, vcc_lo, s11, v22, vcc_lo
	v_add_nc_u32_e32 v14, 0x54, v14
	s_delay_alu instid0(VALU_DEP_4)
	v_add_co_u32 v15, vcc_lo, s8, v15
	v_add_co_ci_u32_e32 v16, vcc_lo, s9, v16, vcc_lo
	global_load_b64 v[72:73], v[72:73], off
	global_load_b64 v[21:22], v[21:22], off
	s_clause 0x1
	global_load_b64 v[15:16], v[15:16], off
	global_load_b64 v[70:71], v[70:71], off
	v_cmp_ge_i32_e32 vcc_lo, v6, v20
	s_or_b32 s2, vcc_lo, s2
	s_waitcnt vmcnt(23)
	v_fma_f64 v[7:8], v[24:25], v[30:31], v[8:9]
	v_fma_f64 v[12:13], v[18:19], v[30:31], v[12:13]
	;; [unrolled: 1-line block ×3, first 2 shown]
	s_waitcnt vmcnt(22)
	s_delay_alu instid0(VALU_DEP_3) | instskip(SKIP_1) | instid1(VALU_DEP_3)
	v_fma_f64 v[7:8], v[26:27], v[32:33], v[7:8]
	s_waitcnt vmcnt(21)
	v_fma_f64 v[11:12], v[34:35], v[32:33], v[12:13]
	s_waitcnt vmcnt(20)
	s_delay_alu instid0(VALU_DEP_3) | instskip(SKIP_1) | instid1(VALU_DEP_3)
	v_fma_f64 v[9:10], v[36:37], v[32:33], v[9:10]
	s_waitcnt vmcnt(18)
	v_fma_f64 v[7:8], v[38:39], v[40:41], v[7:8]
	;; [unrolled: 5-line block ×9, first 2 shown]
	s_and_not1_b32 exec_lo, exec_lo, s2
	s_cbranch_execnz .LBB62_15
; %bb.16:
	s_or_b32 exec_lo, exec_lo, s2
.LBB62_17:
	s_delay_alu instid0(SALU_CYCLE_1)
	s_or_b32 exec_lo, exec_lo, s3
.LBB62_18:
	v_mbcnt_lo_u32_b32 v18, -1, 0
	s_delay_alu instid0(VALU_DEP_1) | instskip(NEXT) | instid1(VALU_DEP_1)
	v_xor_b32_e32 v6, 2, v18
	v_cmp_gt_i32_e32 vcc_lo, 32, v6
	v_cndmask_b32_e32 v6, v18, v6, vcc_lo
	s_delay_alu instid0(VALU_DEP_1)
	v_lshlrev_b32_e32 v17, 2, v6
	ds_bpermute_b32 v6, v17, v8
	ds_bpermute_b32 v7, v17, v9
	;; [unrolled: 1-line block ×6, first 2 shown]
	s_waitcnt lgkmcnt(4)
	v_add_f64 v[8:9], v[8:9], v[6:7]
	s_waitcnt lgkmcnt(2)
	v_add_f64 v[6:7], v[12:13], v[14:15]
	;; [unrolled: 2-line block ×3, first 2 shown]
	v_xor_b32_e32 v10, 1, v18
	s_delay_alu instid0(VALU_DEP_1) | instskip(SKIP_2) | instid1(VALU_DEP_2)
	v_cmp_gt_i32_e32 vcc_lo, 32, v10
	v_cndmask_b32_e32 v10, v18, v10, vcc_lo
	v_cmp_eq_u32_e32 vcc_lo, 3, v0
	v_lshlrev_b32_e32 v15, 2, v10
	ds_bpermute_b32 v10, v15, v8
	ds_bpermute_b32 v11, v15, v9
	;; [unrolled: 1-line block ×6, first 2 shown]
	s_and_b32 exec_lo, exec_lo, vcc_lo
	s_cbranch_execz .LBB62_23
; %bb.19:
	s_waitcnt lgkmcnt(4)
	v_add_f64 v[10:11], v[8:9], v[10:11]
	s_waitcnt lgkmcnt(2)
	v_add_f64 v[8:9], v[6:7], v[16:17]
	s_waitcnt lgkmcnt(0)
	v_add_f64 v[6:7], v[12:13], v[14:15]
	s_load_b64 s[0:1], s[0:1], 0x38
	s_mov_b32 s2, exec_lo
	v_cmpx_eq_f64_e32 0, v[3:4]
	s_xor_b32 s2, exec_lo, s2
	s_cbranch_execz .LBB62_21
; %bb.20:
	s_delay_alu instid0(VALU_DEP_4) | instskip(NEXT) | instid1(VALU_DEP_4)
	v_mul_f64 v[10:11], v[1:2], v[10:11]
	v_mul_f64 v[12:13], v[1:2], v[8:9]
	s_delay_alu instid0(VALU_DEP_4) | instskip(SKIP_1) | instid1(VALU_DEP_1)
	v_mul_f64 v[0:1], v[1:2], v[6:7]
	v_lshl_add_u32 v2, v5, 1, v5
                                        ; implicit-def: $vgpr5
                                        ; implicit-def: $vgpr8_vgpr9
                                        ; implicit-def: $vgpr6_vgpr7
	v_ashrrev_i32_e32 v3, 31, v2
	s_delay_alu instid0(VALU_DEP_1) | instskip(SKIP_1) | instid1(VALU_DEP_1)
	v_lshlrev_b64 v[2:3], 3, v[2:3]
	s_waitcnt lgkmcnt(0)
	v_add_co_u32 v2, vcc_lo, s0, v2
	s_delay_alu instid0(VALU_DEP_2)
	v_add_co_ci_u32_e32 v3, vcc_lo, s1, v3, vcc_lo
	s_clause 0x1
	global_store_b128 v[2:3], v[10:13], off
	global_store_b64 v[2:3], v[0:1], off offset:16
                                        ; implicit-def: $vgpr1_vgpr2
                                        ; implicit-def: $vgpr10_vgpr11
                                        ; implicit-def: $vgpr3_vgpr4
.LBB62_21:
	s_and_not1_saveexec_b32 s2, s2
	s_cbranch_execz .LBB62_23
; %bb.22:
	v_lshl_add_u32 v12, v5, 1, v5
	v_mul_f64 v[10:11], v[1:2], v[10:11]
	v_mul_f64 v[8:9], v[1:2], v[8:9]
	;; [unrolled: 1-line block ×3, first 2 shown]
	s_delay_alu instid0(VALU_DEP_4) | instskip(NEXT) | instid1(VALU_DEP_1)
	v_ashrrev_i32_e32 v13, 31, v12
	v_lshlrev_b64 v[12:13], 3, v[12:13]
	s_waitcnt lgkmcnt(0)
	s_delay_alu instid0(VALU_DEP_1) | instskip(NEXT) | instid1(VALU_DEP_2)
	v_add_co_u32 v16, vcc_lo, s0, v12
	v_add_co_ci_u32_e32 v17, vcc_lo, s1, v13, vcc_lo
	s_clause 0x1
	global_load_b128 v[12:15], v[16:17], off
	global_load_b64 v[18:19], v[16:17], off offset:16
	s_waitcnt vmcnt(1)
	v_fma_f64 v[5:6], v[3:4], v[12:13], v[10:11]
	v_fma_f64 v[7:8], v[3:4], v[14:15], v[8:9]
	s_waitcnt vmcnt(0)
	v_fma_f64 v[0:1], v[3:4], v[18:19], v[0:1]
	s_clause 0x1
	global_store_b128 v[16:17], v[5:8], off
	global_store_b64 v[16:17], v[0:1], off offset:16
.LBB62_23:
	s_nop 0
	s_sendmsg sendmsg(MSG_DEALLOC_VGPRS)
	s_endpgm
	.section	.rodata,"a",@progbits
	.p2align	6, 0x0
	.amdhsa_kernel _ZN9rocsparseL19gebsrmvn_3xn_kernelILj128ELj7ELj4EdEEvi20rocsparse_direction_NS_24const_host_device_scalarIT2_EEPKiS6_PKS3_S8_S4_PS3_21rocsparse_index_base_b
		.amdhsa_group_segment_fixed_size 0
		.amdhsa_private_segment_fixed_size 0
		.amdhsa_kernarg_size 72
		.amdhsa_user_sgpr_count 15
		.amdhsa_user_sgpr_dispatch_ptr 0
		.amdhsa_user_sgpr_queue_ptr 0
		.amdhsa_user_sgpr_kernarg_segment_ptr 1
		.amdhsa_user_sgpr_dispatch_id 0
		.amdhsa_user_sgpr_private_segment_size 0
		.amdhsa_wavefront_size32 1
		.amdhsa_uses_dynamic_stack 0
		.amdhsa_enable_private_segment 0
		.amdhsa_system_sgpr_workgroup_id_x 1
		.amdhsa_system_sgpr_workgroup_id_y 0
		.amdhsa_system_sgpr_workgroup_id_z 0
		.amdhsa_system_sgpr_workgroup_info 0
		.amdhsa_system_vgpr_workitem_id 0
		.amdhsa_next_free_vgpr 75
		.amdhsa_next_free_sgpr 16
		.amdhsa_reserve_vcc 1
		.amdhsa_float_round_mode_32 0
		.amdhsa_float_round_mode_16_64 0
		.amdhsa_float_denorm_mode_32 3
		.amdhsa_float_denorm_mode_16_64 3
		.amdhsa_dx10_clamp 1
		.amdhsa_ieee_mode 1
		.amdhsa_fp16_overflow 0
		.amdhsa_workgroup_processor_mode 1
		.amdhsa_memory_ordered 1
		.amdhsa_forward_progress 0
		.amdhsa_shared_vgpr_count 0
		.amdhsa_exception_fp_ieee_invalid_op 0
		.amdhsa_exception_fp_denorm_src 0
		.amdhsa_exception_fp_ieee_div_zero 0
		.amdhsa_exception_fp_ieee_overflow 0
		.amdhsa_exception_fp_ieee_underflow 0
		.amdhsa_exception_fp_ieee_inexact 0
		.amdhsa_exception_int_div_zero 0
	.end_amdhsa_kernel
	.section	.text._ZN9rocsparseL19gebsrmvn_3xn_kernelILj128ELj7ELj4EdEEvi20rocsparse_direction_NS_24const_host_device_scalarIT2_EEPKiS6_PKS3_S8_S4_PS3_21rocsparse_index_base_b,"axG",@progbits,_ZN9rocsparseL19gebsrmvn_3xn_kernelILj128ELj7ELj4EdEEvi20rocsparse_direction_NS_24const_host_device_scalarIT2_EEPKiS6_PKS3_S8_S4_PS3_21rocsparse_index_base_b,comdat
.Lfunc_end62:
	.size	_ZN9rocsparseL19gebsrmvn_3xn_kernelILj128ELj7ELj4EdEEvi20rocsparse_direction_NS_24const_host_device_scalarIT2_EEPKiS6_PKS3_S8_S4_PS3_21rocsparse_index_base_b, .Lfunc_end62-_ZN9rocsparseL19gebsrmvn_3xn_kernelILj128ELj7ELj4EdEEvi20rocsparse_direction_NS_24const_host_device_scalarIT2_EEPKiS6_PKS3_S8_S4_PS3_21rocsparse_index_base_b
                                        ; -- End function
	.section	.AMDGPU.csdata,"",@progbits
; Kernel info:
; codeLenInByte = 3752
; NumSgprs: 18
; NumVgprs: 75
; ScratchSize: 0
; MemoryBound: 0
; FloatMode: 240
; IeeeMode: 1
; LDSByteSize: 0 bytes/workgroup (compile time only)
; SGPRBlocks: 2
; VGPRBlocks: 9
; NumSGPRsForWavesPerEU: 18
; NumVGPRsForWavesPerEU: 75
; Occupancy: 16
; WaveLimiterHint : 1
; COMPUTE_PGM_RSRC2:SCRATCH_EN: 0
; COMPUTE_PGM_RSRC2:USER_SGPR: 15
; COMPUTE_PGM_RSRC2:TRAP_HANDLER: 0
; COMPUTE_PGM_RSRC2:TGID_X_EN: 1
; COMPUTE_PGM_RSRC2:TGID_Y_EN: 0
; COMPUTE_PGM_RSRC2:TGID_Z_EN: 0
; COMPUTE_PGM_RSRC2:TIDIG_COMP_CNT: 0
	.section	.text._ZN9rocsparseL19gebsrmvn_3xn_kernelILj128ELj7ELj8EdEEvi20rocsparse_direction_NS_24const_host_device_scalarIT2_EEPKiS6_PKS3_S8_S4_PS3_21rocsparse_index_base_b,"axG",@progbits,_ZN9rocsparseL19gebsrmvn_3xn_kernelILj128ELj7ELj8EdEEvi20rocsparse_direction_NS_24const_host_device_scalarIT2_EEPKiS6_PKS3_S8_S4_PS3_21rocsparse_index_base_b,comdat
	.globl	_ZN9rocsparseL19gebsrmvn_3xn_kernelILj128ELj7ELj8EdEEvi20rocsparse_direction_NS_24const_host_device_scalarIT2_EEPKiS6_PKS3_S8_S4_PS3_21rocsparse_index_base_b ; -- Begin function _ZN9rocsparseL19gebsrmvn_3xn_kernelILj128ELj7ELj8EdEEvi20rocsparse_direction_NS_24const_host_device_scalarIT2_EEPKiS6_PKS3_S8_S4_PS3_21rocsparse_index_base_b
	.p2align	8
	.type	_ZN9rocsparseL19gebsrmvn_3xn_kernelILj128ELj7ELj8EdEEvi20rocsparse_direction_NS_24const_host_device_scalarIT2_EEPKiS6_PKS3_S8_S4_PS3_21rocsparse_index_base_b,@function
_ZN9rocsparseL19gebsrmvn_3xn_kernelILj128ELj7ELj8EdEEvi20rocsparse_direction_NS_24const_host_device_scalarIT2_EEPKiS6_PKS3_S8_S4_PS3_21rocsparse_index_base_b: ; @_ZN9rocsparseL19gebsrmvn_3xn_kernelILj128ELj7ELj8EdEEvi20rocsparse_direction_NS_24const_host_device_scalarIT2_EEPKiS6_PKS3_S8_S4_PS3_21rocsparse_index_base_b
; %bb.0:
	s_clause 0x2
	s_load_b64 s[12:13], s[0:1], 0x40
	s_load_b64 s[4:5], s[0:1], 0x8
	;; [unrolled: 1-line block ×3, first 2 shown]
	s_waitcnt lgkmcnt(0)
	s_bitcmp1_b32 s13, 0
	v_dual_mov_b32 v1, s4 :: v_dual_mov_b32 v2, s5
	s_cselect_b32 s6, -1, 0
	s_delay_alu instid0(SALU_CYCLE_1)
	s_and_b32 vcc_lo, exec_lo, s6
	s_xor_b32 s6, s6, -1
	s_cbranch_vccnz .LBB63_2
; %bb.1:
	v_dual_mov_b32 v1, s4 :: v_dual_mov_b32 v2, s5
	flat_load_b64 v[1:2], v[1:2]
.LBB63_2:
	v_dual_mov_b32 v4, s3 :: v_dual_mov_b32 v3, s2
	s_and_not1_b32 vcc_lo, exec_lo, s6
	s_cbranch_vccnz .LBB63_4
; %bb.3:
	v_dual_mov_b32 v4, s3 :: v_dual_mov_b32 v3, s2
	flat_load_b64 v[3:4], v[3:4]
.LBB63_4:
	s_waitcnt vmcnt(0) lgkmcnt(0)
	v_cmp_neq_f64_e32 vcc_lo, 0, v[1:2]
	v_cmp_neq_f64_e64 s2, 1.0, v[3:4]
	s_delay_alu instid0(VALU_DEP_1) | instskip(NEXT) | instid1(SALU_CYCLE_1)
	s_or_b32 s2, vcc_lo, s2
	s_and_saveexec_b32 s3, s2
	s_cbranch_execz .LBB63_23
; %bb.5:
	s_load_b64 s[2:3], s[0:1], 0x0
	v_lshrrev_b32_e32 v5, 3, v0
	s_delay_alu instid0(VALU_DEP_1) | instskip(SKIP_1) | instid1(VALU_DEP_1)
	v_lshl_or_b32 v5, s15, 4, v5
	s_waitcnt lgkmcnt(0)
	v_cmp_gt_i32_e32 vcc_lo, s2, v5
	s_and_b32 exec_lo, exec_lo, vcc_lo
	s_cbranch_execz .LBB63_23
; %bb.6:
	s_load_b256 s[4:11], s[0:1], 0x10
	v_ashrrev_i32_e32 v6, 31, v5
	v_and_b32_e32 v0, 7, v0
	s_cmp_lg_u32 s3, 0
	s_delay_alu instid0(VALU_DEP_2) | instskip(SKIP_1) | instid1(VALU_DEP_1)
	v_lshlrev_b64 v[6:7], 2, v[5:6]
	s_waitcnt lgkmcnt(0)
	v_add_co_u32 v6, vcc_lo, s4, v6
	s_delay_alu instid0(VALU_DEP_2) | instskip(SKIP_4) | instid1(VALU_DEP_2)
	v_add_co_ci_u32_e32 v7, vcc_lo, s5, v7, vcc_lo
	global_load_b64 v[6:7], v[6:7], off
	s_waitcnt vmcnt(0)
	v_subrev_nc_u32_e32 v6, s12, v6
	v_subrev_nc_u32_e32 v20, s12, v7
	v_add_nc_u32_e32 v8, v6, v0
	s_delay_alu instid0(VALU_DEP_1)
	v_cmp_lt_i32_e64 s2, v8, v20
	s_cbranch_scc0 .LBB63_12
; %bb.7:
	v_mov_b32_e32 v6, 0
	v_mov_b32_e32 v7, 0
	s_delay_alu instid0(VALU_DEP_1)
	v_dual_mov_b32 v11, v7 :: v_dual_mov_b32 v10, v6
	v_dual_mov_b32 v13, v7 :: v_dual_mov_b32 v12, v6
	s_and_saveexec_b32 s3, s2
	s_cbranch_execz .LBB63_11
; %bb.8:
	v_dual_mov_b32 v6, 0 :: v_dual_mov_b32 v17, 0
	v_dual_mov_b32 v7, 0 :: v_dual_mov_b32 v18, v8
	v_mad_u64_u32 v[14:15], null, v8, 21, 20
	s_mov_b32 s4, 0
	s_delay_alu instid0(VALU_DEP_2)
	v_dual_mov_b32 v11, v7 :: v_dual_mov_b32 v10, v6
	v_dual_mov_b32 v13, v7 :: v_dual_mov_b32 v12, v6
.LBB63_9:                               ; =>This Inner Loop Header: Depth=1
	v_ashrrev_i32_e32 v19, 31, v18
	v_mov_b32_e32 v22, v17
	s_delay_alu instid0(VALU_DEP_2) | instskip(SKIP_1) | instid1(VALU_DEP_2)
	v_lshlrev_b64 v[15:16], 2, v[18:19]
	v_add_nc_u32_e32 v18, 8, v18
	v_add_co_u32 v15, vcc_lo, s6, v15
	s_delay_alu instid0(VALU_DEP_3) | instskip(SKIP_2) | instid1(VALU_DEP_1)
	v_add_co_ci_u32_e32 v16, vcc_lo, s7, v16, vcc_lo
	global_load_b32 v9, v[15:16], off
	v_subrev_nc_u32_e32 v16, 20, v14
	v_lshlrev_b64 v[23:24], 3, v[16:17]
	v_subrev_nc_u32_e32 v16, 19, v14
	s_delay_alu instid0(VALU_DEP_1) | instskip(SKIP_1) | instid1(VALU_DEP_4)
	v_lshlrev_b64 v[25:26], 3, v[16:17]
	v_subrev_nc_u32_e32 v16, 18, v14
	v_add_co_u32 v23, vcc_lo, s8, v23
	v_add_co_ci_u32_e32 v24, vcc_lo, s9, v24, vcc_lo
	s_delay_alu instid0(VALU_DEP_3) | instskip(SKIP_3) | instid1(VALU_DEP_3)
	v_lshlrev_b64 v[27:28], 3, v[16:17]
	v_subrev_nc_u32_e32 v16, 17, v14
	v_add_co_u32 v25, vcc_lo, s8, v25
	v_add_co_ci_u32_e32 v26, vcc_lo, s9, v26, vcc_lo
	v_lshlrev_b64 v[29:30], 3, v[16:17]
	v_add_co_u32 v27, vcc_lo, s8, v27
	v_add_co_ci_u32_e32 v28, vcc_lo, s9, v28, vcc_lo
	s_clause 0x1
	global_load_b64 v[23:24], v[23:24], off
	global_load_b64 v[25:26], v[25:26], off
	v_add_co_u32 v29, vcc_lo, s8, v29
	v_add_co_ci_u32_e32 v30, vcc_lo, s9, v30, vcc_lo
	s_waitcnt vmcnt(2)
	v_subrev_nc_u32_e32 v9, s12, v9
	s_delay_alu instid0(VALU_DEP_1) | instskip(NEXT) | instid1(VALU_DEP_1)
	v_mul_lo_u32 v21, v9, 7
	v_dual_mov_b32 v15, v17 :: v_dual_add_nc_u32 v16, 1, v21
	v_lshlrev_b64 v[31:32], 3, v[21:22]
	s_delay_alu instid0(VALU_DEP_2) | instskip(SKIP_1) | instid1(VALU_DEP_3)
	v_lshlrev_b64 v[33:34], 3, v[16:17]
	v_add_nc_u32_e32 v16, -16, v14
	v_add_co_u32 v31, vcc_lo, s10, v31
	s_delay_alu instid0(VALU_DEP_4)
	v_add_co_ci_u32_e32 v32, vcc_lo, s11, v32, vcc_lo
	s_clause 0x1
	global_load_b64 v[27:28], v[27:28], off
	global_load_b64 v[29:30], v[29:30], off
	;; [unrolled: 1-line block ×3, first 2 shown]
	v_lshlrev_b64 v[35:36], 3, v[16:17]
	v_add_nc_u32_e32 v16, -15, v14
	v_add_co_u32 v33, vcc_lo, s10, v33
	v_add_co_ci_u32_e32 v34, vcc_lo, s11, v34, vcc_lo
	s_delay_alu instid0(VALU_DEP_3)
	v_lshlrev_b64 v[37:38], 3, v[16:17]
	v_add_co_u32 v35, vcc_lo, s8, v35
	v_add_co_ci_u32_e32 v36, vcc_lo, s9, v36, vcc_lo
	global_load_b64 v[33:34], v[33:34], off
	v_add_co_u32 v37, vcc_lo, s8, v37
	v_add_co_ci_u32_e32 v38, vcc_lo, s9, v38, vcc_lo
	s_clause 0x1
	global_load_b64 v[35:36], v[35:36], off
	global_load_b64 v[37:38], v[37:38], off
	v_add_nc_u32_e32 v16, -14, v14
	s_delay_alu instid0(VALU_DEP_1) | instskip(SKIP_1) | instid1(VALU_DEP_1)
	v_lshlrev_b64 v[39:40], 3, v[16:17]
	v_add_nc_u32_e32 v16, 2, v21
	v_lshlrev_b64 v[41:42], 3, v[16:17]
	v_add_nc_u32_e32 v16, -13, v14
	s_delay_alu instid0(VALU_DEP_4) | instskip(SKIP_1) | instid1(VALU_DEP_3)
	v_add_co_u32 v39, vcc_lo, s8, v39
	v_add_co_ci_u32_e32 v40, vcc_lo, s9, v40, vcc_lo
	v_lshlrev_b64 v[43:44], 3, v[16:17]
	v_add_nc_u32_e32 v16, -12, v14
	v_add_co_u32 v41, vcc_lo, s10, v41
	v_add_co_ci_u32_e32 v42, vcc_lo, s11, v42, vcc_lo
	s_delay_alu instid0(VALU_DEP_3)
	v_lshlrev_b64 v[45:46], 3, v[16:17]
	v_add_co_u32 v43, vcc_lo, s8, v43
	v_add_co_ci_u32_e32 v44, vcc_lo, s9, v44, vcc_lo
	global_load_b64 v[39:40], v[39:40], off
	v_add_co_u32 v45, vcc_lo, s8, v45
	v_add_co_ci_u32_e32 v46, vcc_lo, s9, v46, vcc_lo
	global_load_b64 v[41:42], v[41:42], off
	s_clause 0x1
	global_load_b64 v[43:44], v[43:44], off
	global_load_b64 v[45:46], v[45:46], off
	v_add_nc_u32_e32 v16, -11, v14
	s_delay_alu instid0(VALU_DEP_1) | instskip(SKIP_1) | instid1(VALU_DEP_1)
	v_lshlrev_b64 v[47:48], 3, v[16:17]
	v_add_nc_u32_e32 v16, 3, v21
	v_lshlrev_b64 v[49:50], 3, v[16:17]
	v_add_nc_u32_e32 v16, -10, v14
	s_delay_alu instid0(VALU_DEP_4) | instskip(SKIP_1) | instid1(VALU_DEP_3)
	v_add_co_u32 v47, vcc_lo, s8, v47
	v_add_co_ci_u32_e32 v48, vcc_lo, s9, v48, vcc_lo
	v_lshlrev_b64 v[51:52], 3, v[16:17]
	v_add_nc_u32_e32 v16, -9, v14
	v_add_co_u32 v49, vcc_lo, s10, v49
	v_add_co_ci_u32_e32 v50, vcc_lo, s11, v50, vcc_lo
	s_delay_alu instid0(VALU_DEP_3)
	v_lshlrev_b64 v[53:54], 3, v[16:17]
	v_add_co_u32 v51, vcc_lo, s8, v51
	v_add_co_ci_u32_e32 v52, vcc_lo, s9, v52, vcc_lo
	global_load_b64 v[47:48], v[47:48], off
	v_add_co_u32 v53, vcc_lo, s8, v53
	v_add_co_ci_u32_e32 v54, vcc_lo, s9, v54, vcc_lo
	global_load_b64 v[49:50], v[49:50], off
	;; [unrolled: 24-line block ×4, first 2 shown]
	s_clause 0x1
	global_load_b64 v[67:68], v[67:68], off
	global_load_b64 v[69:70], v[69:70], off
	v_lshlrev_b64 v[15:16], 3, v[14:15]
	s_delay_alu instid0(VALU_DEP_1) | instskip(NEXT) | instid1(VALU_DEP_2)
	v_add_co_u32 v71, vcc_lo, s8, v15
	v_add_co_ci_u32_e32 v72, vcc_lo, s9, v16, vcc_lo
	v_add_nc_u32_e32 v16, -2, v14
	s_delay_alu instid0(VALU_DEP_1) | instskip(SKIP_1) | instid1(VALU_DEP_1)
	v_lshlrev_b64 v[73:74], 3, v[16:17]
	v_add_nc_u32_e32 v16, 6, v21
	v_lshlrev_b64 v[21:22], 3, v[16:17]
	v_add_nc_u32_e32 v16, -1, v14
	s_delay_alu instid0(VALU_DEP_4) | instskip(SKIP_1) | instid1(VALU_DEP_3)
	v_add_co_u32 v73, vcc_lo, s8, v73
	v_add_co_ci_u32_e32 v74, vcc_lo, s9, v74, vcc_lo
	v_lshlrev_b64 v[15:16], 3, v[16:17]
	v_add_co_u32 v21, vcc_lo, s10, v21
	v_add_co_ci_u32_e32 v22, vcc_lo, s11, v22, vcc_lo
	v_add_nc_u32_e32 v14, 0xa8, v14
	s_delay_alu instid0(VALU_DEP_4)
	v_add_co_u32 v15, vcc_lo, s8, v15
	v_add_co_ci_u32_e32 v16, vcc_lo, s9, v16, vcc_lo
	global_load_b64 v[73:74], v[73:74], off
	global_load_b64 v[21:22], v[21:22], off
	s_clause 0x1
	global_load_b64 v[15:16], v[15:16], off
	global_load_b64 v[71:72], v[71:72], off
	v_cmp_ge_i32_e32 vcc_lo, v18, v20
	s_or_b32 s4, vcc_lo, s4
	s_waitcnt vmcnt(23)
	v_fma_f64 v[6:7], v[23:24], v[31:32], v[6:7]
	v_fma_f64 v[12:13], v[25:26], v[31:32], v[12:13]
	v_fma_f64 v[9:10], v[27:28], v[31:32], v[10:11]
	s_waitcnt vmcnt(22)
	s_delay_alu instid0(VALU_DEP_3) | instskip(SKIP_1) | instid1(VALU_DEP_3)
	v_fma_f64 v[6:7], v[29:30], v[33:34], v[6:7]
	s_waitcnt vmcnt(21)
	v_fma_f64 v[11:12], v[35:36], v[33:34], v[12:13]
	s_waitcnt vmcnt(20)
	s_delay_alu instid0(VALU_DEP_3) | instskip(SKIP_1) | instid1(VALU_DEP_3)
	v_fma_f64 v[9:10], v[37:38], v[33:34], v[9:10]
	s_waitcnt vmcnt(18)
	v_fma_f64 v[6:7], v[39:40], v[41:42], v[6:7]
	;; [unrolled: 5-line block ×9, first 2 shown]
	s_and_not1_b32 exec_lo, exec_lo, s4
	s_cbranch_execnz .LBB63_9
; %bb.10:
	s_or_b32 exec_lo, exec_lo, s4
.LBB63_11:
	s_delay_alu instid0(SALU_CYCLE_1)
	s_or_b32 exec_lo, exec_lo, s3
	s_cbranch_execz .LBB63_13
	s_branch .LBB63_18
.LBB63_12:
                                        ; implicit-def: $vgpr6_vgpr7
                                        ; implicit-def: $vgpr10_vgpr11
                                        ; implicit-def: $vgpr12_vgpr13
.LBB63_13:
	v_mov_b32_e32 v6, 0
	v_mov_b32_e32 v7, 0
	s_delay_alu instid0(VALU_DEP_1)
	v_dual_mov_b32 v11, v7 :: v_dual_mov_b32 v10, v6
	v_dual_mov_b32 v13, v7 :: v_dual_mov_b32 v12, v6
	s_and_saveexec_b32 s3, s2
	s_cbranch_execz .LBB63_17
; %bb.14:
	v_dual_mov_b32 v6, 0 :: v_dual_mov_b32 v17, 0
	v_mov_b32_e32 v7, 0
	v_mad_u64_u32 v[14:15], null, v8, 21, 20
	s_mov_b32 s2, 0
	s_delay_alu instid0(VALU_DEP_2)
	v_dual_mov_b32 v11, v7 :: v_dual_mov_b32 v10, v6
	v_dual_mov_b32 v13, v7 :: v_dual_mov_b32 v12, v6
.LBB63_15:                              ; =>This Inner Loop Header: Depth=1
	v_ashrrev_i32_e32 v9, 31, v8
	s_delay_alu instid0(VALU_DEP_4) | instskip(SKIP_2) | instid1(VALU_DEP_4)
	v_dual_mov_b32 v23, v17 :: v_dual_add_nc_u32 v18, -13, v14
	v_mov_b32_e32 v19, v17
	v_dual_mov_b32 v22, v17 :: v_dual_add_nc_u32 v21, -6, v14
	v_lshlrev_b64 v[15:16], 2, v[8:9]
	v_add_nc_u32_e32 v8, 8, v8
	s_delay_alu instid0(VALU_DEP_4) | instskip(NEXT) | instid1(VALU_DEP_4)
	v_lshlrev_b64 v[18:19], 3, v[18:19]
	v_lshlrev_b64 v[21:22], 3, v[21:22]
	s_delay_alu instid0(VALU_DEP_4) | instskip(SKIP_4) | instid1(VALU_DEP_2)
	v_add_co_u32 v15, vcc_lo, s6, v15
	v_add_co_ci_u32_e32 v16, vcc_lo, s7, v16, vcc_lo
	global_load_b32 v9, v[15:16], off
	v_subrev_nc_u32_e32 v16, 20, v14
	v_mov_b32_e32 v15, v17
	v_lshlrev_b64 v[24:25], 3, v[16:17]
	v_subrev_nc_u32_e32 v16, 19, v14
	s_delay_alu instid0(VALU_DEP_1) | instskip(NEXT) | instid1(VALU_DEP_3)
	v_lshlrev_b64 v[26:27], 3, v[16:17]
	v_add_co_u32 v24, vcc_lo, s8, v24
	s_delay_alu instid0(VALU_DEP_4)
	v_add_co_ci_u32_e32 v25, vcc_lo, s9, v25, vcc_lo
	v_add_co_u32 v18, vcc_lo, s8, v18
	v_add_co_ci_u32_e32 v19, vcc_lo, s9, v19, vcc_lo
	v_add_co_u32 v28, vcc_lo, s8, v21
	;; [unrolled: 2-line block ×3, first 2 shown]
	v_add_co_ci_u32_e32 v27, vcc_lo, s9, v27, vcc_lo
	s_clause 0x1
	global_load_b64 v[24:25], v[24:25], off
	global_load_b64 v[18:19], v[18:19], off
	s_waitcnt vmcnt(2)
	v_subrev_nc_u32_e32 v9, s12, v9
	s_delay_alu instid0(VALU_DEP_1) | instskip(NEXT) | instid1(VALU_DEP_1)
	v_mul_lo_u32 v22, v9, 7
	v_lshlrev_b64 v[30:31], 3, v[22:23]
	v_add_nc_u32_e32 v16, 1, v22
	s_delay_alu instid0(VALU_DEP_1) | instskip(SKIP_1) | instid1(VALU_DEP_4)
	v_lshlrev_b64 v[32:33], 3, v[16:17]
	v_add_nc_u32_e32 v16, -12, v14
	v_add_co_u32 v30, vcc_lo, s10, v30
	v_add_co_ci_u32_e32 v31, vcc_lo, s11, v31, vcc_lo
	s_clause 0x1
	global_load_b64 v[28:29], v[28:29], off
	global_load_b64 v[26:27], v[26:27], off
	;; [unrolled: 1-line block ×3, first 2 shown]
	v_lshlrev_b64 v[34:35], 3, v[16:17]
	v_add_nc_u32_e32 v16, -5, v14
	v_add_co_u32 v32, vcc_lo, s10, v32
	v_add_co_ci_u32_e32 v33, vcc_lo, s11, v33, vcc_lo
	s_delay_alu instid0(VALU_DEP_3)
	v_lshlrev_b64 v[36:37], 3, v[16:17]
	v_add_co_u32 v34, vcc_lo, s8, v34
	v_add_co_ci_u32_e32 v35, vcc_lo, s9, v35, vcc_lo
	global_load_b64 v[32:33], v[32:33], off
	v_add_co_u32 v36, vcc_lo, s8, v36
	v_add_co_ci_u32_e32 v37, vcc_lo, s9, v37, vcc_lo
	s_clause 0x1
	global_load_b64 v[34:35], v[34:35], off
	global_load_b64 v[36:37], v[36:37], off
	v_subrev_nc_u32_e32 v16, 18, v14
	s_delay_alu instid0(VALU_DEP_1) | instskip(SKIP_1) | instid1(VALU_DEP_1)
	v_lshlrev_b64 v[38:39], 3, v[16:17]
	v_add_nc_u32_e32 v16, 2, v22
	v_lshlrev_b64 v[40:41], 3, v[16:17]
	v_add_nc_u32_e32 v16, -11, v14
	s_delay_alu instid0(VALU_DEP_4) | instskip(SKIP_1) | instid1(VALU_DEP_3)
	v_add_co_u32 v38, vcc_lo, s8, v38
	v_add_co_ci_u32_e32 v39, vcc_lo, s9, v39, vcc_lo
	v_lshlrev_b64 v[42:43], 3, v[16:17]
	v_add_nc_u32_e32 v16, -4, v14
	v_add_co_u32 v40, vcc_lo, s10, v40
	v_add_co_ci_u32_e32 v41, vcc_lo, s11, v41, vcc_lo
	s_delay_alu instid0(VALU_DEP_3)
	v_lshlrev_b64 v[44:45], 3, v[16:17]
	v_add_co_u32 v42, vcc_lo, s8, v42
	v_add_co_ci_u32_e32 v43, vcc_lo, s9, v43, vcc_lo
	global_load_b64 v[38:39], v[38:39], off
	v_add_co_u32 v44, vcc_lo, s8, v44
	v_add_co_ci_u32_e32 v45, vcc_lo, s9, v45, vcc_lo
	global_load_b64 v[40:41], v[40:41], off
	s_clause 0x1
	global_load_b64 v[42:43], v[42:43], off
	global_load_b64 v[44:45], v[44:45], off
	v_subrev_nc_u32_e32 v16, 17, v14
	s_delay_alu instid0(VALU_DEP_1) | instskip(SKIP_1) | instid1(VALU_DEP_1)
	v_lshlrev_b64 v[46:47], 3, v[16:17]
	v_add_nc_u32_e32 v16, 3, v22
	v_lshlrev_b64 v[48:49], 3, v[16:17]
	v_add_nc_u32_e32 v16, -10, v14
	s_delay_alu instid0(VALU_DEP_4) | instskip(SKIP_1) | instid1(VALU_DEP_3)
	v_add_co_u32 v46, vcc_lo, s8, v46
	v_add_co_ci_u32_e32 v47, vcc_lo, s9, v47, vcc_lo
	v_lshlrev_b64 v[50:51], 3, v[16:17]
	v_add_nc_u32_e32 v16, -3, v14
	v_add_co_u32 v48, vcc_lo, s10, v48
	v_add_co_ci_u32_e32 v49, vcc_lo, s11, v49, vcc_lo
	s_delay_alu instid0(VALU_DEP_3)
	v_lshlrev_b64 v[52:53], 3, v[16:17]
	v_add_co_u32 v50, vcc_lo, s8, v50
	v_add_co_ci_u32_e32 v51, vcc_lo, s9, v51, vcc_lo
	global_load_b64 v[46:47], v[46:47], off
	v_add_co_u32 v52, vcc_lo, s8, v52
	v_add_co_ci_u32_e32 v53, vcc_lo, s9, v53, vcc_lo
	global_load_b64 v[48:49], v[48:49], off
	s_clause 0x1
	global_load_b64 v[50:51], v[50:51], off
	global_load_b64 v[52:53], v[52:53], off
	v_add_nc_u32_e32 v16, -16, v14
	s_delay_alu instid0(VALU_DEP_1) | instskip(SKIP_1) | instid1(VALU_DEP_1)
	v_lshlrev_b64 v[54:55], 3, v[16:17]
	v_add_nc_u32_e32 v16, 4, v22
	v_lshlrev_b64 v[56:57], 3, v[16:17]
	v_add_nc_u32_e32 v16, -9, v14
	s_delay_alu instid0(VALU_DEP_4) | instskip(SKIP_1) | instid1(VALU_DEP_3)
	v_add_co_u32 v54, vcc_lo, s8, v54
	v_add_co_ci_u32_e32 v55, vcc_lo, s9, v55, vcc_lo
	v_lshlrev_b64 v[58:59], 3, v[16:17]
	v_add_nc_u32_e32 v16, -2, v14
	v_add_co_u32 v56, vcc_lo, s10, v56
	v_add_co_ci_u32_e32 v57, vcc_lo, s11, v57, vcc_lo
	s_delay_alu instid0(VALU_DEP_3)
	v_lshlrev_b64 v[60:61], 3, v[16:17]
	v_add_co_u32 v58, vcc_lo, s8, v58
	v_add_co_ci_u32_e32 v59, vcc_lo, s9, v59, vcc_lo
	global_load_b64 v[54:55], v[54:55], off
	v_add_co_u32 v60, vcc_lo, s8, v60
	v_add_co_ci_u32_e32 v61, vcc_lo, s9, v61, vcc_lo
	global_load_b64 v[56:57], v[56:57], off
	s_clause 0x1
	global_load_b64 v[58:59], v[58:59], off
	global_load_b64 v[60:61], v[60:61], off
	v_add_nc_u32_e32 v16, -15, v14
	s_delay_alu instid0(VALU_DEP_1) | instskip(SKIP_1) | instid1(VALU_DEP_1)
	v_lshlrev_b64 v[62:63], 3, v[16:17]
	v_add_nc_u32_e32 v16, 5, v22
	v_lshlrev_b64 v[64:65], 3, v[16:17]
	v_add_nc_u32_e32 v16, -8, v14
	s_delay_alu instid0(VALU_DEP_4) | instskip(SKIP_1) | instid1(VALU_DEP_3)
	v_add_co_u32 v62, vcc_lo, s8, v62
	v_add_co_ci_u32_e32 v63, vcc_lo, s9, v63, vcc_lo
	v_lshlrev_b64 v[66:67], 3, v[16:17]
	v_add_nc_u32_e32 v16, -1, v14
	v_add_co_u32 v64, vcc_lo, s10, v64
	v_add_co_ci_u32_e32 v65, vcc_lo, s11, v65, vcc_lo
	s_delay_alu instid0(VALU_DEP_3)
	v_lshlrev_b64 v[68:69], 3, v[16:17]
	v_add_co_u32 v66, vcc_lo, s8, v66
	v_add_co_ci_u32_e32 v67, vcc_lo, s9, v67, vcc_lo
	global_load_b64 v[62:63], v[62:63], off
	v_add_co_u32 v68, vcc_lo, s8, v68
	v_add_co_ci_u32_e32 v69, vcc_lo, s9, v69, vcc_lo
	global_load_b64 v[64:65], v[64:65], off
	s_clause 0x1
	global_load_b64 v[66:67], v[66:67], off
	global_load_b64 v[68:69], v[68:69], off
	v_lshlrev_b64 v[15:16], 3, v[14:15]
	s_delay_alu instid0(VALU_DEP_1) | instskip(NEXT) | instid1(VALU_DEP_2)
	v_add_co_u32 v70, vcc_lo, s8, v15
	v_add_co_ci_u32_e32 v71, vcc_lo, s9, v16, vcc_lo
	v_add_nc_u32_e32 v16, -14, v14
	s_delay_alu instid0(VALU_DEP_1) | instskip(SKIP_1) | instid1(VALU_DEP_1)
	v_lshlrev_b64 v[72:73], 3, v[16:17]
	v_add_nc_u32_e32 v16, 6, v22
	v_lshlrev_b64 v[21:22], 3, v[16:17]
	v_add_nc_u32_e32 v16, -7, v14
	s_delay_alu instid0(VALU_DEP_4) | instskip(SKIP_1) | instid1(VALU_DEP_3)
	v_add_co_u32 v72, vcc_lo, s8, v72
	v_add_co_ci_u32_e32 v73, vcc_lo, s9, v73, vcc_lo
	v_lshlrev_b64 v[15:16], 3, v[16:17]
	v_add_co_u32 v21, vcc_lo, s10, v21
	v_add_co_ci_u32_e32 v22, vcc_lo, s11, v22, vcc_lo
	v_add_nc_u32_e32 v14, 0xa8, v14
	s_delay_alu instid0(VALU_DEP_4)
	v_add_co_u32 v15, vcc_lo, s8, v15
	v_add_co_ci_u32_e32 v16, vcc_lo, s9, v16, vcc_lo
	global_load_b64 v[72:73], v[72:73], off
	global_load_b64 v[21:22], v[21:22], off
	s_clause 0x1
	global_load_b64 v[15:16], v[15:16], off
	global_load_b64 v[70:71], v[70:71], off
	v_cmp_ge_i32_e32 vcc_lo, v8, v20
	s_or_b32 s2, vcc_lo, s2
	s_waitcnt vmcnt(23)
	v_fma_f64 v[6:7], v[24:25], v[30:31], v[6:7]
	v_fma_f64 v[12:13], v[18:19], v[30:31], v[12:13]
	;; [unrolled: 1-line block ×3, first 2 shown]
	s_waitcnt vmcnt(22)
	s_delay_alu instid0(VALU_DEP_3) | instskip(SKIP_1) | instid1(VALU_DEP_3)
	v_fma_f64 v[6:7], v[26:27], v[32:33], v[6:7]
	s_waitcnt vmcnt(21)
	v_fma_f64 v[11:12], v[34:35], v[32:33], v[12:13]
	s_waitcnt vmcnt(20)
	s_delay_alu instid0(VALU_DEP_3) | instskip(SKIP_1) | instid1(VALU_DEP_3)
	v_fma_f64 v[9:10], v[36:37], v[32:33], v[9:10]
	s_waitcnt vmcnt(18)
	v_fma_f64 v[6:7], v[38:39], v[40:41], v[6:7]
	;; [unrolled: 5-line block ×9, first 2 shown]
	s_and_not1_b32 exec_lo, exec_lo, s2
	s_cbranch_execnz .LBB63_15
; %bb.16:
	s_or_b32 exec_lo, exec_lo, s2
.LBB63_17:
	s_delay_alu instid0(SALU_CYCLE_1)
	s_or_b32 exec_lo, exec_lo, s3
.LBB63_18:
	v_mbcnt_lo_u32_b32 v18, -1, 0
	s_delay_alu instid0(VALU_DEP_1) | instskip(NEXT) | instid1(VALU_DEP_1)
	v_xor_b32_e32 v8, 4, v18
	v_cmp_gt_i32_e32 vcc_lo, 32, v8
	v_cndmask_b32_e32 v8, v18, v8, vcc_lo
	s_delay_alu instid0(VALU_DEP_1)
	v_lshlrev_b32_e32 v17, 2, v8
	ds_bpermute_b32 v8, v17, v6
	ds_bpermute_b32 v9, v17, v7
	ds_bpermute_b32 v14, v17, v12
	ds_bpermute_b32 v15, v17, v13
	ds_bpermute_b32 v16, v17, v10
	ds_bpermute_b32 v17, v17, v11
	s_waitcnt lgkmcnt(4)
	v_add_f64 v[6:7], v[6:7], v[8:9]
	v_xor_b32_e32 v8, 2, v18
	s_waitcnt lgkmcnt(2)
	v_add_f64 v[12:13], v[12:13], v[14:15]
	s_waitcnt lgkmcnt(0)
	v_add_f64 v[10:11], v[10:11], v[16:17]
	v_cmp_gt_i32_e32 vcc_lo, 32, v8
	v_cndmask_b32_e32 v8, v18, v8, vcc_lo
	s_delay_alu instid0(VALU_DEP_1)
	v_lshlrev_b32_e32 v17, 2, v8
	ds_bpermute_b32 v8, v17, v6
	ds_bpermute_b32 v9, v17, v7
	;; [unrolled: 1-line block ×6, first 2 shown]
	s_waitcnt lgkmcnt(4)
	v_add_f64 v[8:9], v[6:7], v[8:9]
	s_waitcnt lgkmcnt(2)
	v_add_f64 v[6:7], v[12:13], v[14:15]
	;; [unrolled: 2-line block ×3, first 2 shown]
	v_xor_b32_e32 v10, 1, v18
	s_delay_alu instid0(VALU_DEP_1) | instskip(SKIP_2) | instid1(VALU_DEP_2)
	v_cmp_gt_i32_e32 vcc_lo, 32, v10
	v_cndmask_b32_e32 v10, v18, v10, vcc_lo
	v_cmp_eq_u32_e32 vcc_lo, 7, v0
	v_lshlrev_b32_e32 v15, 2, v10
	ds_bpermute_b32 v10, v15, v8
	ds_bpermute_b32 v11, v15, v9
	;; [unrolled: 1-line block ×6, first 2 shown]
	s_and_b32 exec_lo, exec_lo, vcc_lo
	s_cbranch_execz .LBB63_23
; %bb.19:
	s_waitcnt lgkmcnt(4)
	v_add_f64 v[10:11], v[8:9], v[10:11]
	s_waitcnt lgkmcnt(2)
	v_add_f64 v[8:9], v[6:7], v[16:17]
	;; [unrolled: 2-line block ×3, first 2 shown]
	s_load_b64 s[0:1], s[0:1], 0x38
	s_mov_b32 s2, exec_lo
	v_cmpx_eq_f64_e32 0, v[3:4]
	s_xor_b32 s2, exec_lo, s2
	s_cbranch_execz .LBB63_21
; %bb.20:
	s_delay_alu instid0(VALU_DEP_4) | instskip(NEXT) | instid1(VALU_DEP_4)
	v_mul_f64 v[10:11], v[1:2], v[10:11]
	v_mul_f64 v[12:13], v[1:2], v[8:9]
	s_delay_alu instid0(VALU_DEP_4) | instskip(SKIP_1) | instid1(VALU_DEP_1)
	v_mul_f64 v[0:1], v[1:2], v[6:7]
	v_lshl_add_u32 v2, v5, 1, v5
                                        ; implicit-def: $vgpr5
                                        ; implicit-def: $vgpr8_vgpr9
                                        ; implicit-def: $vgpr6_vgpr7
	v_ashrrev_i32_e32 v3, 31, v2
	s_delay_alu instid0(VALU_DEP_1) | instskip(SKIP_1) | instid1(VALU_DEP_1)
	v_lshlrev_b64 v[2:3], 3, v[2:3]
	s_waitcnt lgkmcnt(0)
	v_add_co_u32 v2, vcc_lo, s0, v2
	s_delay_alu instid0(VALU_DEP_2)
	v_add_co_ci_u32_e32 v3, vcc_lo, s1, v3, vcc_lo
	s_clause 0x1
	global_store_b128 v[2:3], v[10:13], off
	global_store_b64 v[2:3], v[0:1], off offset:16
                                        ; implicit-def: $vgpr1_vgpr2
                                        ; implicit-def: $vgpr10_vgpr11
                                        ; implicit-def: $vgpr3_vgpr4
.LBB63_21:
	s_and_not1_saveexec_b32 s2, s2
	s_cbranch_execz .LBB63_23
; %bb.22:
	v_lshl_add_u32 v12, v5, 1, v5
	v_mul_f64 v[10:11], v[1:2], v[10:11]
	v_mul_f64 v[8:9], v[1:2], v[8:9]
	;; [unrolled: 1-line block ×3, first 2 shown]
	s_delay_alu instid0(VALU_DEP_4) | instskip(NEXT) | instid1(VALU_DEP_1)
	v_ashrrev_i32_e32 v13, 31, v12
	v_lshlrev_b64 v[12:13], 3, v[12:13]
	s_waitcnt lgkmcnt(0)
	s_delay_alu instid0(VALU_DEP_1) | instskip(NEXT) | instid1(VALU_DEP_2)
	v_add_co_u32 v16, vcc_lo, s0, v12
	v_add_co_ci_u32_e32 v17, vcc_lo, s1, v13, vcc_lo
	s_clause 0x1
	global_load_b128 v[12:15], v[16:17], off
	global_load_b64 v[18:19], v[16:17], off offset:16
	s_waitcnt vmcnt(1)
	v_fma_f64 v[5:6], v[3:4], v[12:13], v[10:11]
	v_fma_f64 v[7:8], v[3:4], v[14:15], v[8:9]
	s_waitcnt vmcnt(0)
	v_fma_f64 v[0:1], v[3:4], v[18:19], v[0:1]
	s_clause 0x1
	global_store_b128 v[16:17], v[5:8], off
	global_store_b64 v[16:17], v[0:1], off offset:16
.LBB63_23:
	s_nop 0
	s_sendmsg sendmsg(MSG_DEALLOC_VGPRS)
	s_endpgm
	.section	.rodata,"a",@progbits
	.p2align	6, 0x0
	.amdhsa_kernel _ZN9rocsparseL19gebsrmvn_3xn_kernelILj128ELj7ELj8EdEEvi20rocsparse_direction_NS_24const_host_device_scalarIT2_EEPKiS6_PKS3_S8_S4_PS3_21rocsparse_index_base_b
		.amdhsa_group_segment_fixed_size 0
		.amdhsa_private_segment_fixed_size 0
		.amdhsa_kernarg_size 72
		.amdhsa_user_sgpr_count 15
		.amdhsa_user_sgpr_dispatch_ptr 0
		.amdhsa_user_sgpr_queue_ptr 0
		.amdhsa_user_sgpr_kernarg_segment_ptr 1
		.amdhsa_user_sgpr_dispatch_id 0
		.amdhsa_user_sgpr_private_segment_size 0
		.amdhsa_wavefront_size32 1
		.amdhsa_uses_dynamic_stack 0
		.amdhsa_enable_private_segment 0
		.amdhsa_system_sgpr_workgroup_id_x 1
		.amdhsa_system_sgpr_workgroup_id_y 0
		.amdhsa_system_sgpr_workgroup_id_z 0
		.amdhsa_system_sgpr_workgroup_info 0
		.amdhsa_system_vgpr_workitem_id 0
		.amdhsa_next_free_vgpr 75
		.amdhsa_next_free_sgpr 16
		.amdhsa_reserve_vcc 1
		.amdhsa_float_round_mode_32 0
		.amdhsa_float_round_mode_16_64 0
		.amdhsa_float_denorm_mode_32 3
		.amdhsa_float_denorm_mode_16_64 3
		.amdhsa_dx10_clamp 1
		.amdhsa_ieee_mode 1
		.amdhsa_fp16_overflow 0
		.amdhsa_workgroup_processor_mode 1
		.amdhsa_memory_ordered 1
		.amdhsa_forward_progress 0
		.amdhsa_shared_vgpr_count 0
		.amdhsa_exception_fp_ieee_invalid_op 0
		.amdhsa_exception_fp_denorm_src 0
		.amdhsa_exception_fp_ieee_div_zero 0
		.amdhsa_exception_fp_ieee_overflow 0
		.amdhsa_exception_fp_ieee_underflow 0
		.amdhsa_exception_fp_ieee_inexact 0
		.amdhsa_exception_int_div_zero 0
	.end_amdhsa_kernel
	.section	.text._ZN9rocsparseL19gebsrmvn_3xn_kernelILj128ELj7ELj8EdEEvi20rocsparse_direction_NS_24const_host_device_scalarIT2_EEPKiS6_PKS3_S8_S4_PS3_21rocsparse_index_base_b,"axG",@progbits,_ZN9rocsparseL19gebsrmvn_3xn_kernelILj128ELj7ELj8EdEEvi20rocsparse_direction_NS_24const_host_device_scalarIT2_EEPKiS6_PKS3_S8_S4_PS3_21rocsparse_index_base_b,comdat
.Lfunc_end63:
	.size	_ZN9rocsparseL19gebsrmvn_3xn_kernelILj128ELj7ELj8EdEEvi20rocsparse_direction_NS_24const_host_device_scalarIT2_EEPKiS6_PKS3_S8_S4_PS3_21rocsparse_index_base_b, .Lfunc_end63-_ZN9rocsparseL19gebsrmvn_3xn_kernelILj128ELj7ELj8EdEEvi20rocsparse_direction_NS_24const_host_device_scalarIT2_EEPKiS6_PKS3_S8_S4_PS3_21rocsparse_index_base_b
                                        ; -- End function
	.section	.AMDGPU.csdata,"",@progbits
; Kernel info:
; codeLenInByte = 3856
; NumSgprs: 18
; NumVgprs: 75
; ScratchSize: 0
; MemoryBound: 0
; FloatMode: 240
; IeeeMode: 1
; LDSByteSize: 0 bytes/workgroup (compile time only)
; SGPRBlocks: 2
; VGPRBlocks: 9
; NumSGPRsForWavesPerEU: 18
; NumVGPRsForWavesPerEU: 75
; Occupancy: 16
; WaveLimiterHint : 1
; COMPUTE_PGM_RSRC2:SCRATCH_EN: 0
; COMPUTE_PGM_RSRC2:USER_SGPR: 15
; COMPUTE_PGM_RSRC2:TRAP_HANDLER: 0
; COMPUTE_PGM_RSRC2:TGID_X_EN: 1
; COMPUTE_PGM_RSRC2:TGID_Y_EN: 0
; COMPUTE_PGM_RSRC2:TGID_Z_EN: 0
; COMPUTE_PGM_RSRC2:TIDIG_COMP_CNT: 0
	.section	.text._ZN9rocsparseL19gebsrmvn_3xn_kernelILj128ELj7ELj16EdEEvi20rocsparse_direction_NS_24const_host_device_scalarIT2_EEPKiS6_PKS3_S8_S4_PS3_21rocsparse_index_base_b,"axG",@progbits,_ZN9rocsparseL19gebsrmvn_3xn_kernelILj128ELj7ELj16EdEEvi20rocsparse_direction_NS_24const_host_device_scalarIT2_EEPKiS6_PKS3_S8_S4_PS3_21rocsparse_index_base_b,comdat
	.globl	_ZN9rocsparseL19gebsrmvn_3xn_kernelILj128ELj7ELj16EdEEvi20rocsparse_direction_NS_24const_host_device_scalarIT2_EEPKiS6_PKS3_S8_S4_PS3_21rocsparse_index_base_b ; -- Begin function _ZN9rocsparseL19gebsrmvn_3xn_kernelILj128ELj7ELj16EdEEvi20rocsparse_direction_NS_24const_host_device_scalarIT2_EEPKiS6_PKS3_S8_S4_PS3_21rocsparse_index_base_b
	.p2align	8
	.type	_ZN9rocsparseL19gebsrmvn_3xn_kernelILj128ELj7ELj16EdEEvi20rocsparse_direction_NS_24const_host_device_scalarIT2_EEPKiS6_PKS3_S8_S4_PS3_21rocsparse_index_base_b,@function
_ZN9rocsparseL19gebsrmvn_3xn_kernelILj128ELj7ELj16EdEEvi20rocsparse_direction_NS_24const_host_device_scalarIT2_EEPKiS6_PKS3_S8_S4_PS3_21rocsparse_index_base_b: ; @_ZN9rocsparseL19gebsrmvn_3xn_kernelILj128ELj7ELj16EdEEvi20rocsparse_direction_NS_24const_host_device_scalarIT2_EEPKiS6_PKS3_S8_S4_PS3_21rocsparse_index_base_b
; %bb.0:
	s_clause 0x2
	s_load_b64 s[12:13], s[0:1], 0x40
	s_load_b64 s[4:5], s[0:1], 0x8
	;; [unrolled: 1-line block ×3, first 2 shown]
	s_waitcnt lgkmcnt(0)
	s_bitcmp1_b32 s13, 0
	v_dual_mov_b32 v1, s4 :: v_dual_mov_b32 v2, s5
	s_cselect_b32 s6, -1, 0
	s_delay_alu instid0(SALU_CYCLE_1)
	s_and_b32 vcc_lo, exec_lo, s6
	s_xor_b32 s6, s6, -1
	s_cbranch_vccnz .LBB64_2
; %bb.1:
	v_dual_mov_b32 v1, s4 :: v_dual_mov_b32 v2, s5
	flat_load_b64 v[1:2], v[1:2]
.LBB64_2:
	v_dual_mov_b32 v4, s3 :: v_dual_mov_b32 v3, s2
	s_and_not1_b32 vcc_lo, exec_lo, s6
	s_cbranch_vccnz .LBB64_4
; %bb.3:
	v_dual_mov_b32 v4, s3 :: v_dual_mov_b32 v3, s2
	flat_load_b64 v[3:4], v[3:4]
.LBB64_4:
	s_waitcnt vmcnt(0) lgkmcnt(0)
	v_cmp_neq_f64_e32 vcc_lo, 0, v[1:2]
	v_cmp_neq_f64_e64 s2, 1.0, v[3:4]
	s_delay_alu instid0(VALU_DEP_1) | instskip(NEXT) | instid1(SALU_CYCLE_1)
	s_or_b32 s2, vcc_lo, s2
	s_and_saveexec_b32 s3, s2
	s_cbranch_execz .LBB64_23
; %bb.5:
	s_load_b64 s[2:3], s[0:1], 0x0
	v_lshrrev_b32_e32 v5, 4, v0
	s_delay_alu instid0(VALU_DEP_1) | instskip(SKIP_1) | instid1(VALU_DEP_1)
	v_lshl_or_b32 v5, s15, 3, v5
	s_waitcnt lgkmcnt(0)
	v_cmp_gt_i32_e32 vcc_lo, s2, v5
	s_and_b32 exec_lo, exec_lo, vcc_lo
	s_cbranch_execz .LBB64_23
; %bb.6:
	s_load_b256 s[4:11], s[0:1], 0x10
	v_ashrrev_i32_e32 v6, 31, v5
	v_and_b32_e32 v0, 15, v0
	s_cmp_lg_u32 s3, 0
	s_delay_alu instid0(VALU_DEP_2) | instskip(SKIP_1) | instid1(VALU_DEP_1)
	v_lshlrev_b64 v[6:7], 2, v[5:6]
	s_waitcnt lgkmcnt(0)
	v_add_co_u32 v6, vcc_lo, s4, v6
	s_delay_alu instid0(VALU_DEP_2) | instskip(SKIP_4) | instid1(VALU_DEP_2)
	v_add_co_ci_u32_e32 v7, vcc_lo, s5, v7, vcc_lo
	global_load_b64 v[6:7], v[6:7], off
	s_waitcnt vmcnt(0)
	v_subrev_nc_u32_e32 v6, s12, v6
	v_subrev_nc_u32_e32 v20, s12, v7
	v_add_nc_u32_e32 v10, v6, v0
	s_delay_alu instid0(VALU_DEP_1)
	v_cmp_lt_i32_e64 s2, v10, v20
	s_cbranch_scc0 .LBB64_12
; %bb.7:
	v_mov_b32_e32 v6, 0
	v_mov_b32_e32 v7, 0
	s_delay_alu instid0(VALU_DEP_1)
	v_dual_mov_b32 v9, v7 :: v_dual_mov_b32 v8, v6
	v_dual_mov_b32 v13, v7 :: v_dual_mov_b32 v12, v6
	s_and_saveexec_b32 s3, s2
	s_cbranch_execz .LBB64_11
; %bb.8:
	v_dual_mov_b32 v6, 0 :: v_dual_mov_b32 v17, 0
	v_dual_mov_b32 v7, 0 :: v_dual_mov_b32 v18, v10
	v_mad_u64_u32 v[14:15], null, v10, 21, 20
	s_mov_b32 s4, 0
	s_delay_alu instid0(VALU_DEP_2)
	v_dual_mov_b32 v9, v7 :: v_dual_mov_b32 v8, v6
	v_dual_mov_b32 v13, v7 :: v_dual_mov_b32 v12, v6
.LBB64_9:                               ; =>This Inner Loop Header: Depth=1
	v_ashrrev_i32_e32 v19, 31, v18
	v_mov_b32_e32 v22, v17
	s_delay_alu instid0(VALU_DEP_2) | instskip(SKIP_1) | instid1(VALU_DEP_2)
	v_lshlrev_b64 v[15:16], 2, v[18:19]
	v_add_nc_u32_e32 v18, 16, v18
	v_add_co_u32 v15, vcc_lo, s6, v15
	s_delay_alu instid0(VALU_DEP_3) | instskip(SKIP_2) | instid1(VALU_DEP_1)
	v_add_co_ci_u32_e32 v16, vcc_lo, s7, v16, vcc_lo
	global_load_b32 v11, v[15:16], off
	v_subrev_nc_u32_e32 v16, 20, v14
	v_lshlrev_b64 v[23:24], 3, v[16:17]
	v_subrev_nc_u32_e32 v16, 19, v14
	s_delay_alu instid0(VALU_DEP_1) | instskip(SKIP_1) | instid1(VALU_DEP_4)
	v_lshlrev_b64 v[25:26], 3, v[16:17]
	v_subrev_nc_u32_e32 v16, 18, v14
	v_add_co_u32 v23, vcc_lo, s8, v23
	v_add_co_ci_u32_e32 v24, vcc_lo, s9, v24, vcc_lo
	s_delay_alu instid0(VALU_DEP_3) | instskip(SKIP_3) | instid1(VALU_DEP_3)
	v_lshlrev_b64 v[27:28], 3, v[16:17]
	v_subrev_nc_u32_e32 v16, 17, v14
	v_add_co_u32 v25, vcc_lo, s8, v25
	v_add_co_ci_u32_e32 v26, vcc_lo, s9, v26, vcc_lo
	v_lshlrev_b64 v[29:30], 3, v[16:17]
	v_add_co_u32 v27, vcc_lo, s8, v27
	v_add_co_ci_u32_e32 v28, vcc_lo, s9, v28, vcc_lo
	s_clause 0x1
	global_load_b64 v[23:24], v[23:24], off
	global_load_b64 v[25:26], v[25:26], off
	v_add_co_u32 v29, vcc_lo, s8, v29
	v_add_co_ci_u32_e32 v30, vcc_lo, s9, v30, vcc_lo
	s_waitcnt vmcnt(2)
	v_subrev_nc_u32_e32 v11, s12, v11
	s_delay_alu instid0(VALU_DEP_1) | instskip(NEXT) | instid1(VALU_DEP_1)
	v_mul_lo_u32 v21, v11, 7
	v_dual_mov_b32 v15, v17 :: v_dual_add_nc_u32 v16, 1, v21
	v_lshlrev_b64 v[31:32], 3, v[21:22]
	s_delay_alu instid0(VALU_DEP_2) | instskip(SKIP_1) | instid1(VALU_DEP_3)
	v_lshlrev_b64 v[33:34], 3, v[16:17]
	v_add_nc_u32_e32 v16, -16, v14
	v_add_co_u32 v31, vcc_lo, s10, v31
	s_delay_alu instid0(VALU_DEP_4)
	v_add_co_ci_u32_e32 v32, vcc_lo, s11, v32, vcc_lo
	s_clause 0x1
	global_load_b64 v[27:28], v[27:28], off
	global_load_b64 v[29:30], v[29:30], off
	;; [unrolled: 1-line block ×3, first 2 shown]
	v_lshlrev_b64 v[35:36], 3, v[16:17]
	v_add_nc_u32_e32 v16, -15, v14
	v_add_co_u32 v33, vcc_lo, s10, v33
	v_add_co_ci_u32_e32 v34, vcc_lo, s11, v34, vcc_lo
	s_delay_alu instid0(VALU_DEP_3)
	v_lshlrev_b64 v[37:38], 3, v[16:17]
	v_add_co_u32 v35, vcc_lo, s8, v35
	v_add_co_ci_u32_e32 v36, vcc_lo, s9, v36, vcc_lo
	global_load_b64 v[33:34], v[33:34], off
	v_add_co_u32 v37, vcc_lo, s8, v37
	v_add_co_ci_u32_e32 v38, vcc_lo, s9, v38, vcc_lo
	s_clause 0x1
	global_load_b64 v[35:36], v[35:36], off
	global_load_b64 v[37:38], v[37:38], off
	v_add_nc_u32_e32 v16, -14, v14
	s_delay_alu instid0(VALU_DEP_1) | instskip(SKIP_1) | instid1(VALU_DEP_1)
	v_lshlrev_b64 v[39:40], 3, v[16:17]
	v_add_nc_u32_e32 v16, 2, v21
	v_lshlrev_b64 v[41:42], 3, v[16:17]
	v_add_nc_u32_e32 v16, -13, v14
	s_delay_alu instid0(VALU_DEP_4) | instskip(SKIP_1) | instid1(VALU_DEP_3)
	v_add_co_u32 v39, vcc_lo, s8, v39
	v_add_co_ci_u32_e32 v40, vcc_lo, s9, v40, vcc_lo
	v_lshlrev_b64 v[43:44], 3, v[16:17]
	v_add_nc_u32_e32 v16, -12, v14
	v_add_co_u32 v41, vcc_lo, s10, v41
	v_add_co_ci_u32_e32 v42, vcc_lo, s11, v42, vcc_lo
	s_delay_alu instid0(VALU_DEP_3)
	v_lshlrev_b64 v[45:46], 3, v[16:17]
	v_add_co_u32 v43, vcc_lo, s8, v43
	v_add_co_ci_u32_e32 v44, vcc_lo, s9, v44, vcc_lo
	global_load_b64 v[39:40], v[39:40], off
	v_add_co_u32 v45, vcc_lo, s8, v45
	v_add_co_ci_u32_e32 v46, vcc_lo, s9, v46, vcc_lo
	global_load_b64 v[41:42], v[41:42], off
	s_clause 0x1
	global_load_b64 v[43:44], v[43:44], off
	global_load_b64 v[45:46], v[45:46], off
	v_add_nc_u32_e32 v16, -11, v14
	s_delay_alu instid0(VALU_DEP_1) | instskip(SKIP_1) | instid1(VALU_DEP_1)
	v_lshlrev_b64 v[47:48], 3, v[16:17]
	v_add_nc_u32_e32 v16, 3, v21
	v_lshlrev_b64 v[49:50], 3, v[16:17]
	v_add_nc_u32_e32 v16, -10, v14
	s_delay_alu instid0(VALU_DEP_4) | instskip(SKIP_1) | instid1(VALU_DEP_3)
	v_add_co_u32 v47, vcc_lo, s8, v47
	v_add_co_ci_u32_e32 v48, vcc_lo, s9, v48, vcc_lo
	v_lshlrev_b64 v[51:52], 3, v[16:17]
	v_add_nc_u32_e32 v16, -9, v14
	v_add_co_u32 v49, vcc_lo, s10, v49
	v_add_co_ci_u32_e32 v50, vcc_lo, s11, v50, vcc_lo
	s_delay_alu instid0(VALU_DEP_3)
	v_lshlrev_b64 v[53:54], 3, v[16:17]
	v_add_co_u32 v51, vcc_lo, s8, v51
	v_add_co_ci_u32_e32 v52, vcc_lo, s9, v52, vcc_lo
	global_load_b64 v[47:48], v[47:48], off
	v_add_co_u32 v53, vcc_lo, s8, v53
	v_add_co_ci_u32_e32 v54, vcc_lo, s9, v54, vcc_lo
	global_load_b64 v[49:50], v[49:50], off
	;; [unrolled: 24-line block ×4, first 2 shown]
	s_clause 0x1
	global_load_b64 v[67:68], v[67:68], off
	global_load_b64 v[69:70], v[69:70], off
	v_lshlrev_b64 v[15:16], 3, v[14:15]
	s_delay_alu instid0(VALU_DEP_1) | instskip(NEXT) | instid1(VALU_DEP_2)
	v_add_co_u32 v71, vcc_lo, s8, v15
	v_add_co_ci_u32_e32 v72, vcc_lo, s9, v16, vcc_lo
	v_add_nc_u32_e32 v16, -2, v14
	s_delay_alu instid0(VALU_DEP_1) | instskip(SKIP_1) | instid1(VALU_DEP_1)
	v_lshlrev_b64 v[73:74], 3, v[16:17]
	v_add_nc_u32_e32 v16, 6, v21
	v_lshlrev_b64 v[21:22], 3, v[16:17]
	v_add_nc_u32_e32 v16, -1, v14
	s_delay_alu instid0(VALU_DEP_4) | instskip(SKIP_1) | instid1(VALU_DEP_3)
	v_add_co_u32 v73, vcc_lo, s8, v73
	v_add_co_ci_u32_e32 v74, vcc_lo, s9, v74, vcc_lo
	v_lshlrev_b64 v[15:16], 3, v[16:17]
	v_add_co_u32 v21, vcc_lo, s10, v21
	v_add_co_ci_u32_e32 v22, vcc_lo, s11, v22, vcc_lo
	v_add_nc_u32_e32 v14, 0x150, v14
	s_delay_alu instid0(VALU_DEP_4)
	v_add_co_u32 v15, vcc_lo, s8, v15
	v_add_co_ci_u32_e32 v16, vcc_lo, s9, v16, vcc_lo
	global_load_b64 v[73:74], v[73:74], off
	global_load_b64 v[21:22], v[21:22], off
	s_clause 0x1
	global_load_b64 v[15:16], v[15:16], off
	global_load_b64 v[71:72], v[71:72], off
	v_cmp_ge_i32_e32 vcc_lo, v18, v20
	s_or_b32 s4, vcc_lo, s4
	s_waitcnt vmcnt(23)
	v_fma_f64 v[6:7], v[23:24], v[31:32], v[6:7]
	v_fma_f64 v[11:12], v[25:26], v[31:32], v[12:13]
	v_fma_f64 v[8:9], v[27:28], v[31:32], v[8:9]
	s_waitcnt vmcnt(22)
	s_delay_alu instid0(VALU_DEP_3) | instskip(SKIP_1) | instid1(VALU_DEP_3)
	v_fma_f64 v[6:7], v[29:30], v[33:34], v[6:7]
	s_waitcnt vmcnt(21)
	v_fma_f64 v[11:12], v[35:36], v[33:34], v[11:12]
	s_waitcnt vmcnt(20)
	s_delay_alu instid0(VALU_DEP_3) | instskip(SKIP_1) | instid1(VALU_DEP_3)
	v_fma_f64 v[8:9], v[37:38], v[33:34], v[8:9]
	s_waitcnt vmcnt(18)
	v_fma_f64 v[6:7], v[39:40], v[41:42], v[6:7]
	;; [unrolled: 5-line block ×9, first 2 shown]
	s_and_not1_b32 exec_lo, exec_lo, s4
	s_cbranch_execnz .LBB64_9
; %bb.10:
	s_or_b32 exec_lo, exec_lo, s4
.LBB64_11:
	s_delay_alu instid0(SALU_CYCLE_1)
	s_or_b32 exec_lo, exec_lo, s3
	s_cbranch_execz .LBB64_13
	s_branch .LBB64_18
.LBB64_12:
                                        ; implicit-def: $vgpr6_vgpr7
                                        ; implicit-def: $vgpr8_vgpr9
                                        ; implicit-def: $vgpr12_vgpr13
.LBB64_13:
	v_mov_b32_e32 v6, 0
	v_mov_b32_e32 v7, 0
	s_delay_alu instid0(VALU_DEP_1)
	v_dual_mov_b32 v9, v7 :: v_dual_mov_b32 v8, v6
	v_dual_mov_b32 v13, v7 :: v_dual_mov_b32 v12, v6
	s_and_saveexec_b32 s3, s2
	s_cbranch_execz .LBB64_17
; %bb.14:
	v_dual_mov_b32 v6, 0 :: v_dual_mov_b32 v17, 0
	v_mov_b32_e32 v7, 0
	v_mad_u64_u32 v[14:15], null, v10, 21, 20
	s_mov_b32 s2, 0
	s_delay_alu instid0(VALU_DEP_2)
	v_dual_mov_b32 v9, v7 :: v_dual_mov_b32 v8, v6
	v_dual_mov_b32 v13, v7 :: v_dual_mov_b32 v12, v6
.LBB64_15:                              ; =>This Inner Loop Header: Depth=1
	v_ashrrev_i32_e32 v11, 31, v10
	s_delay_alu instid0(VALU_DEP_4) | instskip(SKIP_2) | instid1(VALU_DEP_4)
	v_dual_mov_b32 v23, v17 :: v_dual_add_nc_u32 v18, -13, v14
	v_mov_b32_e32 v19, v17
	v_dual_mov_b32 v22, v17 :: v_dual_add_nc_u32 v21, -6, v14
	v_lshlrev_b64 v[15:16], 2, v[10:11]
	v_add_nc_u32_e32 v10, 16, v10
	s_delay_alu instid0(VALU_DEP_4) | instskip(NEXT) | instid1(VALU_DEP_4)
	v_lshlrev_b64 v[18:19], 3, v[18:19]
	v_lshlrev_b64 v[21:22], 3, v[21:22]
	s_delay_alu instid0(VALU_DEP_4) | instskip(SKIP_4) | instid1(VALU_DEP_2)
	v_add_co_u32 v15, vcc_lo, s6, v15
	v_add_co_ci_u32_e32 v16, vcc_lo, s7, v16, vcc_lo
	global_load_b32 v11, v[15:16], off
	v_subrev_nc_u32_e32 v16, 20, v14
	v_mov_b32_e32 v15, v17
	v_lshlrev_b64 v[24:25], 3, v[16:17]
	v_subrev_nc_u32_e32 v16, 19, v14
	s_delay_alu instid0(VALU_DEP_1) | instskip(NEXT) | instid1(VALU_DEP_3)
	v_lshlrev_b64 v[26:27], 3, v[16:17]
	v_add_co_u32 v24, vcc_lo, s8, v24
	s_delay_alu instid0(VALU_DEP_4)
	v_add_co_ci_u32_e32 v25, vcc_lo, s9, v25, vcc_lo
	v_add_co_u32 v18, vcc_lo, s8, v18
	v_add_co_ci_u32_e32 v19, vcc_lo, s9, v19, vcc_lo
	v_add_co_u32 v28, vcc_lo, s8, v21
	;; [unrolled: 2-line block ×3, first 2 shown]
	v_add_co_ci_u32_e32 v27, vcc_lo, s9, v27, vcc_lo
	s_clause 0x1
	global_load_b64 v[24:25], v[24:25], off
	global_load_b64 v[18:19], v[18:19], off
	s_waitcnt vmcnt(2)
	v_subrev_nc_u32_e32 v11, s12, v11
	s_delay_alu instid0(VALU_DEP_1) | instskip(NEXT) | instid1(VALU_DEP_1)
	v_mul_lo_u32 v22, v11, 7
	v_lshlrev_b64 v[30:31], 3, v[22:23]
	v_add_nc_u32_e32 v16, 1, v22
	s_delay_alu instid0(VALU_DEP_1) | instskip(SKIP_1) | instid1(VALU_DEP_4)
	v_lshlrev_b64 v[32:33], 3, v[16:17]
	v_add_nc_u32_e32 v16, -12, v14
	v_add_co_u32 v30, vcc_lo, s10, v30
	v_add_co_ci_u32_e32 v31, vcc_lo, s11, v31, vcc_lo
	s_clause 0x1
	global_load_b64 v[28:29], v[28:29], off
	global_load_b64 v[26:27], v[26:27], off
	;; [unrolled: 1-line block ×3, first 2 shown]
	v_lshlrev_b64 v[34:35], 3, v[16:17]
	v_add_nc_u32_e32 v16, -5, v14
	v_add_co_u32 v32, vcc_lo, s10, v32
	v_add_co_ci_u32_e32 v33, vcc_lo, s11, v33, vcc_lo
	s_delay_alu instid0(VALU_DEP_3)
	v_lshlrev_b64 v[36:37], 3, v[16:17]
	v_add_co_u32 v34, vcc_lo, s8, v34
	v_add_co_ci_u32_e32 v35, vcc_lo, s9, v35, vcc_lo
	global_load_b64 v[32:33], v[32:33], off
	v_add_co_u32 v36, vcc_lo, s8, v36
	v_add_co_ci_u32_e32 v37, vcc_lo, s9, v37, vcc_lo
	s_clause 0x1
	global_load_b64 v[34:35], v[34:35], off
	global_load_b64 v[36:37], v[36:37], off
	v_subrev_nc_u32_e32 v16, 18, v14
	s_delay_alu instid0(VALU_DEP_1) | instskip(SKIP_1) | instid1(VALU_DEP_1)
	v_lshlrev_b64 v[38:39], 3, v[16:17]
	v_add_nc_u32_e32 v16, 2, v22
	v_lshlrev_b64 v[40:41], 3, v[16:17]
	v_add_nc_u32_e32 v16, -11, v14
	s_delay_alu instid0(VALU_DEP_4) | instskip(SKIP_1) | instid1(VALU_DEP_3)
	v_add_co_u32 v38, vcc_lo, s8, v38
	v_add_co_ci_u32_e32 v39, vcc_lo, s9, v39, vcc_lo
	v_lshlrev_b64 v[42:43], 3, v[16:17]
	v_add_nc_u32_e32 v16, -4, v14
	v_add_co_u32 v40, vcc_lo, s10, v40
	v_add_co_ci_u32_e32 v41, vcc_lo, s11, v41, vcc_lo
	s_delay_alu instid0(VALU_DEP_3)
	v_lshlrev_b64 v[44:45], 3, v[16:17]
	v_add_co_u32 v42, vcc_lo, s8, v42
	v_add_co_ci_u32_e32 v43, vcc_lo, s9, v43, vcc_lo
	global_load_b64 v[38:39], v[38:39], off
	v_add_co_u32 v44, vcc_lo, s8, v44
	v_add_co_ci_u32_e32 v45, vcc_lo, s9, v45, vcc_lo
	global_load_b64 v[40:41], v[40:41], off
	s_clause 0x1
	global_load_b64 v[42:43], v[42:43], off
	global_load_b64 v[44:45], v[44:45], off
	v_subrev_nc_u32_e32 v16, 17, v14
	s_delay_alu instid0(VALU_DEP_1) | instskip(SKIP_1) | instid1(VALU_DEP_1)
	v_lshlrev_b64 v[46:47], 3, v[16:17]
	v_add_nc_u32_e32 v16, 3, v22
	v_lshlrev_b64 v[48:49], 3, v[16:17]
	v_add_nc_u32_e32 v16, -10, v14
	s_delay_alu instid0(VALU_DEP_4) | instskip(SKIP_1) | instid1(VALU_DEP_3)
	v_add_co_u32 v46, vcc_lo, s8, v46
	v_add_co_ci_u32_e32 v47, vcc_lo, s9, v47, vcc_lo
	v_lshlrev_b64 v[50:51], 3, v[16:17]
	v_add_nc_u32_e32 v16, -3, v14
	v_add_co_u32 v48, vcc_lo, s10, v48
	v_add_co_ci_u32_e32 v49, vcc_lo, s11, v49, vcc_lo
	s_delay_alu instid0(VALU_DEP_3)
	v_lshlrev_b64 v[52:53], 3, v[16:17]
	v_add_co_u32 v50, vcc_lo, s8, v50
	v_add_co_ci_u32_e32 v51, vcc_lo, s9, v51, vcc_lo
	global_load_b64 v[46:47], v[46:47], off
	v_add_co_u32 v52, vcc_lo, s8, v52
	v_add_co_ci_u32_e32 v53, vcc_lo, s9, v53, vcc_lo
	global_load_b64 v[48:49], v[48:49], off
	s_clause 0x1
	global_load_b64 v[50:51], v[50:51], off
	global_load_b64 v[52:53], v[52:53], off
	v_add_nc_u32_e32 v16, -16, v14
	s_delay_alu instid0(VALU_DEP_1) | instskip(SKIP_1) | instid1(VALU_DEP_1)
	v_lshlrev_b64 v[54:55], 3, v[16:17]
	v_add_nc_u32_e32 v16, 4, v22
	v_lshlrev_b64 v[56:57], 3, v[16:17]
	v_add_nc_u32_e32 v16, -9, v14
	s_delay_alu instid0(VALU_DEP_4) | instskip(SKIP_1) | instid1(VALU_DEP_3)
	v_add_co_u32 v54, vcc_lo, s8, v54
	v_add_co_ci_u32_e32 v55, vcc_lo, s9, v55, vcc_lo
	v_lshlrev_b64 v[58:59], 3, v[16:17]
	v_add_nc_u32_e32 v16, -2, v14
	v_add_co_u32 v56, vcc_lo, s10, v56
	v_add_co_ci_u32_e32 v57, vcc_lo, s11, v57, vcc_lo
	s_delay_alu instid0(VALU_DEP_3)
	v_lshlrev_b64 v[60:61], 3, v[16:17]
	v_add_co_u32 v58, vcc_lo, s8, v58
	v_add_co_ci_u32_e32 v59, vcc_lo, s9, v59, vcc_lo
	global_load_b64 v[54:55], v[54:55], off
	v_add_co_u32 v60, vcc_lo, s8, v60
	v_add_co_ci_u32_e32 v61, vcc_lo, s9, v61, vcc_lo
	global_load_b64 v[56:57], v[56:57], off
	s_clause 0x1
	global_load_b64 v[58:59], v[58:59], off
	global_load_b64 v[60:61], v[60:61], off
	v_add_nc_u32_e32 v16, -15, v14
	s_delay_alu instid0(VALU_DEP_1) | instskip(SKIP_1) | instid1(VALU_DEP_1)
	v_lshlrev_b64 v[62:63], 3, v[16:17]
	v_add_nc_u32_e32 v16, 5, v22
	v_lshlrev_b64 v[64:65], 3, v[16:17]
	v_add_nc_u32_e32 v16, -8, v14
	s_delay_alu instid0(VALU_DEP_4) | instskip(SKIP_1) | instid1(VALU_DEP_3)
	v_add_co_u32 v62, vcc_lo, s8, v62
	v_add_co_ci_u32_e32 v63, vcc_lo, s9, v63, vcc_lo
	v_lshlrev_b64 v[66:67], 3, v[16:17]
	v_add_nc_u32_e32 v16, -1, v14
	v_add_co_u32 v64, vcc_lo, s10, v64
	v_add_co_ci_u32_e32 v65, vcc_lo, s11, v65, vcc_lo
	s_delay_alu instid0(VALU_DEP_3)
	v_lshlrev_b64 v[68:69], 3, v[16:17]
	v_add_co_u32 v66, vcc_lo, s8, v66
	v_add_co_ci_u32_e32 v67, vcc_lo, s9, v67, vcc_lo
	global_load_b64 v[62:63], v[62:63], off
	v_add_co_u32 v68, vcc_lo, s8, v68
	v_add_co_ci_u32_e32 v69, vcc_lo, s9, v69, vcc_lo
	global_load_b64 v[64:65], v[64:65], off
	s_clause 0x1
	global_load_b64 v[66:67], v[66:67], off
	global_load_b64 v[68:69], v[68:69], off
	v_lshlrev_b64 v[15:16], 3, v[14:15]
	s_delay_alu instid0(VALU_DEP_1) | instskip(NEXT) | instid1(VALU_DEP_2)
	v_add_co_u32 v70, vcc_lo, s8, v15
	v_add_co_ci_u32_e32 v71, vcc_lo, s9, v16, vcc_lo
	v_add_nc_u32_e32 v16, -14, v14
	s_delay_alu instid0(VALU_DEP_1) | instskip(SKIP_1) | instid1(VALU_DEP_1)
	v_lshlrev_b64 v[72:73], 3, v[16:17]
	v_add_nc_u32_e32 v16, 6, v22
	v_lshlrev_b64 v[21:22], 3, v[16:17]
	v_add_nc_u32_e32 v16, -7, v14
	s_delay_alu instid0(VALU_DEP_4) | instskip(SKIP_1) | instid1(VALU_DEP_3)
	v_add_co_u32 v72, vcc_lo, s8, v72
	v_add_co_ci_u32_e32 v73, vcc_lo, s9, v73, vcc_lo
	v_lshlrev_b64 v[15:16], 3, v[16:17]
	v_add_co_u32 v21, vcc_lo, s10, v21
	v_add_co_ci_u32_e32 v22, vcc_lo, s11, v22, vcc_lo
	v_add_nc_u32_e32 v14, 0x150, v14
	s_delay_alu instid0(VALU_DEP_4)
	v_add_co_u32 v15, vcc_lo, s8, v15
	v_add_co_ci_u32_e32 v16, vcc_lo, s9, v16, vcc_lo
	global_load_b64 v[72:73], v[72:73], off
	global_load_b64 v[21:22], v[21:22], off
	s_clause 0x1
	global_load_b64 v[15:16], v[15:16], off
	global_load_b64 v[70:71], v[70:71], off
	v_cmp_ge_i32_e32 vcc_lo, v10, v20
	s_or_b32 s2, vcc_lo, s2
	s_waitcnt vmcnt(23)
	v_fma_f64 v[6:7], v[24:25], v[30:31], v[6:7]
	v_fma_f64 v[11:12], v[18:19], v[30:31], v[12:13]
	;; [unrolled: 1-line block ×3, first 2 shown]
	s_waitcnt vmcnt(22)
	s_delay_alu instid0(VALU_DEP_3) | instskip(SKIP_1) | instid1(VALU_DEP_3)
	v_fma_f64 v[6:7], v[26:27], v[32:33], v[6:7]
	s_waitcnt vmcnt(21)
	v_fma_f64 v[11:12], v[34:35], v[32:33], v[11:12]
	s_waitcnt vmcnt(20)
	s_delay_alu instid0(VALU_DEP_3) | instskip(SKIP_1) | instid1(VALU_DEP_3)
	v_fma_f64 v[8:9], v[36:37], v[32:33], v[8:9]
	s_waitcnt vmcnt(18)
	v_fma_f64 v[6:7], v[38:39], v[40:41], v[6:7]
	;; [unrolled: 5-line block ×9, first 2 shown]
	s_and_not1_b32 exec_lo, exec_lo, s2
	s_cbranch_execnz .LBB64_15
; %bb.16:
	s_or_b32 exec_lo, exec_lo, s2
.LBB64_17:
	s_delay_alu instid0(SALU_CYCLE_1)
	s_or_b32 exec_lo, exec_lo, s3
.LBB64_18:
	v_mbcnt_lo_u32_b32 v18, -1, 0
	s_delay_alu instid0(VALU_DEP_1) | instskip(NEXT) | instid1(VALU_DEP_1)
	v_xor_b32_e32 v10, 8, v18
	v_cmp_gt_i32_e32 vcc_lo, 32, v10
	v_cndmask_b32_e32 v10, v18, v10, vcc_lo
	s_delay_alu instid0(VALU_DEP_1)
	v_lshlrev_b32_e32 v17, 2, v10
	ds_bpermute_b32 v10, v17, v6
	ds_bpermute_b32 v11, v17, v7
	;; [unrolled: 1-line block ×4, first 2 shown]
	s_waitcnt lgkmcnt(2)
	v_add_f64 v[6:7], v[6:7], v[10:11]
	s_waitcnt lgkmcnt(0)
	v_add_f64 v[10:11], v[12:13], v[14:15]
	v_xor_b32_e32 v12, 4, v18
	s_delay_alu instid0(VALU_DEP_1)
	v_cmp_gt_i32_e32 vcc_lo, 32, v12
	v_cndmask_b32_e32 v12, v18, v12, vcc_lo
	ds_bpermute_b32 v16, v17, v8
	ds_bpermute_b32 v17, v17, v9
	s_waitcnt lgkmcnt(0)
	v_add_f64 v[8:9], v[8:9], v[16:17]
	v_lshlrev_b32_e32 v17, 2, v12
	ds_bpermute_b32 v12, v17, v6
	ds_bpermute_b32 v13, v17, v7
	;; [unrolled: 1-line block ×4, first 2 shown]
	s_waitcnt lgkmcnt(2)
	v_add_f64 v[6:7], v[6:7], v[12:13]
	s_waitcnt lgkmcnt(0)
	v_add_f64 v[10:11], v[10:11], v[14:15]
	ds_bpermute_b32 v16, v17, v8
	ds_bpermute_b32 v17, v17, v9
	s_waitcnt lgkmcnt(0)
	v_add_f64 v[12:13], v[8:9], v[16:17]
	v_xor_b32_e32 v8, 2, v18
	s_delay_alu instid0(VALU_DEP_1) | instskip(SKIP_1) | instid1(VALU_DEP_1)
	v_cmp_gt_i32_e32 vcc_lo, 32, v8
	v_cndmask_b32_e32 v8, v18, v8, vcc_lo
	v_lshlrev_b32_e32 v17, 2, v8
	ds_bpermute_b32 v8, v17, v6
	ds_bpermute_b32 v9, v17, v7
	;; [unrolled: 1-line block ×4, first 2 shown]
	s_waitcnt lgkmcnt(2)
	v_add_f64 v[8:9], v[6:7], v[8:9]
	s_waitcnt lgkmcnt(0)
	v_add_f64 v[6:7], v[10:11], v[14:15]
	v_xor_b32_e32 v10, 1, v18
	s_delay_alu instid0(VALU_DEP_1)
	v_cmp_gt_i32_e32 vcc_lo, 32, v10
	v_cndmask_b32_e32 v10, v18, v10, vcc_lo
	ds_bpermute_b32 v16, v17, v12
	ds_bpermute_b32 v17, v17, v13
	v_cmp_eq_u32_e32 vcc_lo, 15, v0
	v_lshlrev_b32_e32 v15, 2, v10
	s_waitcnt lgkmcnt(0)
	v_add_f64 v[12:13], v[12:13], v[16:17]
	ds_bpermute_b32 v10, v15, v8
	ds_bpermute_b32 v11, v15, v9
	;; [unrolled: 1-line block ×6, first 2 shown]
	s_and_b32 exec_lo, exec_lo, vcc_lo
	s_cbranch_execz .LBB64_23
; %bb.19:
	s_waitcnt lgkmcnt(4)
	v_add_f64 v[10:11], v[8:9], v[10:11]
	s_waitcnt lgkmcnt(2)
	v_add_f64 v[8:9], v[6:7], v[16:17]
	;; [unrolled: 2-line block ×3, first 2 shown]
	s_load_b64 s[0:1], s[0:1], 0x38
	s_mov_b32 s2, exec_lo
	v_cmpx_eq_f64_e32 0, v[3:4]
	s_xor_b32 s2, exec_lo, s2
	s_cbranch_execz .LBB64_21
; %bb.20:
	s_delay_alu instid0(VALU_DEP_4) | instskip(NEXT) | instid1(VALU_DEP_4)
	v_mul_f64 v[10:11], v[1:2], v[10:11]
	v_mul_f64 v[12:13], v[1:2], v[8:9]
	s_delay_alu instid0(VALU_DEP_4) | instskip(SKIP_1) | instid1(VALU_DEP_1)
	v_mul_f64 v[0:1], v[1:2], v[6:7]
	v_lshl_add_u32 v2, v5, 1, v5
                                        ; implicit-def: $vgpr5
                                        ; implicit-def: $vgpr8_vgpr9
                                        ; implicit-def: $vgpr6_vgpr7
	v_ashrrev_i32_e32 v3, 31, v2
	s_delay_alu instid0(VALU_DEP_1) | instskip(SKIP_1) | instid1(VALU_DEP_1)
	v_lshlrev_b64 v[2:3], 3, v[2:3]
	s_waitcnt lgkmcnt(0)
	v_add_co_u32 v2, vcc_lo, s0, v2
	s_delay_alu instid0(VALU_DEP_2)
	v_add_co_ci_u32_e32 v3, vcc_lo, s1, v3, vcc_lo
	s_clause 0x1
	global_store_b128 v[2:3], v[10:13], off
	global_store_b64 v[2:3], v[0:1], off offset:16
                                        ; implicit-def: $vgpr1_vgpr2
                                        ; implicit-def: $vgpr10_vgpr11
                                        ; implicit-def: $vgpr3_vgpr4
.LBB64_21:
	s_and_not1_saveexec_b32 s2, s2
	s_cbranch_execz .LBB64_23
; %bb.22:
	v_lshl_add_u32 v12, v5, 1, v5
	v_mul_f64 v[10:11], v[1:2], v[10:11]
	v_mul_f64 v[8:9], v[1:2], v[8:9]
	;; [unrolled: 1-line block ×3, first 2 shown]
	s_delay_alu instid0(VALU_DEP_4) | instskip(NEXT) | instid1(VALU_DEP_1)
	v_ashrrev_i32_e32 v13, 31, v12
	v_lshlrev_b64 v[12:13], 3, v[12:13]
	s_waitcnt lgkmcnt(0)
	s_delay_alu instid0(VALU_DEP_1) | instskip(NEXT) | instid1(VALU_DEP_2)
	v_add_co_u32 v16, vcc_lo, s0, v12
	v_add_co_ci_u32_e32 v17, vcc_lo, s1, v13, vcc_lo
	s_clause 0x1
	global_load_b128 v[12:15], v[16:17], off
	global_load_b64 v[18:19], v[16:17], off offset:16
	s_waitcnt vmcnt(1)
	v_fma_f64 v[5:6], v[3:4], v[12:13], v[10:11]
	v_fma_f64 v[7:8], v[3:4], v[14:15], v[8:9]
	s_waitcnt vmcnt(0)
	v_fma_f64 v[0:1], v[3:4], v[18:19], v[0:1]
	s_clause 0x1
	global_store_b128 v[16:17], v[5:8], off
	global_store_b64 v[16:17], v[0:1], off offset:16
.LBB64_23:
	s_nop 0
	s_sendmsg sendmsg(MSG_DEALLOC_VGPRS)
	s_endpgm
	.section	.rodata,"a",@progbits
	.p2align	6, 0x0
	.amdhsa_kernel _ZN9rocsparseL19gebsrmvn_3xn_kernelILj128ELj7ELj16EdEEvi20rocsparse_direction_NS_24const_host_device_scalarIT2_EEPKiS6_PKS3_S8_S4_PS3_21rocsparse_index_base_b
		.amdhsa_group_segment_fixed_size 0
		.amdhsa_private_segment_fixed_size 0
		.amdhsa_kernarg_size 72
		.amdhsa_user_sgpr_count 15
		.amdhsa_user_sgpr_dispatch_ptr 0
		.amdhsa_user_sgpr_queue_ptr 0
		.amdhsa_user_sgpr_kernarg_segment_ptr 1
		.amdhsa_user_sgpr_dispatch_id 0
		.amdhsa_user_sgpr_private_segment_size 0
		.amdhsa_wavefront_size32 1
		.amdhsa_uses_dynamic_stack 0
		.amdhsa_enable_private_segment 0
		.amdhsa_system_sgpr_workgroup_id_x 1
		.amdhsa_system_sgpr_workgroup_id_y 0
		.amdhsa_system_sgpr_workgroup_id_z 0
		.amdhsa_system_sgpr_workgroup_info 0
		.amdhsa_system_vgpr_workitem_id 0
		.amdhsa_next_free_vgpr 75
		.amdhsa_next_free_sgpr 16
		.amdhsa_reserve_vcc 1
		.amdhsa_float_round_mode_32 0
		.amdhsa_float_round_mode_16_64 0
		.amdhsa_float_denorm_mode_32 3
		.amdhsa_float_denorm_mode_16_64 3
		.amdhsa_dx10_clamp 1
		.amdhsa_ieee_mode 1
		.amdhsa_fp16_overflow 0
		.amdhsa_workgroup_processor_mode 1
		.amdhsa_memory_ordered 1
		.amdhsa_forward_progress 0
		.amdhsa_shared_vgpr_count 0
		.amdhsa_exception_fp_ieee_invalid_op 0
		.amdhsa_exception_fp_denorm_src 0
		.amdhsa_exception_fp_ieee_div_zero 0
		.amdhsa_exception_fp_ieee_overflow 0
		.amdhsa_exception_fp_ieee_underflow 0
		.amdhsa_exception_fp_ieee_inexact 0
		.amdhsa_exception_int_div_zero 0
	.end_amdhsa_kernel
	.section	.text._ZN9rocsparseL19gebsrmvn_3xn_kernelILj128ELj7ELj16EdEEvi20rocsparse_direction_NS_24const_host_device_scalarIT2_EEPKiS6_PKS3_S8_S4_PS3_21rocsparse_index_base_b,"axG",@progbits,_ZN9rocsparseL19gebsrmvn_3xn_kernelILj128ELj7ELj16EdEEvi20rocsparse_direction_NS_24const_host_device_scalarIT2_EEPKiS6_PKS3_S8_S4_PS3_21rocsparse_index_base_b,comdat
.Lfunc_end64:
	.size	_ZN9rocsparseL19gebsrmvn_3xn_kernelILj128ELj7ELj16EdEEvi20rocsparse_direction_NS_24const_host_device_scalarIT2_EEPKiS6_PKS3_S8_S4_PS3_21rocsparse_index_base_b, .Lfunc_end64-_ZN9rocsparseL19gebsrmvn_3xn_kernelILj128ELj7ELj16EdEEvi20rocsparse_direction_NS_24const_host_device_scalarIT2_EEPKiS6_PKS3_S8_S4_PS3_21rocsparse_index_base_b
                                        ; -- End function
	.section	.AMDGPU.csdata,"",@progbits
; Kernel info:
; codeLenInByte = 3960
; NumSgprs: 18
; NumVgprs: 75
; ScratchSize: 0
; MemoryBound: 0
; FloatMode: 240
; IeeeMode: 1
; LDSByteSize: 0 bytes/workgroup (compile time only)
; SGPRBlocks: 2
; VGPRBlocks: 9
; NumSGPRsForWavesPerEU: 18
; NumVGPRsForWavesPerEU: 75
; Occupancy: 16
; WaveLimiterHint : 1
; COMPUTE_PGM_RSRC2:SCRATCH_EN: 0
; COMPUTE_PGM_RSRC2:USER_SGPR: 15
; COMPUTE_PGM_RSRC2:TRAP_HANDLER: 0
; COMPUTE_PGM_RSRC2:TGID_X_EN: 1
; COMPUTE_PGM_RSRC2:TGID_Y_EN: 0
; COMPUTE_PGM_RSRC2:TGID_Z_EN: 0
; COMPUTE_PGM_RSRC2:TIDIG_COMP_CNT: 0
	.section	.text._ZN9rocsparseL19gebsrmvn_3xn_kernelILj128ELj7ELj32EdEEvi20rocsparse_direction_NS_24const_host_device_scalarIT2_EEPKiS6_PKS3_S8_S4_PS3_21rocsparse_index_base_b,"axG",@progbits,_ZN9rocsparseL19gebsrmvn_3xn_kernelILj128ELj7ELj32EdEEvi20rocsparse_direction_NS_24const_host_device_scalarIT2_EEPKiS6_PKS3_S8_S4_PS3_21rocsparse_index_base_b,comdat
	.globl	_ZN9rocsparseL19gebsrmvn_3xn_kernelILj128ELj7ELj32EdEEvi20rocsparse_direction_NS_24const_host_device_scalarIT2_EEPKiS6_PKS3_S8_S4_PS3_21rocsparse_index_base_b ; -- Begin function _ZN9rocsparseL19gebsrmvn_3xn_kernelILj128ELj7ELj32EdEEvi20rocsparse_direction_NS_24const_host_device_scalarIT2_EEPKiS6_PKS3_S8_S4_PS3_21rocsparse_index_base_b
	.p2align	8
	.type	_ZN9rocsparseL19gebsrmvn_3xn_kernelILj128ELj7ELj32EdEEvi20rocsparse_direction_NS_24const_host_device_scalarIT2_EEPKiS6_PKS3_S8_S4_PS3_21rocsparse_index_base_b,@function
_ZN9rocsparseL19gebsrmvn_3xn_kernelILj128ELj7ELj32EdEEvi20rocsparse_direction_NS_24const_host_device_scalarIT2_EEPKiS6_PKS3_S8_S4_PS3_21rocsparse_index_base_b: ; @_ZN9rocsparseL19gebsrmvn_3xn_kernelILj128ELj7ELj32EdEEvi20rocsparse_direction_NS_24const_host_device_scalarIT2_EEPKiS6_PKS3_S8_S4_PS3_21rocsparse_index_base_b
; %bb.0:
	s_clause 0x2
	s_load_b64 s[12:13], s[0:1], 0x40
	s_load_b64 s[4:5], s[0:1], 0x8
	;; [unrolled: 1-line block ×3, first 2 shown]
	s_waitcnt lgkmcnt(0)
	s_bitcmp1_b32 s13, 0
	v_dual_mov_b32 v1, s4 :: v_dual_mov_b32 v2, s5
	s_cselect_b32 s6, -1, 0
	s_delay_alu instid0(SALU_CYCLE_1)
	s_and_b32 vcc_lo, exec_lo, s6
	s_xor_b32 s6, s6, -1
	s_cbranch_vccnz .LBB65_2
; %bb.1:
	v_dual_mov_b32 v1, s4 :: v_dual_mov_b32 v2, s5
	flat_load_b64 v[1:2], v[1:2]
.LBB65_2:
	v_dual_mov_b32 v4, s3 :: v_dual_mov_b32 v3, s2
	s_and_not1_b32 vcc_lo, exec_lo, s6
	s_cbranch_vccnz .LBB65_4
; %bb.3:
	v_dual_mov_b32 v4, s3 :: v_dual_mov_b32 v3, s2
	flat_load_b64 v[3:4], v[3:4]
.LBB65_4:
	s_waitcnt vmcnt(0) lgkmcnt(0)
	v_cmp_neq_f64_e32 vcc_lo, 0, v[1:2]
	v_cmp_neq_f64_e64 s2, 1.0, v[3:4]
	s_delay_alu instid0(VALU_DEP_1) | instskip(NEXT) | instid1(SALU_CYCLE_1)
	s_or_b32 s2, vcc_lo, s2
	s_and_saveexec_b32 s3, s2
	s_cbranch_execz .LBB65_23
; %bb.5:
	s_load_b64 s[2:3], s[0:1], 0x0
	v_lshrrev_b32_e32 v5, 5, v0
	s_delay_alu instid0(VALU_DEP_1) | instskip(SKIP_1) | instid1(VALU_DEP_1)
	v_lshl_or_b32 v5, s15, 2, v5
	s_waitcnt lgkmcnt(0)
	v_cmp_gt_i32_e32 vcc_lo, s2, v5
	s_and_b32 exec_lo, exec_lo, vcc_lo
	s_cbranch_execz .LBB65_23
; %bb.6:
	s_load_b256 s[4:11], s[0:1], 0x10
	v_ashrrev_i32_e32 v6, 31, v5
	v_and_b32_e32 v0, 31, v0
	s_cmp_lg_u32 s3, 0
	s_delay_alu instid0(VALU_DEP_2) | instskip(SKIP_1) | instid1(VALU_DEP_1)
	v_lshlrev_b64 v[6:7], 2, v[5:6]
	s_waitcnt lgkmcnt(0)
	v_add_co_u32 v6, vcc_lo, s4, v6
	s_delay_alu instid0(VALU_DEP_2) | instskip(SKIP_4) | instid1(VALU_DEP_2)
	v_add_co_ci_u32_e32 v7, vcc_lo, s5, v7, vcc_lo
	global_load_b64 v[6:7], v[6:7], off
	s_waitcnt vmcnt(0)
	v_subrev_nc_u32_e32 v6, s12, v6
	v_subrev_nc_u32_e32 v19, s12, v7
	v_add_nc_u32_e32 v12, v6, v0
	s_delay_alu instid0(VALU_DEP_1)
	v_cmp_lt_i32_e64 s2, v12, v19
	s_cbranch_scc0 .LBB65_12
; %bb.7:
	v_mov_b32_e32 v6, 0
	v_mov_b32_e32 v7, 0
	s_delay_alu instid0(VALU_DEP_1)
	v_dual_mov_b32 v9, v7 :: v_dual_mov_b32 v8, v6
	v_dual_mov_b32 v11, v7 :: v_dual_mov_b32 v10, v6
	s_and_saveexec_b32 s3, s2
	s_cbranch_execz .LBB65_11
; %bb.8:
	v_dual_mov_b32 v6, 0 :: v_dual_mov_b32 v17, v12
	v_dual_mov_b32 v7, 0 :: v_dual_mov_b32 v16, 0
	v_mad_u64_u32 v[13:14], null, v12, 21, 20
	s_mov_b32 s4, 0
	s_delay_alu instid0(VALU_DEP_2)
	v_dual_mov_b32 v9, v7 :: v_dual_mov_b32 v8, v6
	v_dual_mov_b32 v11, v7 :: v_dual_mov_b32 v10, v6
.LBB65_9:                               ; =>This Inner Loop Header: Depth=1
	v_ashrrev_i32_e32 v18, 31, v17
	v_mov_b32_e32 v21, v16
	s_delay_alu instid0(VALU_DEP_2) | instskip(SKIP_1) | instid1(VALU_DEP_2)
	v_lshlrev_b64 v[14:15], 2, v[17:18]
	v_add_nc_u32_e32 v17, 32, v17
	v_add_co_u32 v14, vcc_lo, s6, v14
	s_delay_alu instid0(VALU_DEP_3) | instskip(SKIP_2) | instid1(VALU_DEP_1)
	v_add_co_ci_u32_e32 v15, vcc_lo, s7, v15, vcc_lo
	global_load_b32 v18, v[14:15], off
	v_subrev_nc_u32_e32 v15, 20, v13
	v_lshlrev_b64 v[22:23], 3, v[15:16]
	v_subrev_nc_u32_e32 v15, 19, v13
	s_delay_alu instid0(VALU_DEP_1) | instskip(SKIP_1) | instid1(VALU_DEP_4)
	v_lshlrev_b64 v[24:25], 3, v[15:16]
	v_subrev_nc_u32_e32 v15, 18, v13
	v_add_co_u32 v22, vcc_lo, s8, v22
	v_add_co_ci_u32_e32 v23, vcc_lo, s9, v23, vcc_lo
	s_delay_alu instid0(VALU_DEP_3) | instskip(SKIP_3) | instid1(VALU_DEP_3)
	v_lshlrev_b64 v[26:27], 3, v[15:16]
	v_subrev_nc_u32_e32 v15, 17, v13
	v_add_co_u32 v24, vcc_lo, s8, v24
	v_add_co_ci_u32_e32 v25, vcc_lo, s9, v25, vcc_lo
	v_lshlrev_b64 v[28:29], 3, v[15:16]
	v_add_co_u32 v26, vcc_lo, s8, v26
	v_add_co_ci_u32_e32 v27, vcc_lo, s9, v27, vcc_lo
	s_clause 0x1
	global_load_b64 v[22:23], v[22:23], off
	global_load_b64 v[24:25], v[24:25], off
	v_add_co_u32 v28, vcc_lo, s8, v28
	v_add_co_ci_u32_e32 v29, vcc_lo, s9, v29, vcc_lo
	s_waitcnt vmcnt(2)
	v_subrev_nc_u32_e32 v15, s12, v18
	s_delay_alu instid0(VALU_DEP_1) | instskip(NEXT) | instid1(VALU_DEP_1)
	v_mul_lo_u32 v20, v15, 7
	v_dual_mov_b32 v14, v16 :: v_dual_add_nc_u32 v15, 1, v20
	v_lshlrev_b64 v[30:31], 3, v[20:21]
	s_delay_alu instid0(VALU_DEP_2) | instskip(SKIP_1) | instid1(VALU_DEP_3)
	v_lshlrev_b64 v[32:33], 3, v[15:16]
	v_add_nc_u32_e32 v15, -16, v13
	v_add_co_u32 v30, vcc_lo, s10, v30
	s_delay_alu instid0(VALU_DEP_4)
	v_add_co_ci_u32_e32 v31, vcc_lo, s11, v31, vcc_lo
	s_clause 0x1
	global_load_b64 v[26:27], v[26:27], off
	global_load_b64 v[28:29], v[28:29], off
	;; [unrolled: 1-line block ×3, first 2 shown]
	v_lshlrev_b64 v[34:35], 3, v[15:16]
	v_add_nc_u32_e32 v15, -15, v13
	v_add_co_u32 v32, vcc_lo, s10, v32
	v_add_co_ci_u32_e32 v33, vcc_lo, s11, v33, vcc_lo
	s_delay_alu instid0(VALU_DEP_3)
	v_lshlrev_b64 v[36:37], 3, v[15:16]
	v_add_co_u32 v34, vcc_lo, s8, v34
	v_add_co_ci_u32_e32 v35, vcc_lo, s9, v35, vcc_lo
	global_load_b64 v[32:33], v[32:33], off
	v_add_co_u32 v36, vcc_lo, s8, v36
	v_add_co_ci_u32_e32 v37, vcc_lo, s9, v37, vcc_lo
	s_clause 0x1
	global_load_b64 v[34:35], v[34:35], off
	global_load_b64 v[36:37], v[36:37], off
	v_add_nc_u32_e32 v15, -14, v13
	s_delay_alu instid0(VALU_DEP_1) | instskip(SKIP_1) | instid1(VALU_DEP_1)
	v_lshlrev_b64 v[38:39], 3, v[15:16]
	v_add_nc_u32_e32 v15, 2, v20
	v_lshlrev_b64 v[40:41], 3, v[15:16]
	v_add_nc_u32_e32 v15, -13, v13
	s_delay_alu instid0(VALU_DEP_4) | instskip(SKIP_1) | instid1(VALU_DEP_3)
	v_add_co_u32 v38, vcc_lo, s8, v38
	v_add_co_ci_u32_e32 v39, vcc_lo, s9, v39, vcc_lo
	v_lshlrev_b64 v[42:43], 3, v[15:16]
	v_add_nc_u32_e32 v15, -12, v13
	v_add_co_u32 v40, vcc_lo, s10, v40
	v_add_co_ci_u32_e32 v41, vcc_lo, s11, v41, vcc_lo
	s_delay_alu instid0(VALU_DEP_3)
	v_lshlrev_b64 v[44:45], 3, v[15:16]
	v_add_co_u32 v42, vcc_lo, s8, v42
	v_add_co_ci_u32_e32 v43, vcc_lo, s9, v43, vcc_lo
	global_load_b64 v[38:39], v[38:39], off
	v_add_co_u32 v44, vcc_lo, s8, v44
	v_add_co_ci_u32_e32 v45, vcc_lo, s9, v45, vcc_lo
	global_load_b64 v[40:41], v[40:41], off
	s_clause 0x1
	global_load_b64 v[42:43], v[42:43], off
	global_load_b64 v[44:45], v[44:45], off
	v_add_nc_u32_e32 v15, -11, v13
	s_delay_alu instid0(VALU_DEP_1) | instskip(SKIP_1) | instid1(VALU_DEP_1)
	v_lshlrev_b64 v[46:47], 3, v[15:16]
	v_add_nc_u32_e32 v15, 3, v20
	v_lshlrev_b64 v[48:49], 3, v[15:16]
	v_add_nc_u32_e32 v15, -10, v13
	s_delay_alu instid0(VALU_DEP_4) | instskip(SKIP_1) | instid1(VALU_DEP_3)
	v_add_co_u32 v46, vcc_lo, s8, v46
	v_add_co_ci_u32_e32 v47, vcc_lo, s9, v47, vcc_lo
	v_lshlrev_b64 v[50:51], 3, v[15:16]
	v_add_nc_u32_e32 v15, -9, v13
	v_add_co_u32 v48, vcc_lo, s10, v48
	v_add_co_ci_u32_e32 v49, vcc_lo, s11, v49, vcc_lo
	s_delay_alu instid0(VALU_DEP_3)
	v_lshlrev_b64 v[52:53], 3, v[15:16]
	v_add_co_u32 v50, vcc_lo, s8, v50
	v_add_co_ci_u32_e32 v51, vcc_lo, s9, v51, vcc_lo
	global_load_b64 v[46:47], v[46:47], off
	v_add_co_u32 v52, vcc_lo, s8, v52
	v_add_co_ci_u32_e32 v53, vcc_lo, s9, v53, vcc_lo
	global_load_b64 v[48:49], v[48:49], off
	;; [unrolled: 24-line block ×4, first 2 shown]
	s_clause 0x1
	global_load_b64 v[66:67], v[66:67], off
	global_load_b64 v[68:69], v[68:69], off
	v_lshlrev_b64 v[14:15], 3, v[13:14]
	s_delay_alu instid0(VALU_DEP_1) | instskip(NEXT) | instid1(VALU_DEP_2)
	v_add_co_u32 v70, vcc_lo, s8, v14
	v_add_co_ci_u32_e32 v71, vcc_lo, s9, v15, vcc_lo
	v_add_nc_u32_e32 v15, -2, v13
	s_delay_alu instid0(VALU_DEP_1) | instskip(SKIP_1) | instid1(VALU_DEP_1)
	v_lshlrev_b64 v[72:73], 3, v[15:16]
	v_add_nc_u32_e32 v15, 6, v20
	v_lshlrev_b64 v[20:21], 3, v[15:16]
	v_add_nc_u32_e32 v15, -1, v13
	s_delay_alu instid0(VALU_DEP_4) | instskip(SKIP_1) | instid1(VALU_DEP_3)
	v_add_co_u32 v72, vcc_lo, s8, v72
	v_add_co_ci_u32_e32 v73, vcc_lo, s9, v73, vcc_lo
	v_lshlrev_b64 v[14:15], 3, v[15:16]
	v_add_co_u32 v20, vcc_lo, s10, v20
	v_add_co_ci_u32_e32 v21, vcc_lo, s11, v21, vcc_lo
	v_add_nc_u32_e32 v13, 0x2a0, v13
	s_delay_alu instid0(VALU_DEP_4)
	v_add_co_u32 v14, vcc_lo, s8, v14
	v_add_co_ci_u32_e32 v15, vcc_lo, s9, v15, vcc_lo
	global_load_b64 v[72:73], v[72:73], off
	global_load_b64 v[20:21], v[20:21], off
	s_clause 0x1
	global_load_b64 v[14:15], v[14:15], off
	global_load_b64 v[70:71], v[70:71], off
	v_cmp_ge_i32_e32 vcc_lo, v17, v19
	s_or_b32 s4, vcc_lo, s4
	s_waitcnt vmcnt(23)
	v_fma_f64 v[6:7], v[22:23], v[30:31], v[6:7]
	v_fma_f64 v[10:11], v[24:25], v[30:31], v[10:11]
	;; [unrolled: 1-line block ×3, first 2 shown]
	s_waitcnt vmcnt(22)
	s_delay_alu instid0(VALU_DEP_3) | instskip(SKIP_1) | instid1(VALU_DEP_3)
	v_fma_f64 v[6:7], v[28:29], v[32:33], v[6:7]
	s_waitcnt vmcnt(21)
	v_fma_f64 v[10:11], v[34:35], v[32:33], v[10:11]
	s_waitcnt vmcnt(20)
	s_delay_alu instid0(VALU_DEP_3) | instskip(SKIP_1) | instid1(VALU_DEP_3)
	v_fma_f64 v[8:9], v[36:37], v[32:33], v[8:9]
	s_waitcnt vmcnt(18)
	v_fma_f64 v[6:7], v[38:39], v[40:41], v[6:7]
	;; [unrolled: 5-line block ×9, first 2 shown]
	s_and_not1_b32 exec_lo, exec_lo, s4
	s_cbranch_execnz .LBB65_9
; %bb.10:
	s_or_b32 exec_lo, exec_lo, s4
.LBB65_11:
	s_delay_alu instid0(SALU_CYCLE_1)
	s_or_b32 exec_lo, exec_lo, s3
	s_cbranch_execz .LBB65_13
	s_branch .LBB65_18
.LBB65_12:
                                        ; implicit-def: $vgpr6_vgpr7
                                        ; implicit-def: $vgpr8_vgpr9
                                        ; implicit-def: $vgpr10_vgpr11
.LBB65_13:
	v_mov_b32_e32 v6, 0
	v_mov_b32_e32 v7, 0
	s_delay_alu instid0(VALU_DEP_1)
	v_dual_mov_b32 v9, v7 :: v_dual_mov_b32 v8, v6
	v_dual_mov_b32 v11, v7 :: v_dual_mov_b32 v10, v6
	s_and_saveexec_b32 s3, s2
	s_cbranch_execz .LBB65_17
; %bb.14:
	v_dual_mov_b32 v6, 0 :: v_dual_mov_b32 v17, 0
	v_mov_b32_e32 v7, 0
	v_mad_u64_u32 v[14:15], null, v12, 21, 20
	s_mov_b32 s2, 0
	s_delay_alu instid0(VALU_DEP_2)
	v_dual_mov_b32 v9, v7 :: v_dual_mov_b32 v8, v6
	v_dual_mov_b32 v11, v7 :: v_dual_mov_b32 v10, v6
.LBB65_15:                              ; =>This Inner Loop Header: Depth=1
	v_ashrrev_i32_e32 v13, 31, v12
	s_delay_alu instid0(VALU_DEP_4) | instskip(SKIP_1) | instid1(VALU_DEP_3)
	v_dual_mov_b32 v21, v17 :: v_dual_add_nc_u32 v20, -13, v14
	v_dual_mov_b32 v23, v17 :: v_dual_add_nc_u32 v22, -6, v14
	v_lshlrev_b64 v[15:16], 2, v[12:13]
	v_mov_b32_e32 v24, v17
	s_delay_alu instid0(VALU_DEP_4)
	v_lshlrev_b64 v[20:21], 3, v[20:21]
	v_add_nc_u32_e32 v12, 32, v12
	v_lshlrev_b64 v[22:23], 3, v[22:23]
	v_add_co_u32 v15, vcc_lo, s6, v15
	v_add_co_ci_u32_e32 v16, vcc_lo, s7, v16, vcc_lo
	global_load_b32 v13, v[15:16], off
	v_subrev_nc_u32_e32 v16, 20, v14
	s_delay_alu instid0(VALU_DEP_1) | instskip(SKIP_1) | instid1(VALU_DEP_1)
	v_lshlrev_b64 v[25:26], 3, v[16:17]
	v_subrev_nc_u32_e32 v16, 19, v14
	v_lshlrev_b64 v[27:28], 3, v[16:17]
	s_delay_alu instid0(VALU_DEP_3) | instskip(NEXT) | instid1(VALU_DEP_4)
	v_add_co_u32 v25, vcc_lo, s8, v25
	v_add_co_ci_u32_e32 v26, vcc_lo, s9, v26, vcc_lo
	v_add_co_u32 v20, vcc_lo, s8, v20
	v_add_co_ci_u32_e32 v21, vcc_lo, s9, v21, vcc_lo
	;; [unrolled: 2-line block ×4, first 2 shown]
	s_clause 0x1
	global_load_b64 v[25:26], v[25:26], off
	global_load_b64 v[20:21], v[20:21], off
	s_waitcnt vmcnt(2)
	v_subrev_nc_u32_e32 v13, s12, v13
	s_delay_alu instid0(VALU_DEP_1) | instskip(NEXT) | instid1(VALU_DEP_1)
	v_mul_lo_u32 v23, v13, 7
	v_dual_mov_b32 v15, v17 :: v_dual_add_nc_u32 v16, 1, v23
	v_lshlrev_b64 v[31:32], 3, v[23:24]
	s_delay_alu instid0(VALU_DEP_2) | instskip(SKIP_1) | instid1(VALU_DEP_3)
	v_lshlrev_b64 v[33:34], 3, v[16:17]
	v_add_nc_u32_e32 v16, -12, v14
	v_add_co_u32 v31, vcc_lo, s10, v31
	s_delay_alu instid0(VALU_DEP_4)
	v_add_co_ci_u32_e32 v32, vcc_lo, s11, v32, vcc_lo
	s_clause 0x1
	global_load_b64 v[29:30], v[29:30], off
	global_load_b64 v[27:28], v[27:28], off
	;; [unrolled: 1-line block ×3, first 2 shown]
	v_lshlrev_b64 v[35:36], 3, v[16:17]
	v_add_nc_u32_e32 v16, -5, v14
	v_add_co_u32 v33, vcc_lo, s10, v33
	v_add_co_ci_u32_e32 v34, vcc_lo, s11, v34, vcc_lo
	s_delay_alu instid0(VALU_DEP_3)
	v_lshlrev_b64 v[37:38], 3, v[16:17]
	v_add_co_u32 v35, vcc_lo, s8, v35
	v_add_co_ci_u32_e32 v36, vcc_lo, s9, v36, vcc_lo
	global_load_b64 v[33:34], v[33:34], off
	v_add_co_u32 v37, vcc_lo, s8, v37
	v_add_co_ci_u32_e32 v38, vcc_lo, s9, v38, vcc_lo
	s_clause 0x1
	global_load_b64 v[35:36], v[35:36], off
	global_load_b64 v[37:38], v[37:38], off
	v_subrev_nc_u32_e32 v16, 18, v14
	s_delay_alu instid0(VALU_DEP_1) | instskip(SKIP_1) | instid1(VALU_DEP_1)
	v_lshlrev_b64 v[39:40], 3, v[16:17]
	v_add_nc_u32_e32 v16, 2, v23
	v_lshlrev_b64 v[41:42], 3, v[16:17]
	v_add_nc_u32_e32 v16, -11, v14
	s_delay_alu instid0(VALU_DEP_4) | instskip(SKIP_1) | instid1(VALU_DEP_3)
	v_add_co_u32 v39, vcc_lo, s8, v39
	v_add_co_ci_u32_e32 v40, vcc_lo, s9, v40, vcc_lo
	v_lshlrev_b64 v[43:44], 3, v[16:17]
	v_add_nc_u32_e32 v16, -4, v14
	v_add_co_u32 v41, vcc_lo, s10, v41
	v_add_co_ci_u32_e32 v42, vcc_lo, s11, v42, vcc_lo
	s_delay_alu instid0(VALU_DEP_3)
	v_lshlrev_b64 v[45:46], 3, v[16:17]
	v_add_co_u32 v43, vcc_lo, s8, v43
	v_add_co_ci_u32_e32 v44, vcc_lo, s9, v44, vcc_lo
	global_load_b64 v[39:40], v[39:40], off
	v_add_co_u32 v45, vcc_lo, s8, v45
	v_add_co_ci_u32_e32 v46, vcc_lo, s9, v46, vcc_lo
	global_load_b64 v[41:42], v[41:42], off
	s_clause 0x1
	global_load_b64 v[43:44], v[43:44], off
	global_load_b64 v[45:46], v[45:46], off
	v_subrev_nc_u32_e32 v16, 17, v14
	s_delay_alu instid0(VALU_DEP_1) | instskip(SKIP_1) | instid1(VALU_DEP_1)
	v_lshlrev_b64 v[47:48], 3, v[16:17]
	v_add_nc_u32_e32 v16, 3, v23
	v_lshlrev_b64 v[49:50], 3, v[16:17]
	v_add_nc_u32_e32 v16, -10, v14
	s_delay_alu instid0(VALU_DEP_4) | instskip(SKIP_1) | instid1(VALU_DEP_3)
	v_add_co_u32 v47, vcc_lo, s8, v47
	v_add_co_ci_u32_e32 v48, vcc_lo, s9, v48, vcc_lo
	v_lshlrev_b64 v[51:52], 3, v[16:17]
	v_add_nc_u32_e32 v16, -3, v14
	v_add_co_u32 v49, vcc_lo, s10, v49
	v_add_co_ci_u32_e32 v50, vcc_lo, s11, v50, vcc_lo
	s_delay_alu instid0(VALU_DEP_3)
	v_lshlrev_b64 v[53:54], 3, v[16:17]
	v_add_co_u32 v51, vcc_lo, s8, v51
	v_add_co_ci_u32_e32 v52, vcc_lo, s9, v52, vcc_lo
	global_load_b64 v[47:48], v[47:48], off
	v_add_co_u32 v53, vcc_lo, s8, v53
	v_add_co_ci_u32_e32 v54, vcc_lo, s9, v54, vcc_lo
	global_load_b64 v[49:50], v[49:50], off
	s_clause 0x1
	global_load_b64 v[51:52], v[51:52], off
	global_load_b64 v[53:54], v[53:54], off
	v_add_nc_u32_e32 v16, -16, v14
	s_delay_alu instid0(VALU_DEP_1) | instskip(SKIP_1) | instid1(VALU_DEP_1)
	v_lshlrev_b64 v[55:56], 3, v[16:17]
	v_add_nc_u32_e32 v16, 4, v23
	v_lshlrev_b64 v[57:58], 3, v[16:17]
	v_add_nc_u32_e32 v16, -9, v14
	s_delay_alu instid0(VALU_DEP_4) | instskip(SKIP_1) | instid1(VALU_DEP_3)
	v_add_co_u32 v55, vcc_lo, s8, v55
	v_add_co_ci_u32_e32 v56, vcc_lo, s9, v56, vcc_lo
	v_lshlrev_b64 v[59:60], 3, v[16:17]
	v_add_nc_u32_e32 v16, -2, v14
	v_add_co_u32 v57, vcc_lo, s10, v57
	v_add_co_ci_u32_e32 v58, vcc_lo, s11, v58, vcc_lo
	s_delay_alu instid0(VALU_DEP_3)
	v_lshlrev_b64 v[61:62], 3, v[16:17]
	v_add_co_u32 v59, vcc_lo, s8, v59
	v_add_co_ci_u32_e32 v60, vcc_lo, s9, v60, vcc_lo
	global_load_b64 v[55:56], v[55:56], off
	v_add_co_u32 v61, vcc_lo, s8, v61
	v_add_co_ci_u32_e32 v62, vcc_lo, s9, v62, vcc_lo
	global_load_b64 v[57:58], v[57:58], off
	s_clause 0x1
	global_load_b64 v[59:60], v[59:60], off
	global_load_b64 v[61:62], v[61:62], off
	v_add_nc_u32_e32 v16, -15, v14
	s_delay_alu instid0(VALU_DEP_1) | instskip(SKIP_1) | instid1(VALU_DEP_1)
	v_lshlrev_b64 v[63:64], 3, v[16:17]
	v_add_nc_u32_e32 v16, 5, v23
	v_lshlrev_b64 v[65:66], 3, v[16:17]
	v_add_nc_u32_e32 v16, -8, v14
	s_delay_alu instid0(VALU_DEP_4) | instskip(SKIP_1) | instid1(VALU_DEP_3)
	v_add_co_u32 v63, vcc_lo, s8, v63
	v_add_co_ci_u32_e32 v64, vcc_lo, s9, v64, vcc_lo
	v_lshlrev_b64 v[67:68], 3, v[16:17]
	v_add_nc_u32_e32 v16, -1, v14
	v_add_co_u32 v65, vcc_lo, s10, v65
	v_add_co_ci_u32_e32 v66, vcc_lo, s11, v66, vcc_lo
	s_delay_alu instid0(VALU_DEP_3)
	v_lshlrev_b64 v[69:70], 3, v[16:17]
	v_add_co_u32 v67, vcc_lo, s8, v67
	v_add_co_ci_u32_e32 v68, vcc_lo, s9, v68, vcc_lo
	global_load_b64 v[63:64], v[63:64], off
	v_add_co_u32 v69, vcc_lo, s8, v69
	v_add_co_ci_u32_e32 v70, vcc_lo, s9, v70, vcc_lo
	global_load_b64 v[65:66], v[65:66], off
	s_clause 0x1
	global_load_b64 v[67:68], v[67:68], off
	global_load_b64 v[69:70], v[69:70], off
	v_lshlrev_b64 v[15:16], 3, v[14:15]
	s_delay_alu instid0(VALU_DEP_1) | instskip(NEXT) | instid1(VALU_DEP_2)
	v_add_co_u32 v71, vcc_lo, s8, v15
	v_add_co_ci_u32_e32 v72, vcc_lo, s9, v16, vcc_lo
	v_add_nc_u32_e32 v16, -14, v14
	s_delay_alu instid0(VALU_DEP_1) | instskip(SKIP_1) | instid1(VALU_DEP_1)
	v_lshlrev_b64 v[73:74], 3, v[16:17]
	v_add_nc_u32_e32 v16, 6, v23
	v_lshlrev_b64 v[22:23], 3, v[16:17]
	v_add_nc_u32_e32 v16, -7, v14
	s_delay_alu instid0(VALU_DEP_4) | instskip(SKIP_1) | instid1(VALU_DEP_3)
	v_add_co_u32 v73, vcc_lo, s8, v73
	v_add_co_ci_u32_e32 v74, vcc_lo, s9, v74, vcc_lo
	v_lshlrev_b64 v[15:16], 3, v[16:17]
	v_add_co_u32 v22, vcc_lo, s10, v22
	v_add_co_ci_u32_e32 v23, vcc_lo, s11, v23, vcc_lo
	v_add_nc_u32_e32 v14, 0x2a0, v14
	s_delay_alu instid0(VALU_DEP_4)
	v_add_co_u32 v15, vcc_lo, s8, v15
	v_add_co_ci_u32_e32 v16, vcc_lo, s9, v16, vcc_lo
	global_load_b64 v[73:74], v[73:74], off
	global_load_b64 v[22:23], v[22:23], off
	s_clause 0x1
	global_load_b64 v[15:16], v[15:16], off
	global_load_b64 v[71:72], v[71:72], off
	v_cmp_ge_i32_e32 vcc_lo, v12, v19
	s_or_b32 s2, vcc_lo, s2
	s_waitcnt vmcnt(23)
	v_fma_f64 v[6:7], v[25:26], v[31:32], v[6:7]
	v_fma_f64 v[10:11], v[20:21], v[31:32], v[10:11]
	;; [unrolled: 1-line block ×3, first 2 shown]
	s_waitcnt vmcnt(22)
	s_delay_alu instid0(VALU_DEP_3) | instskip(SKIP_1) | instid1(VALU_DEP_3)
	v_fma_f64 v[6:7], v[27:28], v[33:34], v[6:7]
	s_waitcnt vmcnt(21)
	v_fma_f64 v[10:11], v[35:36], v[33:34], v[10:11]
	s_waitcnt vmcnt(20)
	s_delay_alu instid0(VALU_DEP_3) | instskip(SKIP_1) | instid1(VALU_DEP_3)
	v_fma_f64 v[8:9], v[37:38], v[33:34], v[8:9]
	s_waitcnt vmcnt(18)
	v_fma_f64 v[6:7], v[39:40], v[41:42], v[6:7]
	;; [unrolled: 5-line block ×9, first 2 shown]
	s_and_not1_b32 exec_lo, exec_lo, s2
	s_cbranch_execnz .LBB65_15
; %bb.16:
	s_or_b32 exec_lo, exec_lo, s2
.LBB65_17:
	s_delay_alu instid0(SALU_CYCLE_1)
	s_or_b32 exec_lo, exec_lo, s3
.LBB65_18:
	v_mbcnt_lo_u32_b32 v18, -1, 0
	s_delay_alu instid0(VALU_DEP_1) | instskip(NEXT) | instid1(VALU_DEP_1)
	v_xor_b32_e32 v12, 16, v18
	v_cmp_gt_i32_e32 vcc_lo, 32, v12
	v_cndmask_b32_e32 v12, v18, v12, vcc_lo
	s_delay_alu instid0(VALU_DEP_1)
	v_lshlrev_b32_e32 v17, 2, v12
	ds_bpermute_b32 v12, v17, v6
	ds_bpermute_b32 v13, v17, v7
	;; [unrolled: 1-line block ×6, first 2 shown]
	s_waitcnt lgkmcnt(4)
	v_add_f64 v[6:7], v[6:7], v[12:13]
	v_xor_b32_e32 v12, 8, v18
	s_waitcnt lgkmcnt(2)
	v_add_f64 v[10:11], v[10:11], v[14:15]
	s_waitcnt lgkmcnt(0)
	v_add_f64 v[8:9], v[8:9], v[16:17]
	v_cmp_gt_i32_e32 vcc_lo, 32, v12
	v_cndmask_b32_e32 v12, v18, v12, vcc_lo
	s_delay_alu instid0(VALU_DEP_1)
	v_lshlrev_b32_e32 v17, 2, v12
	ds_bpermute_b32 v12, v17, v6
	ds_bpermute_b32 v13, v17, v7
	;; [unrolled: 1-line block ×6, first 2 shown]
	s_waitcnt lgkmcnt(4)
	v_add_f64 v[6:7], v[6:7], v[12:13]
	v_xor_b32_e32 v12, 4, v18
	s_waitcnt lgkmcnt(2)
	v_add_f64 v[10:11], v[10:11], v[14:15]
	s_waitcnt lgkmcnt(0)
	v_add_f64 v[8:9], v[8:9], v[16:17]
	v_cmp_gt_i32_e32 vcc_lo, 32, v12
	v_cndmask_b32_e32 v12, v18, v12, vcc_lo
	s_delay_alu instid0(VALU_DEP_1)
	v_lshlrev_b32_e32 v17, 2, v12
	ds_bpermute_b32 v12, v17, v6
	ds_bpermute_b32 v13, v17, v7
	;; [unrolled: 1-line block ×6, first 2 shown]
	s_waitcnt lgkmcnt(4)
	v_add_f64 v[6:7], v[6:7], v[12:13]
	s_waitcnt lgkmcnt(2)
	v_add_f64 v[10:11], v[10:11], v[14:15]
	;; [unrolled: 2-line block ×3, first 2 shown]
	v_xor_b32_e32 v8, 2, v18
	s_delay_alu instid0(VALU_DEP_1) | instskip(SKIP_1) | instid1(VALU_DEP_1)
	v_cmp_gt_i32_e32 vcc_lo, 32, v8
	v_cndmask_b32_e32 v8, v18, v8, vcc_lo
	v_lshlrev_b32_e32 v17, 2, v8
	ds_bpermute_b32 v8, v17, v6
	ds_bpermute_b32 v9, v17, v7
	;; [unrolled: 1-line block ×6, first 2 shown]
	s_waitcnt lgkmcnt(4)
	v_add_f64 v[8:9], v[6:7], v[8:9]
	s_waitcnt lgkmcnt(2)
	v_add_f64 v[6:7], v[10:11], v[14:15]
	v_xor_b32_e32 v10, 1, v18
	s_waitcnt lgkmcnt(0)
	v_add_f64 v[12:13], v[12:13], v[16:17]
	s_delay_alu instid0(VALU_DEP_2) | instskip(SKIP_2) | instid1(VALU_DEP_2)
	v_cmp_gt_i32_e32 vcc_lo, 32, v10
	v_cndmask_b32_e32 v10, v18, v10, vcc_lo
	v_cmp_eq_u32_e32 vcc_lo, 31, v0
	v_lshlrev_b32_e32 v15, 2, v10
	ds_bpermute_b32 v10, v15, v8
	ds_bpermute_b32 v11, v15, v9
	;; [unrolled: 1-line block ×6, first 2 shown]
	s_and_b32 exec_lo, exec_lo, vcc_lo
	s_cbranch_execz .LBB65_23
; %bb.19:
	s_waitcnt lgkmcnt(4)
	v_add_f64 v[10:11], v[8:9], v[10:11]
	s_waitcnt lgkmcnt(2)
	v_add_f64 v[8:9], v[6:7], v[16:17]
	;; [unrolled: 2-line block ×3, first 2 shown]
	s_load_b64 s[0:1], s[0:1], 0x38
	s_mov_b32 s2, exec_lo
	v_cmpx_eq_f64_e32 0, v[3:4]
	s_xor_b32 s2, exec_lo, s2
	s_cbranch_execz .LBB65_21
; %bb.20:
	s_delay_alu instid0(VALU_DEP_4) | instskip(NEXT) | instid1(VALU_DEP_4)
	v_mul_f64 v[10:11], v[1:2], v[10:11]
	v_mul_f64 v[12:13], v[1:2], v[8:9]
	s_delay_alu instid0(VALU_DEP_4) | instskip(SKIP_1) | instid1(VALU_DEP_1)
	v_mul_f64 v[0:1], v[1:2], v[6:7]
	v_lshl_add_u32 v2, v5, 1, v5
                                        ; implicit-def: $vgpr5
                                        ; implicit-def: $vgpr8_vgpr9
                                        ; implicit-def: $vgpr6_vgpr7
	v_ashrrev_i32_e32 v3, 31, v2
	s_delay_alu instid0(VALU_DEP_1) | instskip(SKIP_1) | instid1(VALU_DEP_1)
	v_lshlrev_b64 v[2:3], 3, v[2:3]
	s_waitcnt lgkmcnt(0)
	v_add_co_u32 v2, vcc_lo, s0, v2
	s_delay_alu instid0(VALU_DEP_2)
	v_add_co_ci_u32_e32 v3, vcc_lo, s1, v3, vcc_lo
	s_clause 0x1
	global_store_b128 v[2:3], v[10:13], off
	global_store_b64 v[2:3], v[0:1], off offset:16
                                        ; implicit-def: $vgpr1_vgpr2
                                        ; implicit-def: $vgpr10_vgpr11
                                        ; implicit-def: $vgpr3_vgpr4
.LBB65_21:
	s_and_not1_saveexec_b32 s2, s2
	s_cbranch_execz .LBB65_23
; %bb.22:
	v_lshl_add_u32 v12, v5, 1, v5
	v_mul_f64 v[10:11], v[1:2], v[10:11]
	v_mul_f64 v[8:9], v[1:2], v[8:9]
	;; [unrolled: 1-line block ×3, first 2 shown]
	s_delay_alu instid0(VALU_DEP_4) | instskip(NEXT) | instid1(VALU_DEP_1)
	v_ashrrev_i32_e32 v13, 31, v12
	v_lshlrev_b64 v[12:13], 3, v[12:13]
	s_waitcnt lgkmcnt(0)
	s_delay_alu instid0(VALU_DEP_1) | instskip(NEXT) | instid1(VALU_DEP_2)
	v_add_co_u32 v16, vcc_lo, s0, v12
	v_add_co_ci_u32_e32 v17, vcc_lo, s1, v13, vcc_lo
	s_clause 0x1
	global_load_b128 v[12:15], v[16:17], off
	global_load_b64 v[18:19], v[16:17], off offset:16
	s_waitcnt vmcnt(1)
	v_fma_f64 v[5:6], v[3:4], v[12:13], v[10:11]
	v_fma_f64 v[7:8], v[3:4], v[14:15], v[8:9]
	s_waitcnt vmcnt(0)
	v_fma_f64 v[0:1], v[3:4], v[18:19], v[0:1]
	s_clause 0x1
	global_store_b128 v[16:17], v[5:8], off
	global_store_b64 v[16:17], v[0:1], off offset:16
.LBB65_23:
	s_nop 0
	s_sendmsg sendmsg(MSG_DEALLOC_VGPRS)
	s_endpgm
	.section	.rodata,"a",@progbits
	.p2align	6, 0x0
	.amdhsa_kernel _ZN9rocsparseL19gebsrmvn_3xn_kernelILj128ELj7ELj32EdEEvi20rocsparse_direction_NS_24const_host_device_scalarIT2_EEPKiS6_PKS3_S8_S4_PS3_21rocsparse_index_base_b
		.amdhsa_group_segment_fixed_size 0
		.amdhsa_private_segment_fixed_size 0
		.amdhsa_kernarg_size 72
		.amdhsa_user_sgpr_count 15
		.amdhsa_user_sgpr_dispatch_ptr 0
		.amdhsa_user_sgpr_queue_ptr 0
		.amdhsa_user_sgpr_kernarg_segment_ptr 1
		.amdhsa_user_sgpr_dispatch_id 0
		.amdhsa_user_sgpr_private_segment_size 0
		.amdhsa_wavefront_size32 1
		.amdhsa_uses_dynamic_stack 0
		.amdhsa_enable_private_segment 0
		.amdhsa_system_sgpr_workgroup_id_x 1
		.amdhsa_system_sgpr_workgroup_id_y 0
		.amdhsa_system_sgpr_workgroup_id_z 0
		.amdhsa_system_sgpr_workgroup_info 0
		.amdhsa_system_vgpr_workitem_id 0
		.amdhsa_next_free_vgpr 75
		.amdhsa_next_free_sgpr 16
		.amdhsa_reserve_vcc 1
		.amdhsa_float_round_mode_32 0
		.amdhsa_float_round_mode_16_64 0
		.amdhsa_float_denorm_mode_32 3
		.amdhsa_float_denorm_mode_16_64 3
		.amdhsa_dx10_clamp 1
		.amdhsa_ieee_mode 1
		.amdhsa_fp16_overflow 0
		.amdhsa_workgroup_processor_mode 1
		.amdhsa_memory_ordered 1
		.amdhsa_forward_progress 0
		.amdhsa_shared_vgpr_count 0
		.amdhsa_exception_fp_ieee_invalid_op 0
		.amdhsa_exception_fp_denorm_src 0
		.amdhsa_exception_fp_ieee_div_zero 0
		.amdhsa_exception_fp_ieee_overflow 0
		.amdhsa_exception_fp_ieee_underflow 0
		.amdhsa_exception_fp_ieee_inexact 0
		.amdhsa_exception_int_div_zero 0
	.end_amdhsa_kernel
	.section	.text._ZN9rocsparseL19gebsrmvn_3xn_kernelILj128ELj7ELj32EdEEvi20rocsparse_direction_NS_24const_host_device_scalarIT2_EEPKiS6_PKS3_S8_S4_PS3_21rocsparse_index_base_b,"axG",@progbits,_ZN9rocsparseL19gebsrmvn_3xn_kernelILj128ELj7ELj32EdEEvi20rocsparse_direction_NS_24const_host_device_scalarIT2_EEPKiS6_PKS3_S8_S4_PS3_21rocsparse_index_base_b,comdat
.Lfunc_end65:
	.size	_ZN9rocsparseL19gebsrmvn_3xn_kernelILj128ELj7ELj32EdEEvi20rocsparse_direction_NS_24const_host_device_scalarIT2_EEPKiS6_PKS3_S8_S4_PS3_21rocsparse_index_base_b, .Lfunc_end65-_ZN9rocsparseL19gebsrmvn_3xn_kernelILj128ELj7ELj32EdEEvi20rocsparse_direction_NS_24const_host_device_scalarIT2_EEPKiS6_PKS3_S8_S4_PS3_21rocsparse_index_base_b
                                        ; -- End function
	.section	.AMDGPU.csdata,"",@progbits
; Kernel info:
; codeLenInByte = 4064
; NumSgprs: 18
; NumVgprs: 75
; ScratchSize: 0
; MemoryBound: 0
; FloatMode: 240
; IeeeMode: 1
; LDSByteSize: 0 bytes/workgroup (compile time only)
; SGPRBlocks: 2
; VGPRBlocks: 9
; NumSGPRsForWavesPerEU: 18
; NumVGPRsForWavesPerEU: 75
; Occupancy: 16
; WaveLimiterHint : 1
; COMPUTE_PGM_RSRC2:SCRATCH_EN: 0
; COMPUTE_PGM_RSRC2:USER_SGPR: 15
; COMPUTE_PGM_RSRC2:TRAP_HANDLER: 0
; COMPUTE_PGM_RSRC2:TGID_X_EN: 1
; COMPUTE_PGM_RSRC2:TGID_Y_EN: 0
; COMPUTE_PGM_RSRC2:TGID_Z_EN: 0
; COMPUTE_PGM_RSRC2:TIDIG_COMP_CNT: 0
	.section	.text._ZN9rocsparseL19gebsrmvn_3xn_kernelILj128ELj7ELj64EdEEvi20rocsparse_direction_NS_24const_host_device_scalarIT2_EEPKiS6_PKS3_S8_S4_PS3_21rocsparse_index_base_b,"axG",@progbits,_ZN9rocsparseL19gebsrmvn_3xn_kernelILj128ELj7ELj64EdEEvi20rocsparse_direction_NS_24const_host_device_scalarIT2_EEPKiS6_PKS3_S8_S4_PS3_21rocsparse_index_base_b,comdat
	.globl	_ZN9rocsparseL19gebsrmvn_3xn_kernelILj128ELj7ELj64EdEEvi20rocsparse_direction_NS_24const_host_device_scalarIT2_EEPKiS6_PKS3_S8_S4_PS3_21rocsparse_index_base_b ; -- Begin function _ZN9rocsparseL19gebsrmvn_3xn_kernelILj128ELj7ELj64EdEEvi20rocsparse_direction_NS_24const_host_device_scalarIT2_EEPKiS6_PKS3_S8_S4_PS3_21rocsparse_index_base_b
	.p2align	8
	.type	_ZN9rocsparseL19gebsrmvn_3xn_kernelILj128ELj7ELj64EdEEvi20rocsparse_direction_NS_24const_host_device_scalarIT2_EEPKiS6_PKS3_S8_S4_PS3_21rocsparse_index_base_b,@function
_ZN9rocsparseL19gebsrmvn_3xn_kernelILj128ELj7ELj64EdEEvi20rocsparse_direction_NS_24const_host_device_scalarIT2_EEPKiS6_PKS3_S8_S4_PS3_21rocsparse_index_base_b: ; @_ZN9rocsparseL19gebsrmvn_3xn_kernelILj128ELj7ELj64EdEEvi20rocsparse_direction_NS_24const_host_device_scalarIT2_EEPKiS6_PKS3_S8_S4_PS3_21rocsparse_index_base_b
; %bb.0:
	s_clause 0x2
	s_load_b64 s[12:13], s[0:1], 0x40
	s_load_b64 s[4:5], s[0:1], 0x8
	;; [unrolled: 1-line block ×3, first 2 shown]
	s_waitcnt lgkmcnt(0)
	s_bitcmp1_b32 s13, 0
	v_dual_mov_b32 v1, s4 :: v_dual_mov_b32 v2, s5
	s_cselect_b32 s6, -1, 0
	s_delay_alu instid0(SALU_CYCLE_1)
	s_and_b32 vcc_lo, exec_lo, s6
	s_xor_b32 s6, s6, -1
	s_cbranch_vccnz .LBB66_2
; %bb.1:
	v_dual_mov_b32 v1, s4 :: v_dual_mov_b32 v2, s5
	flat_load_b64 v[1:2], v[1:2]
.LBB66_2:
	v_dual_mov_b32 v4, s3 :: v_dual_mov_b32 v3, s2
	s_and_not1_b32 vcc_lo, exec_lo, s6
	s_cbranch_vccnz .LBB66_4
; %bb.3:
	v_dual_mov_b32 v4, s3 :: v_dual_mov_b32 v3, s2
	flat_load_b64 v[3:4], v[3:4]
.LBB66_4:
	s_waitcnt vmcnt(0) lgkmcnt(0)
	v_cmp_neq_f64_e32 vcc_lo, 0, v[1:2]
	v_cmp_neq_f64_e64 s2, 1.0, v[3:4]
	s_delay_alu instid0(VALU_DEP_1) | instskip(NEXT) | instid1(SALU_CYCLE_1)
	s_or_b32 s2, vcc_lo, s2
	s_and_saveexec_b32 s3, s2
	s_cbranch_execz .LBB66_23
; %bb.5:
	s_load_b64 s[2:3], s[0:1], 0x0
	v_lshrrev_b32_e32 v5, 6, v0
	s_delay_alu instid0(VALU_DEP_1) | instskip(SKIP_1) | instid1(VALU_DEP_1)
	v_lshl_or_b32 v5, s15, 1, v5
	s_waitcnt lgkmcnt(0)
	v_cmp_gt_i32_e32 vcc_lo, s2, v5
	s_and_b32 exec_lo, exec_lo, vcc_lo
	s_cbranch_execz .LBB66_23
; %bb.6:
	s_load_b256 s[4:11], s[0:1], 0x10
	v_ashrrev_i32_e32 v6, 31, v5
	v_and_b32_e32 v0, 63, v0
	s_cmp_lg_u32 s3, 0
	s_delay_alu instid0(VALU_DEP_2) | instskip(SKIP_1) | instid1(VALU_DEP_1)
	v_lshlrev_b64 v[6:7], 2, v[5:6]
	s_waitcnt lgkmcnt(0)
	v_add_co_u32 v6, vcc_lo, s4, v6
	s_delay_alu instid0(VALU_DEP_2) | instskip(SKIP_4) | instid1(VALU_DEP_2)
	v_add_co_ci_u32_e32 v7, vcc_lo, s5, v7, vcc_lo
	global_load_b64 v[6:7], v[6:7], off
	s_waitcnt vmcnt(0)
	v_subrev_nc_u32_e32 v6, s12, v6
	v_subrev_nc_u32_e32 v19, s12, v7
	v_add_nc_u32_e32 v12, v6, v0
	s_delay_alu instid0(VALU_DEP_1)
	v_cmp_lt_i32_e64 s2, v12, v19
	s_cbranch_scc0 .LBB66_12
; %bb.7:
	v_mov_b32_e32 v6, 0
	v_mov_b32_e32 v7, 0
	s_delay_alu instid0(VALU_DEP_1)
	v_dual_mov_b32 v9, v7 :: v_dual_mov_b32 v8, v6
	v_dual_mov_b32 v11, v7 :: v_dual_mov_b32 v10, v6
	s_and_saveexec_b32 s3, s2
	s_cbranch_execz .LBB66_11
; %bb.8:
	v_dual_mov_b32 v6, 0 :: v_dual_mov_b32 v17, v12
	v_dual_mov_b32 v7, 0 :: v_dual_mov_b32 v16, 0
	v_mad_u64_u32 v[13:14], null, v12, 21, 20
	s_mov_b32 s4, 0
	s_delay_alu instid0(VALU_DEP_2)
	v_dual_mov_b32 v9, v7 :: v_dual_mov_b32 v8, v6
	v_dual_mov_b32 v11, v7 :: v_dual_mov_b32 v10, v6
.LBB66_9:                               ; =>This Inner Loop Header: Depth=1
	v_ashrrev_i32_e32 v18, 31, v17
	v_mov_b32_e32 v21, v16
	s_delay_alu instid0(VALU_DEP_2) | instskip(SKIP_1) | instid1(VALU_DEP_2)
	v_lshlrev_b64 v[14:15], 2, v[17:18]
	v_add_nc_u32_e32 v17, 64, v17
	v_add_co_u32 v14, vcc_lo, s6, v14
	s_delay_alu instid0(VALU_DEP_3) | instskip(SKIP_2) | instid1(VALU_DEP_1)
	v_add_co_ci_u32_e32 v15, vcc_lo, s7, v15, vcc_lo
	global_load_b32 v18, v[14:15], off
	v_subrev_nc_u32_e32 v15, 20, v13
	v_lshlrev_b64 v[22:23], 3, v[15:16]
	v_subrev_nc_u32_e32 v15, 19, v13
	s_delay_alu instid0(VALU_DEP_1) | instskip(SKIP_1) | instid1(VALU_DEP_4)
	v_lshlrev_b64 v[24:25], 3, v[15:16]
	v_subrev_nc_u32_e32 v15, 18, v13
	v_add_co_u32 v22, vcc_lo, s8, v22
	v_add_co_ci_u32_e32 v23, vcc_lo, s9, v23, vcc_lo
	s_delay_alu instid0(VALU_DEP_3) | instskip(SKIP_3) | instid1(VALU_DEP_3)
	v_lshlrev_b64 v[26:27], 3, v[15:16]
	v_subrev_nc_u32_e32 v15, 17, v13
	v_add_co_u32 v24, vcc_lo, s8, v24
	v_add_co_ci_u32_e32 v25, vcc_lo, s9, v25, vcc_lo
	v_lshlrev_b64 v[28:29], 3, v[15:16]
	v_add_co_u32 v26, vcc_lo, s8, v26
	v_add_co_ci_u32_e32 v27, vcc_lo, s9, v27, vcc_lo
	s_clause 0x1
	global_load_b64 v[22:23], v[22:23], off
	global_load_b64 v[24:25], v[24:25], off
	v_add_co_u32 v28, vcc_lo, s8, v28
	v_add_co_ci_u32_e32 v29, vcc_lo, s9, v29, vcc_lo
	s_waitcnt vmcnt(2)
	v_subrev_nc_u32_e32 v15, s12, v18
	s_delay_alu instid0(VALU_DEP_1) | instskip(NEXT) | instid1(VALU_DEP_1)
	v_mul_lo_u32 v20, v15, 7
	v_dual_mov_b32 v14, v16 :: v_dual_add_nc_u32 v15, 1, v20
	v_lshlrev_b64 v[30:31], 3, v[20:21]
	s_delay_alu instid0(VALU_DEP_2) | instskip(SKIP_1) | instid1(VALU_DEP_3)
	v_lshlrev_b64 v[32:33], 3, v[15:16]
	v_add_nc_u32_e32 v15, -16, v13
	v_add_co_u32 v30, vcc_lo, s10, v30
	s_delay_alu instid0(VALU_DEP_4)
	v_add_co_ci_u32_e32 v31, vcc_lo, s11, v31, vcc_lo
	s_clause 0x1
	global_load_b64 v[26:27], v[26:27], off
	global_load_b64 v[28:29], v[28:29], off
	global_load_b64 v[30:31], v[30:31], off
	v_lshlrev_b64 v[34:35], 3, v[15:16]
	v_add_nc_u32_e32 v15, -15, v13
	v_add_co_u32 v32, vcc_lo, s10, v32
	v_add_co_ci_u32_e32 v33, vcc_lo, s11, v33, vcc_lo
	s_delay_alu instid0(VALU_DEP_3)
	v_lshlrev_b64 v[36:37], 3, v[15:16]
	v_add_co_u32 v34, vcc_lo, s8, v34
	v_add_co_ci_u32_e32 v35, vcc_lo, s9, v35, vcc_lo
	global_load_b64 v[32:33], v[32:33], off
	v_add_co_u32 v36, vcc_lo, s8, v36
	v_add_co_ci_u32_e32 v37, vcc_lo, s9, v37, vcc_lo
	s_clause 0x1
	global_load_b64 v[34:35], v[34:35], off
	global_load_b64 v[36:37], v[36:37], off
	v_add_nc_u32_e32 v15, -14, v13
	s_delay_alu instid0(VALU_DEP_1) | instskip(SKIP_1) | instid1(VALU_DEP_1)
	v_lshlrev_b64 v[38:39], 3, v[15:16]
	v_add_nc_u32_e32 v15, 2, v20
	v_lshlrev_b64 v[40:41], 3, v[15:16]
	v_add_nc_u32_e32 v15, -13, v13
	s_delay_alu instid0(VALU_DEP_4) | instskip(SKIP_1) | instid1(VALU_DEP_3)
	v_add_co_u32 v38, vcc_lo, s8, v38
	v_add_co_ci_u32_e32 v39, vcc_lo, s9, v39, vcc_lo
	v_lshlrev_b64 v[42:43], 3, v[15:16]
	v_add_nc_u32_e32 v15, -12, v13
	v_add_co_u32 v40, vcc_lo, s10, v40
	v_add_co_ci_u32_e32 v41, vcc_lo, s11, v41, vcc_lo
	s_delay_alu instid0(VALU_DEP_3)
	v_lshlrev_b64 v[44:45], 3, v[15:16]
	v_add_co_u32 v42, vcc_lo, s8, v42
	v_add_co_ci_u32_e32 v43, vcc_lo, s9, v43, vcc_lo
	global_load_b64 v[38:39], v[38:39], off
	v_add_co_u32 v44, vcc_lo, s8, v44
	v_add_co_ci_u32_e32 v45, vcc_lo, s9, v45, vcc_lo
	global_load_b64 v[40:41], v[40:41], off
	s_clause 0x1
	global_load_b64 v[42:43], v[42:43], off
	global_load_b64 v[44:45], v[44:45], off
	v_add_nc_u32_e32 v15, -11, v13
	s_delay_alu instid0(VALU_DEP_1) | instskip(SKIP_1) | instid1(VALU_DEP_1)
	v_lshlrev_b64 v[46:47], 3, v[15:16]
	v_add_nc_u32_e32 v15, 3, v20
	v_lshlrev_b64 v[48:49], 3, v[15:16]
	v_add_nc_u32_e32 v15, -10, v13
	s_delay_alu instid0(VALU_DEP_4) | instskip(SKIP_1) | instid1(VALU_DEP_3)
	v_add_co_u32 v46, vcc_lo, s8, v46
	v_add_co_ci_u32_e32 v47, vcc_lo, s9, v47, vcc_lo
	v_lshlrev_b64 v[50:51], 3, v[15:16]
	v_add_nc_u32_e32 v15, -9, v13
	v_add_co_u32 v48, vcc_lo, s10, v48
	v_add_co_ci_u32_e32 v49, vcc_lo, s11, v49, vcc_lo
	s_delay_alu instid0(VALU_DEP_3)
	v_lshlrev_b64 v[52:53], 3, v[15:16]
	v_add_co_u32 v50, vcc_lo, s8, v50
	v_add_co_ci_u32_e32 v51, vcc_lo, s9, v51, vcc_lo
	global_load_b64 v[46:47], v[46:47], off
	v_add_co_u32 v52, vcc_lo, s8, v52
	v_add_co_ci_u32_e32 v53, vcc_lo, s9, v53, vcc_lo
	global_load_b64 v[48:49], v[48:49], off
	;; [unrolled: 24-line block ×4, first 2 shown]
	s_clause 0x1
	global_load_b64 v[66:67], v[66:67], off
	global_load_b64 v[68:69], v[68:69], off
	v_lshlrev_b64 v[14:15], 3, v[13:14]
	s_delay_alu instid0(VALU_DEP_1) | instskip(NEXT) | instid1(VALU_DEP_2)
	v_add_co_u32 v70, vcc_lo, s8, v14
	v_add_co_ci_u32_e32 v71, vcc_lo, s9, v15, vcc_lo
	v_add_nc_u32_e32 v15, -2, v13
	s_delay_alu instid0(VALU_DEP_1) | instskip(SKIP_1) | instid1(VALU_DEP_1)
	v_lshlrev_b64 v[72:73], 3, v[15:16]
	v_add_nc_u32_e32 v15, 6, v20
	v_lshlrev_b64 v[20:21], 3, v[15:16]
	v_add_nc_u32_e32 v15, -1, v13
	s_delay_alu instid0(VALU_DEP_4) | instskip(SKIP_1) | instid1(VALU_DEP_3)
	v_add_co_u32 v72, vcc_lo, s8, v72
	v_add_co_ci_u32_e32 v73, vcc_lo, s9, v73, vcc_lo
	v_lshlrev_b64 v[14:15], 3, v[15:16]
	v_add_co_u32 v20, vcc_lo, s10, v20
	v_add_co_ci_u32_e32 v21, vcc_lo, s11, v21, vcc_lo
	v_add_nc_u32_e32 v13, 0x540, v13
	s_delay_alu instid0(VALU_DEP_4)
	v_add_co_u32 v14, vcc_lo, s8, v14
	v_add_co_ci_u32_e32 v15, vcc_lo, s9, v15, vcc_lo
	global_load_b64 v[72:73], v[72:73], off
	global_load_b64 v[20:21], v[20:21], off
	s_clause 0x1
	global_load_b64 v[14:15], v[14:15], off
	global_load_b64 v[70:71], v[70:71], off
	v_cmp_ge_i32_e32 vcc_lo, v17, v19
	s_or_b32 s4, vcc_lo, s4
	s_waitcnt vmcnt(23)
	v_fma_f64 v[6:7], v[22:23], v[30:31], v[6:7]
	v_fma_f64 v[10:11], v[24:25], v[30:31], v[10:11]
	v_fma_f64 v[8:9], v[26:27], v[30:31], v[8:9]
	s_waitcnt vmcnt(22)
	s_delay_alu instid0(VALU_DEP_3) | instskip(SKIP_1) | instid1(VALU_DEP_3)
	v_fma_f64 v[6:7], v[28:29], v[32:33], v[6:7]
	s_waitcnt vmcnt(21)
	v_fma_f64 v[10:11], v[34:35], v[32:33], v[10:11]
	s_waitcnt vmcnt(20)
	s_delay_alu instid0(VALU_DEP_3) | instskip(SKIP_1) | instid1(VALU_DEP_3)
	v_fma_f64 v[8:9], v[36:37], v[32:33], v[8:9]
	s_waitcnt vmcnt(18)
	v_fma_f64 v[6:7], v[38:39], v[40:41], v[6:7]
	;; [unrolled: 5-line block ×9, first 2 shown]
	s_and_not1_b32 exec_lo, exec_lo, s4
	s_cbranch_execnz .LBB66_9
; %bb.10:
	s_or_b32 exec_lo, exec_lo, s4
.LBB66_11:
	s_delay_alu instid0(SALU_CYCLE_1)
	s_or_b32 exec_lo, exec_lo, s3
	s_cbranch_execz .LBB66_13
	s_branch .LBB66_18
.LBB66_12:
                                        ; implicit-def: $vgpr6_vgpr7
                                        ; implicit-def: $vgpr8_vgpr9
                                        ; implicit-def: $vgpr10_vgpr11
.LBB66_13:
	v_mov_b32_e32 v6, 0
	v_mov_b32_e32 v7, 0
	s_delay_alu instid0(VALU_DEP_1)
	v_dual_mov_b32 v9, v7 :: v_dual_mov_b32 v8, v6
	v_dual_mov_b32 v11, v7 :: v_dual_mov_b32 v10, v6
	s_and_saveexec_b32 s3, s2
	s_cbranch_execz .LBB66_17
; %bb.14:
	v_dual_mov_b32 v6, 0 :: v_dual_mov_b32 v17, 0
	v_mov_b32_e32 v7, 0
	v_mad_u64_u32 v[14:15], null, v12, 21, 20
	s_mov_b32 s2, 0
	s_delay_alu instid0(VALU_DEP_2)
	v_dual_mov_b32 v9, v7 :: v_dual_mov_b32 v8, v6
	v_dual_mov_b32 v11, v7 :: v_dual_mov_b32 v10, v6
.LBB66_15:                              ; =>This Inner Loop Header: Depth=1
	v_ashrrev_i32_e32 v13, 31, v12
	s_delay_alu instid0(VALU_DEP_4) | instskip(SKIP_1) | instid1(VALU_DEP_3)
	v_dual_mov_b32 v21, v17 :: v_dual_add_nc_u32 v20, -13, v14
	v_dual_mov_b32 v23, v17 :: v_dual_add_nc_u32 v22, -6, v14
	v_lshlrev_b64 v[15:16], 2, v[12:13]
	v_mov_b32_e32 v24, v17
	s_delay_alu instid0(VALU_DEP_4)
	v_lshlrev_b64 v[20:21], 3, v[20:21]
	v_add_nc_u32_e32 v12, 64, v12
	v_lshlrev_b64 v[22:23], 3, v[22:23]
	v_add_co_u32 v15, vcc_lo, s6, v15
	v_add_co_ci_u32_e32 v16, vcc_lo, s7, v16, vcc_lo
	global_load_b32 v13, v[15:16], off
	v_subrev_nc_u32_e32 v16, 20, v14
	s_delay_alu instid0(VALU_DEP_1) | instskip(SKIP_1) | instid1(VALU_DEP_1)
	v_lshlrev_b64 v[25:26], 3, v[16:17]
	v_subrev_nc_u32_e32 v16, 19, v14
	v_lshlrev_b64 v[27:28], 3, v[16:17]
	s_delay_alu instid0(VALU_DEP_3) | instskip(NEXT) | instid1(VALU_DEP_4)
	v_add_co_u32 v25, vcc_lo, s8, v25
	v_add_co_ci_u32_e32 v26, vcc_lo, s9, v26, vcc_lo
	v_add_co_u32 v20, vcc_lo, s8, v20
	v_add_co_ci_u32_e32 v21, vcc_lo, s9, v21, vcc_lo
	;; [unrolled: 2-line block ×4, first 2 shown]
	s_clause 0x1
	global_load_b64 v[25:26], v[25:26], off
	global_load_b64 v[20:21], v[20:21], off
	s_waitcnt vmcnt(2)
	v_subrev_nc_u32_e32 v13, s12, v13
	s_delay_alu instid0(VALU_DEP_1) | instskip(NEXT) | instid1(VALU_DEP_1)
	v_mul_lo_u32 v23, v13, 7
	v_dual_mov_b32 v15, v17 :: v_dual_add_nc_u32 v16, 1, v23
	v_lshlrev_b64 v[31:32], 3, v[23:24]
	s_delay_alu instid0(VALU_DEP_2) | instskip(SKIP_1) | instid1(VALU_DEP_3)
	v_lshlrev_b64 v[33:34], 3, v[16:17]
	v_add_nc_u32_e32 v16, -12, v14
	v_add_co_u32 v31, vcc_lo, s10, v31
	s_delay_alu instid0(VALU_DEP_4)
	v_add_co_ci_u32_e32 v32, vcc_lo, s11, v32, vcc_lo
	s_clause 0x1
	global_load_b64 v[29:30], v[29:30], off
	global_load_b64 v[27:28], v[27:28], off
	;; [unrolled: 1-line block ×3, first 2 shown]
	v_lshlrev_b64 v[35:36], 3, v[16:17]
	v_add_nc_u32_e32 v16, -5, v14
	v_add_co_u32 v33, vcc_lo, s10, v33
	v_add_co_ci_u32_e32 v34, vcc_lo, s11, v34, vcc_lo
	s_delay_alu instid0(VALU_DEP_3)
	v_lshlrev_b64 v[37:38], 3, v[16:17]
	v_add_co_u32 v35, vcc_lo, s8, v35
	v_add_co_ci_u32_e32 v36, vcc_lo, s9, v36, vcc_lo
	global_load_b64 v[33:34], v[33:34], off
	v_add_co_u32 v37, vcc_lo, s8, v37
	v_add_co_ci_u32_e32 v38, vcc_lo, s9, v38, vcc_lo
	s_clause 0x1
	global_load_b64 v[35:36], v[35:36], off
	global_load_b64 v[37:38], v[37:38], off
	v_subrev_nc_u32_e32 v16, 18, v14
	s_delay_alu instid0(VALU_DEP_1) | instskip(SKIP_1) | instid1(VALU_DEP_1)
	v_lshlrev_b64 v[39:40], 3, v[16:17]
	v_add_nc_u32_e32 v16, 2, v23
	v_lshlrev_b64 v[41:42], 3, v[16:17]
	v_add_nc_u32_e32 v16, -11, v14
	s_delay_alu instid0(VALU_DEP_4) | instskip(SKIP_1) | instid1(VALU_DEP_3)
	v_add_co_u32 v39, vcc_lo, s8, v39
	v_add_co_ci_u32_e32 v40, vcc_lo, s9, v40, vcc_lo
	v_lshlrev_b64 v[43:44], 3, v[16:17]
	v_add_nc_u32_e32 v16, -4, v14
	v_add_co_u32 v41, vcc_lo, s10, v41
	v_add_co_ci_u32_e32 v42, vcc_lo, s11, v42, vcc_lo
	s_delay_alu instid0(VALU_DEP_3)
	v_lshlrev_b64 v[45:46], 3, v[16:17]
	v_add_co_u32 v43, vcc_lo, s8, v43
	v_add_co_ci_u32_e32 v44, vcc_lo, s9, v44, vcc_lo
	global_load_b64 v[39:40], v[39:40], off
	v_add_co_u32 v45, vcc_lo, s8, v45
	v_add_co_ci_u32_e32 v46, vcc_lo, s9, v46, vcc_lo
	global_load_b64 v[41:42], v[41:42], off
	s_clause 0x1
	global_load_b64 v[43:44], v[43:44], off
	global_load_b64 v[45:46], v[45:46], off
	v_subrev_nc_u32_e32 v16, 17, v14
	s_delay_alu instid0(VALU_DEP_1) | instskip(SKIP_1) | instid1(VALU_DEP_1)
	v_lshlrev_b64 v[47:48], 3, v[16:17]
	v_add_nc_u32_e32 v16, 3, v23
	v_lshlrev_b64 v[49:50], 3, v[16:17]
	v_add_nc_u32_e32 v16, -10, v14
	s_delay_alu instid0(VALU_DEP_4) | instskip(SKIP_1) | instid1(VALU_DEP_3)
	v_add_co_u32 v47, vcc_lo, s8, v47
	v_add_co_ci_u32_e32 v48, vcc_lo, s9, v48, vcc_lo
	v_lshlrev_b64 v[51:52], 3, v[16:17]
	v_add_nc_u32_e32 v16, -3, v14
	v_add_co_u32 v49, vcc_lo, s10, v49
	v_add_co_ci_u32_e32 v50, vcc_lo, s11, v50, vcc_lo
	s_delay_alu instid0(VALU_DEP_3)
	v_lshlrev_b64 v[53:54], 3, v[16:17]
	v_add_co_u32 v51, vcc_lo, s8, v51
	v_add_co_ci_u32_e32 v52, vcc_lo, s9, v52, vcc_lo
	global_load_b64 v[47:48], v[47:48], off
	v_add_co_u32 v53, vcc_lo, s8, v53
	v_add_co_ci_u32_e32 v54, vcc_lo, s9, v54, vcc_lo
	global_load_b64 v[49:50], v[49:50], off
	s_clause 0x1
	global_load_b64 v[51:52], v[51:52], off
	global_load_b64 v[53:54], v[53:54], off
	v_add_nc_u32_e32 v16, -16, v14
	s_delay_alu instid0(VALU_DEP_1) | instskip(SKIP_1) | instid1(VALU_DEP_1)
	v_lshlrev_b64 v[55:56], 3, v[16:17]
	v_add_nc_u32_e32 v16, 4, v23
	v_lshlrev_b64 v[57:58], 3, v[16:17]
	v_add_nc_u32_e32 v16, -9, v14
	s_delay_alu instid0(VALU_DEP_4) | instskip(SKIP_1) | instid1(VALU_DEP_3)
	v_add_co_u32 v55, vcc_lo, s8, v55
	v_add_co_ci_u32_e32 v56, vcc_lo, s9, v56, vcc_lo
	v_lshlrev_b64 v[59:60], 3, v[16:17]
	v_add_nc_u32_e32 v16, -2, v14
	v_add_co_u32 v57, vcc_lo, s10, v57
	v_add_co_ci_u32_e32 v58, vcc_lo, s11, v58, vcc_lo
	s_delay_alu instid0(VALU_DEP_3)
	v_lshlrev_b64 v[61:62], 3, v[16:17]
	v_add_co_u32 v59, vcc_lo, s8, v59
	v_add_co_ci_u32_e32 v60, vcc_lo, s9, v60, vcc_lo
	global_load_b64 v[55:56], v[55:56], off
	v_add_co_u32 v61, vcc_lo, s8, v61
	v_add_co_ci_u32_e32 v62, vcc_lo, s9, v62, vcc_lo
	global_load_b64 v[57:58], v[57:58], off
	s_clause 0x1
	global_load_b64 v[59:60], v[59:60], off
	global_load_b64 v[61:62], v[61:62], off
	v_add_nc_u32_e32 v16, -15, v14
	s_delay_alu instid0(VALU_DEP_1) | instskip(SKIP_1) | instid1(VALU_DEP_1)
	v_lshlrev_b64 v[63:64], 3, v[16:17]
	v_add_nc_u32_e32 v16, 5, v23
	v_lshlrev_b64 v[65:66], 3, v[16:17]
	v_add_nc_u32_e32 v16, -8, v14
	s_delay_alu instid0(VALU_DEP_4) | instskip(SKIP_1) | instid1(VALU_DEP_3)
	v_add_co_u32 v63, vcc_lo, s8, v63
	v_add_co_ci_u32_e32 v64, vcc_lo, s9, v64, vcc_lo
	v_lshlrev_b64 v[67:68], 3, v[16:17]
	v_add_nc_u32_e32 v16, -1, v14
	v_add_co_u32 v65, vcc_lo, s10, v65
	v_add_co_ci_u32_e32 v66, vcc_lo, s11, v66, vcc_lo
	s_delay_alu instid0(VALU_DEP_3)
	v_lshlrev_b64 v[69:70], 3, v[16:17]
	v_add_co_u32 v67, vcc_lo, s8, v67
	v_add_co_ci_u32_e32 v68, vcc_lo, s9, v68, vcc_lo
	global_load_b64 v[63:64], v[63:64], off
	v_add_co_u32 v69, vcc_lo, s8, v69
	v_add_co_ci_u32_e32 v70, vcc_lo, s9, v70, vcc_lo
	global_load_b64 v[65:66], v[65:66], off
	s_clause 0x1
	global_load_b64 v[67:68], v[67:68], off
	global_load_b64 v[69:70], v[69:70], off
	v_lshlrev_b64 v[15:16], 3, v[14:15]
	s_delay_alu instid0(VALU_DEP_1) | instskip(NEXT) | instid1(VALU_DEP_2)
	v_add_co_u32 v71, vcc_lo, s8, v15
	v_add_co_ci_u32_e32 v72, vcc_lo, s9, v16, vcc_lo
	v_add_nc_u32_e32 v16, -14, v14
	s_delay_alu instid0(VALU_DEP_1) | instskip(SKIP_1) | instid1(VALU_DEP_1)
	v_lshlrev_b64 v[73:74], 3, v[16:17]
	v_add_nc_u32_e32 v16, 6, v23
	v_lshlrev_b64 v[22:23], 3, v[16:17]
	v_add_nc_u32_e32 v16, -7, v14
	s_delay_alu instid0(VALU_DEP_4) | instskip(SKIP_1) | instid1(VALU_DEP_3)
	v_add_co_u32 v73, vcc_lo, s8, v73
	v_add_co_ci_u32_e32 v74, vcc_lo, s9, v74, vcc_lo
	v_lshlrev_b64 v[15:16], 3, v[16:17]
	v_add_co_u32 v22, vcc_lo, s10, v22
	v_add_co_ci_u32_e32 v23, vcc_lo, s11, v23, vcc_lo
	v_add_nc_u32_e32 v14, 0x540, v14
	s_delay_alu instid0(VALU_DEP_4)
	v_add_co_u32 v15, vcc_lo, s8, v15
	v_add_co_ci_u32_e32 v16, vcc_lo, s9, v16, vcc_lo
	global_load_b64 v[73:74], v[73:74], off
	global_load_b64 v[22:23], v[22:23], off
	s_clause 0x1
	global_load_b64 v[15:16], v[15:16], off
	global_load_b64 v[71:72], v[71:72], off
	v_cmp_ge_i32_e32 vcc_lo, v12, v19
	s_or_b32 s2, vcc_lo, s2
	s_waitcnt vmcnt(23)
	v_fma_f64 v[6:7], v[25:26], v[31:32], v[6:7]
	v_fma_f64 v[10:11], v[20:21], v[31:32], v[10:11]
	v_fma_f64 v[8:9], v[29:30], v[31:32], v[8:9]
	s_waitcnt vmcnt(22)
	s_delay_alu instid0(VALU_DEP_3) | instskip(SKIP_1) | instid1(VALU_DEP_3)
	v_fma_f64 v[6:7], v[27:28], v[33:34], v[6:7]
	s_waitcnt vmcnt(21)
	v_fma_f64 v[10:11], v[35:36], v[33:34], v[10:11]
	s_waitcnt vmcnt(20)
	s_delay_alu instid0(VALU_DEP_3) | instskip(SKIP_1) | instid1(VALU_DEP_3)
	v_fma_f64 v[8:9], v[37:38], v[33:34], v[8:9]
	s_waitcnt vmcnt(18)
	v_fma_f64 v[6:7], v[39:40], v[41:42], v[6:7]
	;; [unrolled: 5-line block ×9, first 2 shown]
	s_and_not1_b32 exec_lo, exec_lo, s2
	s_cbranch_execnz .LBB66_15
; %bb.16:
	s_or_b32 exec_lo, exec_lo, s2
.LBB66_17:
	s_delay_alu instid0(SALU_CYCLE_1)
	s_or_b32 exec_lo, exec_lo, s3
.LBB66_18:
	v_mbcnt_lo_u32_b32 v18, -1, 0
	s_delay_alu instid0(VALU_DEP_1) | instskip(NEXT) | instid1(VALU_DEP_1)
	v_or_b32_e32 v12, 32, v18
	v_cmp_gt_i32_e32 vcc_lo, 32, v12
	v_cndmask_b32_e32 v12, v18, v12, vcc_lo
	s_delay_alu instid0(VALU_DEP_1)
	v_lshlrev_b32_e32 v17, 2, v12
	ds_bpermute_b32 v12, v17, v6
	ds_bpermute_b32 v13, v17, v7
	ds_bpermute_b32 v14, v17, v10
	ds_bpermute_b32 v15, v17, v11
	ds_bpermute_b32 v16, v17, v8
	ds_bpermute_b32 v17, v17, v9
	s_waitcnt lgkmcnt(4)
	v_add_f64 v[6:7], v[6:7], v[12:13]
	v_xor_b32_e32 v12, 16, v18
	s_waitcnt lgkmcnt(2)
	v_add_f64 v[10:11], v[10:11], v[14:15]
	s_waitcnt lgkmcnt(0)
	v_add_f64 v[8:9], v[8:9], v[16:17]
	v_cmp_gt_i32_e32 vcc_lo, 32, v12
	v_cndmask_b32_e32 v12, v18, v12, vcc_lo
	s_delay_alu instid0(VALU_DEP_1)
	v_lshlrev_b32_e32 v17, 2, v12
	ds_bpermute_b32 v12, v17, v6
	ds_bpermute_b32 v13, v17, v7
	ds_bpermute_b32 v14, v17, v10
	ds_bpermute_b32 v15, v17, v11
	ds_bpermute_b32 v16, v17, v8
	ds_bpermute_b32 v17, v17, v9
	s_waitcnt lgkmcnt(4)
	v_add_f64 v[6:7], v[6:7], v[12:13]
	v_xor_b32_e32 v12, 8, v18
	s_waitcnt lgkmcnt(2)
	v_add_f64 v[10:11], v[10:11], v[14:15]
	s_waitcnt lgkmcnt(0)
	v_add_f64 v[8:9], v[8:9], v[16:17]
	v_cmp_gt_i32_e32 vcc_lo, 32, v12
	v_cndmask_b32_e32 v12, v18, v12, vcc_lo
	s_delay_alu instid0(VALU_DEP_1)
	v_lshlrev_b32_e32 v17, 2, v12
	ds_bpermute_b32 v12, v17, v6
	ds_bpermute_b32 v13, v17, v7
	ds_bpermute_b32 v14, v17, v10
	ds_bpermute_b32 v15, v17, v11
	ds_bpermute_b32 v16, v17, v8
	ds_bpermute_b32 v17, v17, v9
	s_waitcnt lgkmcnt(4)
	v_add_f64 v[6:7], v[6:7], v[12:13]
	v_xor_b32_e32 v12, 4, v18
	s_waitcnt lgkmcnt(2)
	v_add_f64 v[10:11], v[10:11], v[14:15]
	s_waitcnt lgkmcnt(0)
	v_add_f64 v[8:9], v[8:9], v[16:17]
	v_cmp_gt_i32_e32 vcc_lo, 32, v12
	v_cndmask_b32_e32 v12, v18, v12, vcc_lo
	s_delay_alu instid0(VALU_DEP_1)
	v_lshlrev_b32_e32 v17, 2, v12
	ds_bpermute_b32 v12, v17, v6
	ds_bpermute_b32 v13, v17, v7
	;; [unrolled: 1-line block ×6, first 2 shown]
	s_waitcnt lgkmcnt(4)
	v_add_f64 v[6:7], v[6:7], v[12:13]
	s_waitcnt lgkmcnt(2)
	v_add_f64 v[10:11], v[10:11], v[14:15]
	s_waitcnt lgkmcnt(0)
	v_add_f64 v[12:13], v[8:9], v[16:17]
	v_xor_b32_e32 v8, 2, v18
	s_delay_alu instid0(VALU_DEP_1) | instskip(SKIP_1) | instid1(VALU_DEP_1)
	v_cmp_gt_i32_e32 vcc_lo, 32, v8
	v_cndmask_b32_e32 v8, v18, v8, vcc_lo
	v_lshlrev_b32_e32 v17, 2, v8
	ds_bpermute_b32 v8, v17, v6
	ds_bpermute_b32 v9, v17, v7
	ds_bpermute_b32 v14, v17, v10
	ds_bpermute_b32 v15, v17, v11
	ds_bpermute_b32 v16, v17, v12
	ds_bpermute_b32 v17, v17, v13
	s_waitcnt lgkmcnt(4)
	v_add_f64 v[8:9], v[6:7], v[8:9]
	s_waitcnt lgkmcnt(2)
	v_add_f64 v[6:7], v[10:11], v[14:15]
	v_xor_b32_e32 v10, 1, v18
	s_waitcnt lgkmcnt(0)
	v_add_f64 v[12:13], v[12:13], v[16:17]
	s_delay_alu instid0(VALU_DEP_2) | instskip(SKIP_2) | instid1(VALU_DEP_2)
	v_cmp_gt_i32_e32 vcc_lo, 32, v10
	v_cndmask_b32_e32 v10, v18, v10, vcc_lo
	v_cmp_eq_u32_e32 vcc_lo, 63, v0
	v_lshlrev_b32_e32 v15, 2, v10
	ds_bpermute_b32 v10, v15, v8
	ds_bpermute_b32 v11, v15, v9
	;; [unrolled: 1-line block ×6, first 2 shown]
	s_and_b32 exec_lo, exec_lo, vcc_lo
	s_cbranch_execz .LBB66_23
; %bb.19:
	s_waitcnt lgkmcnt(4)
	v_add_f64 v[10:11], v[8:9], v[10:11]
	s_waitcnt lgkmcnt(2)
	v_add_f64 v[8:9], v[6:7], v[16:17]
	;; [unrolled: 2-line block ×3, first 2 shown]
	s_load_b64 s[0:1], s[0:1], 0x38
	s_mov_b32 s2, exec_lo
	v_cmpx_eq_f64_e32 0, v[3:4]
	s_xor_b32 s2, exec_lo, s2
	s_cbranch_execz .LBB66_21
; %bb.20:
	s_delay_alu instid0(VALU_DEP_4) | instskip(NEXT) | instid1(VALU_DEP_4)
	v_mul_f64 v[10:11], v[1:2], v[10:11]
	v_mul_f64 v[12:13], v[1:2], v[8:9]
	s_delay_alu instid0(VALU_DEP_4) | instskip(SKIP_1) | instid1(VALU_DEP_1)
	v_mul_f64 v[0:1], v[1:2], v[6:7]
	v_lshl_add_u32 v2, v5, 1, v5
                                        ; implicit-def: $vgpr5
                                        ; implicit-def: $vgpr8_vgpr9
                                        ; implicit-def: $vgpr6_vgpr7
	v_ashrrev_i32_e32 v3, 31, v2
	s_delay_alu instid0(VALU_DEP_1) | instskip(SKIP_1) | instid1(VALU_DEP_1)
	v_lshlrev_b64 v[2:3], 3, v[2:3]
	s_waitcnt lgkmcnt(0)
	v_add_co_u32 v2, vcc_lo, s0, v2
	s_delay_alu instid0(VALU_DEP_2)
	v_add_co_ci_u32_e32 v3, vcc_lo, s1, v3, vcc_lo
	s_clause 0x1
	global_store_b128 v[2:3], v[10:13], off
	global_store_b64 v[2:3], v[0:1], off offset:16
                                        ; implicit-def: $vgpr1_vgpr2
                                        ; implicit-def: $vgpr10_vgpr11
                                        ; implicit-def: $vgpr3_vgpr4
.LBB66_21:
	s_and_not1_saveexec_b32 s2, s2
	s_cbranch_execz .LBB66_23
; %bb.22:
	v_lshl_add_u32 v12, v5, 1, v5
	v_mul_f64 v[10:11], v[1:2], v[10:11]
	v_mul_f64 v[8:9], v[1:2], v[8:9]
	;; [unrolled: 1-line block ×3, first 2 shown]
	s_delay_alu instid0(VALU_DEP_4) | instskip(NEXT) | instid1(VALU_DEP_1)
	v_ashrrev_i32_e32 v13, 31, v12
	v_lshlrev_b64 v[12:13], 3, v[12:13]
	s_waitcnt lgkmcnt(0)
	s_delay_alu instid0(VALU_DEP_1) | instskip(NEXT) | instid1(VALU_DEP_2)
	v_add_co_u32 v16, vcc_lo, s0, v12
	v_add_co_ci_u32_e32 v17, vcc_lo, s1, v13, vcc_lo
	s_clause 0x1
	global_load_b128 v[12:15], v[16:17], off
	global_load_b64 v[18:19], v[16:17], off offset:16
	s_waitcnt vmcnt(1)
	v_fma_f64 v[5:6], v[3:4], v[12:13], v[10:11]
	v_fma_f64 v[7:8], v[3:4], v[14:15], v[8:9]
	s_waitcnt vmcnt(0)
	v_fma_f64 v[0:1], v[3:4], v[18:19], v[0:1]
	s_clause 0x1
	global_store_b128 v[16:17], v[5:8], off
	global_store_b64 v[16:17], v[0:1], off offset:16
.LBB66_23:
	s_nop 0
	s_sendmsg sendmsg(MSG_DEALLOC_VGPRS)
	s_endpgm
	.section	.rodata,"a",@progbits
	.p2align	6, 0x0
	.amdhsa_kernel _ZN9rocsparseL19gebsrmvn_3xn_kernelILj128ELj7ELj64EdEEvi20rocsparse_direction_NS_24const_host_device_scalarIT2_EEPKiS6_PKS3_S8_S4_PS3_21rocsparse_index_base_b
		.amdhsa_group_segment_fixed_size 0
		.amdhsa_private_segment_fixed_size 0
		.amdhsa_kernarg_size 72
		.amdhsa_user_sgpr_count 15
		.amdhsa_user_sgpr_dispatch_ptr 0
		.amdhsa_user_sgpr_queue_ptr 0
		.amdhsa_user_sgpr_kernarg_segment_ptr 1
		.amdhsa_user_sgpr_dispatch_id 0
		.amdhsa_user_sgpr_private_segment_size 0
		.amdhsa_wavefront_size32 1
		.amdhsa_uses_dynamic_stack 0
		.amdhsa_enable_private_segment 0
		.amdhsa_system_sgpr_workgroup_id_x 1
		.amdhsa_system_sgpr_workgroup_id_y 0
		.amdhsa_system_sgpr_workgroup_id_z 0
		.amdhsa_system_sgpr_workgroup_info 0
		.amdhsa_system_vgpr_workitem_id 0
		.amdhsa_next_free_vgpr 75
		.amdhsa_next_free_sgpr 16
		.amdhsa_reserve_vcc 1
		.amdhsa_float_round_mode_32 0
		.amdhsa_float_round_mode_16_64 0
		.amdhsa_float_denorm_mode_32 3
		.amdhsa_float_denorm_mode_16_64 3
		.amdhsa_dx10_clamp 1
		.amdhsa_ieee_mode 1
		.amdhsa_fp16_overflow 0
		.amdhsa_workgroup_processor_mode 1
		.amdhsa_memory_ordered 1
		.amdhsa_forward_progress 0
		.amdhsa_shared_vgpr_count 0
		.amdhsa_exception_fp_ieee_invalid_op 0
		.amdhsa_exception_fp_denorm_src 0
		.amdhsa_exception_fp_ieee_div_zero 0
		.amdhsa_exception_fp_ieee_overflow 0
		.amdhsa_exception_fp_ieee_underflow 0
		.amdhsa_exception_fp_ieee_inexact 0
		.amdhsa_exception_int_div_zero 0
	.end_amdhsa_kernel
	.section	.text._ZN9rocsparseL19gebsrmvn_3xn_kernelILj128ELj7ELj64EdEEvi20rocsparse_direction_NS_24const_host_device_scalarIT2_EEPKiS6_PKS3_S8_S4_PS3_21rocsparse_index_base_b,"axG",@progbits,_ZN9rocsparseL19gebsrmvn_3xn_kernelILj128ELj7ELj64EdEEvi20rocsparse_direction_NS_24const_host_device_scalarIT2_EEPKiS6_PKS3_S8_S4_PS3_21rocsparse_index_base_b,comdat
.Lfunc_end66:
	.size	_ZN9rocsparseL19gebsrmvn_3xn_kernelILj128ELj7ELj64EdEEvi20rocsparse_direction_NS_24const_host_device_scalarIT2_EEPKiS6_PKS3_S8_S4_PS3_21rocsparse_index_base_b, .Lfunc_end66-_ZN9rocsparseL19gebsrmvn_3xn_kernelILj128ELj7ELj64EdEEvi20rocsparse_direction_NS_24const_host_device_scalarIT2_EEPKiS6_PKS3_S8_S4_PS3_21rocsparse_index_base_b
                                        ; -- End function
	.section	.AMDGPU.csdata,"",@progbits
; Kernel info:
; codeLenInByte = 4168
; NumSgprs: 18
; NumVgprs: 75
; ScratchSize: 0
; MemoryBound: 0
; FloatMode: 240
; IeeeMode: 1
; LDSByteSize: 0 bytes/workgroup (compile time only)
; SGPRBlocks: 2
; VGPRBlocks: 9
; NumSGPRsForWavesPerEU: 18
; NumVGPRsForWavesPerEU: 75
; Occupancy: 16
; WaveLimiterHint : 1
; COMPUTE_PGM_RSRC2:SCRATCH_EN: 0
; COMPUTE_PGM_RSRC2:USER_SGPR: 15
; COMPUTE_PGM_RSRC2:TRAP_HANDLER: 0
; COMPUTE_PGM_RSRC2:TGID_X_EN: 1
; COMPUTE_PGM_RSRC2:TGID_Y_EN: 0
; COMPUTE_PGM_RSRC2:TGID_Z_EN: 0
; COMPUTE_PGM_RSRC2:TIDIG_COMP_CNT: 0
	.section	.text._ZN9rocsparseL19gebsrmvn_3xn_kernelILj128ELj8ELj4EdEEvi20rocsparse_direction_NS_24const_host_device_scalarIT2_EEPKiS6_PKS3_S8_S4_PS3_21rocsparse_index_base_b,"axG",@progbits,_ZN9rocsparseL19gebsrmvn_3xn_kernelILj128ELj8ELj4EdEEvi20rocsparse_direction_NS_24const_host_device_scalarIT2_EEPKiS6_PKS3_S8_S4_PS3_21rocsparse_index_base_b,comdat
	.globl	_ZN9rocsparseL19gebsrmvn_3xn_kernelILj128ELj8ELj4EdEEvi20rocsparse_direction_NS_24const_host_device_scalarIT2_EEPKiS6_PKS3_S8_S4_PS3_21rocsparse_index_base_b ; -- Begin function _ZN9rocsparseL19gebsrmvn_3xn_kernelILj128ELj8ELj4EdEEvi20rocsparse_direction_NS_24const_host_device_scalarIT2_EEPKiS6_PKS3_S8_S4_PS3_21rocsparse_index_base_b
	.p2align	8
	.type	_ZN9rocsparseL19gebsrmvn_3xn_kernelILj128ELj8ELj4EdEEvi20rocsparse_direction_NS_24const_host_device_scalarIT2_EEPKiS6_PKS3_S8_S4_PS3_21rocsparse_index_base_b,@function
_ZN9rocsparseL19gebsrmvn_3xn_kernelILj128ELj8ELj4EdEEvi20rocsparse_direction_NS_24const_host_device_scalarIT2_EEPKiS6_PKS3_S8_S4_PS3_21rocsparse_index_base_b: ; @_ZN9rocsparseL19gebsrmvn_3xn_kernelILj128ELj8ELj4EdEEvi20rocsparse_direction_NS_24const_host_device_scalarIT2_EEPKiS6_PKS3_S8_S4_PS3_21rocsparse_index_base_b
; %bb.0:
	s_clause 0x2
	s_load_b64 s[12:13], s[0:1], 0x40
	s_load_b64 s[4:5], s[0:1], 0x8
	;; [unrolled: 1-line block ×3, first 2 shown]
	s_waitcnt lgkmcnt(0)
	s_bitcmp1_b32 s13, 0
	v_dual_mov_b32 v1, s4 :: v_dual_mov_b32 v2, s5
	s_cselect_b32 s6, -1, 0
	s_delay_alu instid0(SALU_CYCLE_1)
	s_and_b32 vcc_lo, exec_lo, s6
	s_xor_b32 s6, s6, -1
	s_cbranch_vccnz .LBB67_2
; %bb.1:
	v_dual_mov_b32 v1, s4 :: v_dual_mov_b32 v2, s5
	flat_load_b64 v[1:2], v[1:2]
.LBB67_2:
	v_dual_mov_b32 v4, s3 :: v_dual_mov_b32 v3, s2
	s_and_not1_b32 vcc_lo, exec_lo, s6
	s_cbranch_vccnz .LBB67_4
; %bb.3:
	v_dual_mov_b32 v4, s3 :: v_dual_mov_b32 v3, s2
	flat_load_b64 v[3:4], v[3:4]
.LBB67_4:
	s_waitcnt vmcnt(0) lgkmcnt(0)
	v_cmp_neq_f64_e32 vcc_lo, 0, v[1:2]
	v_cmp_neq_f64_e64 s2, 1.0, v[3:4]
	s_delay_alu instid0(VALU_DEP_1) | instskip(NEXT) | instid1(SALU_CYCLE_1)
	s_or_b32 s2, vcc_lo, s2
	s_and_saveexec_b32 s3, s2
	s_cbranch_execz .LBB67_23
; %bb.5:
	s_load_b64 s[2:3], s[0:1], 0x0
	v_lshrrev_b32_e32 v5, 2, v0
	s_delay_alu instid0(VALU_DEP_1) | instskip(SKIP_1) | instid1(VALU_DEP_1)
	v_lshl_or_b32 v5, s15, 5, v5
	s_waitcnt lgkmcnt(0)
	v_cmp_gt_i32_e32 vcc_lo, s2, v5
	s_and_b32 exec_lo, exec_lo, vcc_lo
	s_cbranch_execz .LBB67_23
; %bb.6:
	s_load_b256 s[4:11], s[0:1], 0x10
	v_ashrrev_i32_e32 v6, 31, v5
	v_and_b32_e32 v0, 3, v0
	s_cmp_lg_u32 s3, 0
	s_delay_alu instid0(VALU_DEP_2) | instskip(SKIP_1) | instid1(VALU_DEP_1)
	v_lshlrev_b64 v[6:7], 2, v[5:6]
	s_waitcnt lgkmcnt(0)
	v_add_co_u32 v6, vcc_lo, s4, v6
	s_delay_alu instid0(VALU_DEP_2) | instskip(SKIP_4) | instid1(VALU_DEP_2)
	v_add_co_ci_u32_e32 v7, vcc_lo, s5, v7, vcc_lo
	global_load_b64 v[6:7], v[6:7], off
	s_waitcnt vmcnt(0)
	v_subrev_nc_u32_e32 v6, s12, v6
	v_subrev_nc_u32_e32 v19, s12, v7
	v_add_nc_u32_e32 v6, v6, v0
	s_delay_alu instid0(VALU_DEP_1)
	v_cmp_lt_i32_e64 s2, v6, v19
	s_cbranch_scc0 .LBB67_12
; %bb.7:
	v_mov_b32_e32 v8, 0
	v_mov_b32_e32 v9, 0
	s_delay_alu instid0(VALU_DEP_1)
	v_dual_mov_b32 v11, v9 :: v_dual_mov_b32 v10, v8
	v_dual_mov_b32 v13, v9 :: v_dual_mov_b32 v12, v8
	s_and_saveexec_b32 s3, s2
	s_cbranch_execz .LBB67_11
; %bb.8:
	v_dual_mov_b32 v8, 0 :: v_dual_mov_b32 v17, v6
	v_dual_mov_b32 v9, 0 :: v_dual_mov_b32 v16, 0
	v_mad_u64_u32 v[14:15], null, v6, 24, 23
	s_mov_b32 s4, 0
	s_delay_alu instid0(VALU_DEP_2)
	v_dual_mov_b32 v11, v9 :: v_dual_mov_b32 v10, v8
	v_dual_mov_b32 v13, v9 :: v_dual_mov_b32 v12, v8
.LBB67_9:                               ; =>This Inner Loop Header: Depth=1
	v_ashrrev_i32_e32 v18, 31, v17
	s_delay_alu instid0(VALU_DEP_4) | instskip(NEXT) | instid1(VALU_DEP_2)
	v_subrev_nc_u32_e32 v15, 23, v14
	v_lshlrev_b64 v[20:21], 2, v[17:18]
	s_delay_alu instid0(VALU_DEP_2) | instskip(SKIP_2) | instid1(VALU_DEP_4)
	v_lshlrev_b64 v[22:23], 3, v[15:16]
	v_add_nc_u32_e32 v15, -15, v14
	v_add_nc_u32_e32 v17, 4, v17
	v_add_co_u32 v20, vcc_lo, s6, v20
	v_add_co_ci_u32_e32 v21, vcc_lo, s7, v21, vcc_lo
	v_add_co_u32 v40, vcc_lo, s8, v22
	v_add_co_ci_u32_e32 v41, vcc_lo, s9, v23, vcc_lo
	global_load_b32 v7, v[20:21], off
	v_lshlrev_b64 v[44:45], 3, v[15:16]
	v_add_nc_u32_e32 v15, -14, v14
	s_waitcnt vmcnt(0)
	v_subrev_nc_u32_e32 v7, s12, v7
	s_delay_alu instid0(VALU_DEP_1) | instskip(NEXT) | instid1(VALU_DEP_1)
	v_dual_mov_b32 v21, v16 :: v_dual_lshlrev_b32 v20, 3, v7
	v_lshlrev_b64 v[20:21], 3, v[20:21]
	s_delay_alu instid0(VALU_DEP_1) | instskip(NEXT) | instid1(VALU_DEP_2)
	v_add_co_u32 v48, vcc_lo, s10, v20
	v_add_co_ci_u32_e32 v49, vcc_lo, s11, v21, vcc_lo
	s_clause 0x1
	global_load_b128 v[20:23], v[40:41], off offset:16
	global_load_b128 v[24:27], v[40:41], off
	s_clause 0x1
	global_load_b128 v[28:31], v[48:49], off
	global_load_b128 v[32:35], v[48:49], off offset:16
	s_clause 0x1
	global_load_b128 v[36:39], v[40:41], off offset:32
	global_load_b128 v[40:43], v[40:41], off offset:48
	v_add_co_u32 v44, vcc_lo, s8, v44
	v_add_co_ci_u32_e32 v45, vcc_lo, s9, v45, vcc_lo
	global_load_b64 v[52:53], v[44:45], off
	v_lshlrev_b64 v[44:45], 3, v[15:16]
	v_add_nc_u32_e32 v15, -13, v14
	s_delay_alu instid0(VALU_DEP_1) | instskip(SKIP_1) | instid1(VALU_DEP_4)
	v_lshlrev_b64 v[46:47], 3, v[15:16]
	v_add_nc_u32_e32 v15, -12, v14
	v_add_co_u32 v44, vcc_lo, s8, v44
	v_add_co_ci_u32_e32 v45, vcc_lo, s9, v45, vcc_lo
	s_delay_alu instid0(VALU_DEP_3) | instskip(SKIP_3) | instid1(VALU_DEP_4)
	v_lshlrev_b64 v[50:51], 3, v[15:16]
	v_add_co_u32 v46, vcc_lo, s8, v46
	v_add_co_ci_u32_e32 v47, vcc_lo, s9, v47, vcc_lo
	v_add_nc_u32_e32 v15, -11, v14
	v_add_co_u32 v50, vcc_lo, s8, v50
	v_add_co_ci_u32_e32 v51, vcc_lo, s9, v51, vcc_lo
	s_clause 0x2
	global_load_b64 v[54:55], v[44:45], off
	global_load_b64 v[56:57], v[46:47], off
	;; [unrolled: 1-line block ×3, first 2 shown]
	v_lshlrev_b64 v[44:45], 3, v[15:16]
	v_add_nc_u32_e32 v15, -10, v14
	s_delay_alu instid0(VALU_DEP_1) | instskip(SKIP_1) | instid1(VALU_DEP_4)
	v_lshlrev_b64 v[46:47], 3, v[15:16]
	v_add_nc_u32_e32 v15, -9, v14
	v_add_co_u32 v44, vcc_lo, s8, v44
	v_add_co_ci_u32_e32 v45, vcc_lo, s9, v45, vcc_lo
	s_delay_alu instid0(VALU_DEP_3)
	v_lshlrev_b64 v[50:51], 3, v[15:16]
	v_add_nc_u32_e32 v15, -8, v14
	global_load_b64 v[60:61], v[44:45], off
	v_add_co_u32 v44, vcc_lo, s8, v46
	v_add_co_ci_u32_e32 v45, vcc_lo, s9, v47, vcc_lo
	v_add_co_u32 v46, vcc_lo, s8, v50
	v_add_co_ci_u32_e32 v47, vcc_lo, s9, v51, vcc_lo
	s_clause 0x1
	global_load_b64 v[62:63], v[44:45], off
	global_load_b64 v[64:65], v[46:47], off
	s_clause 0x1
	global_load_b128 v[44:47], v[48:49], off offset:32
	global_load_b128 v[48:51], v[48:49], off offset:48
	v_lshlrev_b64 v[66:67], 3, v[15:16]
	v_add_nc_u32_e32 v15, -7, v14
	s_delay_alu instid0(VALU_DEP_1) | instskip(SKIP_1) | instid1(VALU_DEP_4)
	v_lshlrev_b64 v[68:69], 3, v[15:16]
	v_add_nc_u32_e32 v15, -6, v14
	v_add_co_u32 v66, vcc_lo, s8, v66
	v_add_co_ci_u32_e32 v67, vcc_lo, s9, v67, vcc_lo
	s_delay_alu instid0(VALU_DEP_3) | instskip(SKIP_3) | instid1(VALU_DEP_4)
	v_lshlrev_b64 v[70:71], 3, v[15:16]
	v_add_co_u32 v68, vcc_lo, s8, v68
	v_add_co_ci_u32_e32 v69, vcc_lo, s9, v69, vcc_lo
	v_add_nc_u32_e32 v15, -5, v14
	v_add_co_u32 v70, vcc_lo, s8, v70
	v_add_co_ci_u32_e32 v71, vcc_lo, s9, v71, vcc_lo
	s_clause 0x2
	global_load_b64 v[66:67], v[66:67], off
	global_load_b64 v[68:69], v[68:69], off
	;; [unrolled: 1-line block ×3, first 2 shown]
	v_lshlrev_b64 v[72:73], 3, v[15:16]
	v_add_nc_u32_e32 v15, -4, v14
	s_delay_alu instid0(VALU_DEP_1) | instskip(SKIP_1) | instid1(VALU_DEP_4)
	v_lshlrev_b64 v[74:75], 3, v[15:16]
	v_add_nc_u32_e32 v15, -3, v14
	v_add_co_u32 v72, vcc_lo, s8, v72
	v_add_co_ci_u32_e32 v73, vcc_lo, s9, v73, vcc_lo
	s_delay_alu instid0(VALU_DEP_3) | instskip(SKIP_3) | instid1(VALU_DEP_4)
	v_lshlrev_b64 v[76:77], 3, v[15:16]
	v_add_co_u32 v74, vcc_lo, s8, v74
	v_add_co_ci_u32_e32 v75, vcc_lo, s9, v75, vcc_lo
	v_mov_b32_e32 v15, v16
	v_add_co_u32 v76, vcc_lo, s8, v76
	v_add_co_ci_u32_e32 v77, vcc_lo, s9, v77, vcc_lo
	s_clause 0x2
	global_load_b64 v[72:73], v[72:73], off
	global_load_b64 v[74:75], v[74:75], off
	;; [unrolled: 1-line block ×3, first 2 shown]
	v_lshlrev_b64 v[78:79], 3, v[14:15]
	v_add_nc_u32_e32 v15, -2, v14
	s_delay_alu instid0(VALU_DEP_1) | instskip(SKIP_4) | instid1(VALU_DEP_4)
	v_lshlrev_b64 v[80:81], 3, v[15:16]
	v_add_nc_u32_e32 v15, -1, v14
	v_add_nc_u32_e32 v14, 0x60, v14
	v_add_co_u32 v78, vcc_lo, s8, v78
	v_add_co_ci_u32_e32 v79, vcc_lo, s9, v79, vcc_lo
	v_lshlrev_b64 v[82:83], 3, v[15:16]
	v_add_co_u32 v80, vcc_lo, s8, v80
	v_add_co_ci_u32_e32 v81, vcc_lo, s9, v81, vcc_lo
	s_delay_alu instid0(VALU_DEP_3) | instskip(NEXT) | instid1(VALU_DEP_4)
	v_add_co_u32 v82, vcc_lo, s8, v82
	v_add_co_ci_u32_e32 v83, vcc_lo, s9, v83, vcc_lo
	s_clause 0x2
	global_load_b64 v[80:81], v[80:81], off
	global_load_b64 v[82:83], v[82:83], off
	;; [unrolled: 1-line block ×3, first 2 shown]
	v_cmp_ge_i32_e32 vcc_lo, v17, v19
	s_or_b32 s4, vcc_lo, s4
	s_waitcnt vmcnt(21)
	v_fma_f64 v[7:8], v[24:25], v[28:29], v[8:9]
	v_fma_f64 v[12:13], v[26:27], v[28:29], v[12:13]
	;; [unrolled: 1-line block ×3, first 2 shown]
	s_delay_alu instid0(VALU_DEP_3) | instskip(SKIP_1) | instid1(VALU_DEP_3)
	v_fma_f64 v[7:8], v[22:23], v[30:31], v[7:8]
	s_waitcnt vmcnt(19)
	v_fma_f64 v[11:12], v[36:37], v[30:31], v[12:13]
	s_delay_alu instid0(VALU_DEP_3) | instskip(SKIP_1) | instid1(VALU_DEP_3)
	v_fma_f64 v[9:10], v[38:39], v[30:31], v[9:10]
	s_waitcnt vmcnt(18)
	v_fma_f64 v[7:8], v[40:41], v[32:33], v[7:8]
	;; [unrolled: 4-line block ×3, first 2 shown]
	s_waitcnt vmcnt(16)
	s_delay_alu instid0(VALU_DEP_3) | instskip(SKIP_1) | instid1(VALU_DEP_3)
	v_fma_f64 v[7:8], v[54:55], v[34:35], v[7:8]
	s_waitcnt vmcnt(15)
	v_fma_f64 v[11:12], v[56:57], v[34:35], v[11:12]
	s_waitcnt vmcnt(14)
	s_delay_alu instid0(VALU_DEP_3) | instskip(SKIP_1) | instid1(VALU_DEP_3)
	v_fma_f64 v[9:10], v[58:59], v[34:35], v[9:10]
	s_waitcnt vmcnt(10)
	v_fma_f64 v[7:8], v[60:61], v[44:45], v[7:8]
	s_delay_alu instid0(VALU_DEP_3) | instskip(NEXT) | instid1(VALU_DEP_3)
	v_fma_f64 v[11:12], v[62:63], v[44:45], v[11:12]
	v_fma_f64 v[9:10], v[64:65], v[44:45], v[9:10]
	s_waitcnt vmcnt(8)
	s_delay_alu instid0(VALU_DEP_3) | instskip(SKIP_1) | instid1(VALU_DEP_3)
	v_fma_f64 v[7:8], v[66:67], v[46:47], v[7:8]
	s_waitcnt vmcnt(7)
	v_fma_f64 v[11:12], v[68:69], v[46:47], v[11:12]
	s_waitcnt vmcnt(6)
	s_delay_alu instid0(VALU_DEP_3) | instskip(SKIP_1) | instid1(VALU_DEP_3)
	v_fma_f64 v[9:10], v[70:71], v[46:47], v[9:10]
	s_waitcnt vmcnt(5)
	;; [unrolled: 5-line block ×4, first 2 shown]
	v_fma_f64 v[12:13], v[82:83], v[50:51], v[11:12]
	s_waitcnt vmcnt(0)
	s_delay_alu instid0(VALU_DEP_3)
	v_fma_f64 v[10:11], v[78:79], v[50:51], v[20:21]
	s_and_not1_b32 exec_lo, exec_lo, s4
	s_cbranch_execnz .LBB67_9
; %bb.10:
	s_or_b32 exec_lo, exec_lo, s4
.LBB67_11:
	s_delay_alu instid0(SALU_CYCLE_1)
	s_or_b32 exec_lo, exec_lo, s3
	s_cbranch_execz .LBB67_13
	s_branch .LBB67_18
.LBB67_12:
                                        ; implicit-def: $vgpr8_vgpr9
                                        ; implicit-def: $vgpr10_vgpr11
                                        ; implicit-def: $vgpr12_vgpr13
.LBB67_13:
	v_mov_b32_e32 v8, 0
	v_mov_b32_e32 v9, 0
	s_delay_alu instid0(VALU_DEP_1)
	v_dual_mov_b32 v11, v9 :: v_dual_mov_b32 v10, v8
	v_dual_mov_b32 v13, v9 :: v_dual_mov_b32 v12, v8
	s_and_saveexec_b32 s3, s2
	s_cbranch_execz .LBB67_17
; %bb.14:
	v_mov_b32_e32 v8, 0
	v_dual_mov_b32 v9, 0 :: v_dual_mov_b32 v16, 0
	v_mad_u64_u32 v[14:15], null, v6, 24, 23
	s_mov_b32 s2, 0
	s_delay_alu instid0(VALU_DEP_2)
	v_dual_mov_b32 v11, v9 :: v_dual_mov_b32 v10, v8
	v_dual_mov_b32 v13, v9 :: v_dual_mov_b32 v12, v8
.LBB67_15:                              ; =>This Inner Loop Header: Depth=1
	v_ashrrev_i32_e32 v7, 31, v6
	s_delay_alu instid0(VALU_DEP_4) | instskip(SKIP_1) | instid1(VALU_DEP_3)
	v_subrev_nc_u32_e32 v15, 23, v14
	v_dual_mov_b32 v29, v16 :: v_dual_add_nc_u32 v20, -7, v14
	v_lshlrev_b64 v[17:18], 2, v[6:7]
	s_delay_alu instid0(VALU_DEP_3) | instskip(SKIP_2) | instid1(VALU_DEP_4)
	v_lshlrev_b64 v[22:23], 3, v[15:16]
	v_add_nc_u32_e32 v15, -14, v14
	v_add_nc_u32_e32 v6, 4, v6
	v_add_co_u32 v17, vcc_lo, s6, v17
	v_add_co_ci_u32_e32 v18, vcc_lo, s7, v18, vcc_lo
	v_add_co_u32 v40, vcc_lo, s8, v22
	v_add_co_ci_u32_e32 v41, vcc_lo, s9, v23, vcc_lo
	global_load_b32 v7, v[17:18], off
	v_dual_mov_b32 v18, v16 :: v_dual_add_nc_u32 v17, -15, v14
	v_lshlrev_b64 v[36:37], 3, v[15:16]
	v_add_nc_u32_e32 v15, -6, v14
	s_delay_alu instid0(VALU_DEP_3) | instskip(NEXT) | instid1(VALU_DEP_2)
	v_lshlrev_b64 v[17:18], 3, v[17:18]
	v_lshlrev_b64 v[38:39], 3, v[15:16]
	v_add_nc_u32_e32 v15, -13, v14
	s_delay_alu instid0(VALU_DEP_3) | instskip(NEXT) | instid1(VALU_DEP_4)
	v_add_co_u32 v17, vcc_lo, s8, v17
	v_add_co_ci_u32_e32 v18, vcc_lo, s9, v18, vcc_lo
	s_waitcnt vmcnt(0)
	v_subrev_nc_u32_e32 v7, s12, v7
	s_delay_alu instid0(VALU_DEP_1) | instskip(NEXT) | instid1(VALU_DEP_1)
	v_dual_mov_b32 v21, v16 :: v_dual_lshlrev_b32 v28, 3, v7
	v_lshlrev_b64 v[20:21], 3, v[20:21]
	s_delay_alu instid0(VALU_DEP_2) | instskip(NEXT) | instid1(VALU_DEP_2)
	v_lshlrev_b64 v[28:29], 3, v[28:29]
	v_add_co_u32 v30, vcc_lo, s8, v20
	s_delay_alu instid0(VALU_DEP_3) | instskip(NEXT) | instid1(VALU_DEP_3)
	v_add_co_ci_u32_e32 v31, vcc_lo, s9, v21, vcc_lo
	v_add_co_u32 v48, vcc_lo, s10, v28
	s_delay_alu instid0(VALU_DEP_4)
	v_add_co_ci_u32_e32 v49, vcc_lo, s11, v29, vcc_lo
	s_clause 0x3
	global_load_b128 v[20:23], v[40:41], off offset:16
	global_load_b128 v[24:27], v[40:41], off
	global_load_b64 v[17:18], v[17:18], off
	global_load_b64 v[52:53], v[30:31], off
	s_clause 0x1
	global_load_b128 v[28:31], v[48:49], off
	global_load_b128 v[32:35], v[48:49], off offset:16
	v_add_co_u32 v36, vcc_lo, s8, v36
	v_add_co_ci_u32_e32 v37, vcc_lo, s9, v37, vcc_lo
	v_add_co_u32 v38, vcc_lo, s8, v38
	v_add_co_ci_u32_e32 v39, vcc_lo, s9, v39, vcc_lo
	s_clause 0x1
	global_load_b64 v[54:55], v[36:37], off
	global_load_b64 v[56:57], v[38:39], off
	v_lshlrev_b64 v[36:37], 3, v[15:16]
	v_add_nc_u32_e32 v15, -5, v14
	s_delay_alu instid0(VALU_DEP_1) | instskip(NEXT) | instid1(VALU_DEP_3)
	v_lshlrev_b64 v[38:39], 3, v[15:16]
	v_add_co_u32 v36, vcc_lo, s8, v36
	s_delay_alu instid0(VALU_DEP_4) | instskip(SKIP_1) | instid1(VALU_DEP_4)
	v_add_co_ci_u32_e32 v37, vcc_lo, s9, v37, vcc_lo
	v_add_nc_u32_e32 v15, -12, v14
	v_add_co_u32 v38, vcc_lo, s8, v38
	v_add_co_ci_u32_e32 v39, vcc_lo, s9, v39, vcc_lo
	s_clause 0x1
	global_load_b64 v[58:59], v[36:37], off
	global_load_b64 v[60:61], v[38:39], off
	v_lshlrev_b64 v[36:37], 3, v[15:16]
	v_add_nc_u32_e32 v15, -4, v14
	s_delay_alu instid0(VALU_DEP_1) | instskip(NEXT) | instid1(VALU_DEP_3)
	v_lshlrev_b64 v[38:39], 3, v[15:16]
	v_add_co_u32 v36, vcc_lo, s8, v36
	s_delay_alu instid0(VALU_DEP_4) | instskip(SKIP_1) | instid1(VALU_DEP_4)
	v_add_co_ci_u32_e32 v37, vcc_lo, s9, v37, vcc_lo
	v_add_nc_u32_e32 v15, -11, v14
	v_add_co_u32 v38, vcc_lo, s8, v38
	v_add_co_ci_u32_e32 v39, vcc_lo, s9, v39, vcc_lo
	s_clause 0x3
	global_load_b64 v[62:63], v[36:37], off
	global_load_b64 v[64:65], v[38:39], off
	global_load_b128 v[36:39], v[40:41], off offset:48
	global_load_b128 v[40:43], v[40:41], off offset:32
	v_lshlrev_b64 v[44:45], 3, v[15:16]
	v_add_nc_u32_e32 v15, -3, v14
	s_delay_alu instid0(VALU_DEP_1) | instskip(NEXT) | instid1(VALU_DEP_3)
	v_lshlrev_b64 v[46:47], 3, v[15:16]
	v_add_co_u32 v44, vcc_lo, s8, v44
	s_delay_alu instid0(VALU_DEP_4) | instskip(SKIP_1) | instid1(VALU_DEP_4)
	v_add_co_ci_u32_e32 v45, vcc_lo, s9, v45, vcc_lo
	v_add_nc_u32_e32 v15, -10, v14
	v_add_co_u32 v46, vcc_lo, s8, v46
	v_add_co_ci_u32_e32 v47, vcc_lo, s9, v47, vcc_lo
	s_clause 0x1
	global_load_b64 v[66:67], v[44:45], off
	global_load_b64 v[68:69], v[46:47], off
	s_clause 0x1
	global_load_b128 v[44:47], v[48:49], off offset:32
	global_load_b128 v[48:51], v[48:49], off offset:48
	v_lshlrev_b64 v[70:71], 3, v[15:16]
	v_add_nc_u32_e32 v15, -2, v14
	s_delay_alu instid0(VALU_DEP_1) | instskip(NEXT) | instid1(VALU_DEP_3)
	v_lshlrev_b64 v[72:73], 3, v[15:16]
	v_add_co_u32 v70, vcc_lo, s8, v70
	s_delay_alu instid0(VALU_DEP_4) | instskip(SKIP_1) | instid1(VALU_DEP_4)
	v_add_co_ci_u32_e32 v71, vcc_lo, s9, v71, vcc_lo
	v_add_nc_u32_e32 v15, -9, v14
	v_add_co_u32 v72, vcc_lo, s8, v72
	v_add_co_ci_u32_e32 v73, vcc_lo, s9, v73, vcc_lo
	s_clause 0x1
	global_load_b64 v[70:71], v[70:71], off
	global_load_b64 v[72:73], v[72:73], off
	v_lshlrev_b64 v[74:75], 3, v[15:16]
	v_add_nc_u32_e32 v15, -1, v14
	s_delay_alu instid0(VALU_DEP_1) | instskip(NEXT) | instid1(VALU_DEP_3)
	v_lshlrev_b64 v[76:77], 3, v[15:16]
	v_add_co_u32 v74, vcc_lo, s8, v74
	s_delay_alu instid0(VALU_DEP_4) | instskip(SKIP_1) | instid1(VALU_DEP_4)
	v_add_co_ci_u32_e32 v75, vcc_lo, s9, v75, vcc_lo
	v_mov_b32_e32 v15, v16
	v_add_co_u32 v76, vcc_lo, s8, v76
	v_add_co_ci_u32_e32 v77, vcc_lo, s9, v77, vcc_lo
	s_clause 0x1
	global_load_b64 v[74:75], v[74:75], off
	global_load_b64 v[76:77], v[76:77], off
	v_lshlrev_b64 v[78:79], 3, v[14:15]
	v_add_nc_u32_e32 v15, -8, v14
	v_add_nc_u32_e32 v14, 0x60, v14
	s_delay_alu instid0(VALU_DEP_2) | instskip(NEXT) | instid1(VALU_DEP_4)
	v_lshlrev_b64 v[80:81], 3, v[15:16]
	v_add_co_u32 v78, vcc_lo, s8, v78
	v_add_co_ci_u32_e32 v79, vcc_lo, s9, v79, vcc_lo
	s_delay_alu instid0(VALU_DEP_3) | instskip(NEXT) | instid1(VALU_DEP_4)
	v_add_co_u32 v80, vcc_lo, s8, v80
	v_add_co_ci_u32_e32 v81, vcc_lo, s9, v81, vcc_lo
	s_clause 0x1
	global_load_b64 v[80:81], v[80:81], off
	global_load_b64 v[78:79], v[78:79], off
	v_cmp_ge_i32_e32 vcc_lo, v6, v19
	s_or_b32 s2, vcc_lo, s2
	s_waitcnt vmcnt(19)
	v_fma_f64 v[7:8], v[24:25], v[28:29], v[8:9]
	v_fma_f64 v[12:13], v[17:18], v[28:29], v[12:13]
	;; [unrolled: 1-line block ×3, first 2 shown]
	s_delay_alu instid0(VALU_DEP_3) | instskip(SKIP_1) | instid1(VALU_DEP_3)
	v_fma_f64 v[7:8], v[26:27], v[30:31], v[7:8]
	s_waitcnt vmcnt(17)
	v_fma_f64 v[11:12], v[54:55], v[30:31], v[12:13]
	s_waitcnt vmcnt(16)
	s_delay_alu instid0(VALU_DEP_3) | instskip(NEXT) | instid1(VALU_DEP_3)
	v_fma_f64 v[9:10], v[56:57], v[30:31], v[9:10]
	v_fma_f64 v[7:8], v[20:21], v[32:33], v[7:8]
	s_waitcnt vmcnt(15)
	s_delay_alu instid0(VALU_DEP_3) | instskip(SKIP_1) | instid1(VALU_DEP_3)
	v_fma_f64 v[11:12], v[58:59], v[32:33], v[11:12]
	s_waitcnt vmcnt(14)
	v_fma_f64 v[9:10], v[60:61], v[32:33], v[9:10]
	s_delay_alu instid0(VALU_DEP_3) | instskip(SKIP_1) | instid1(VALU_DEP_3)
	v_fma_f64 v[7:8], v[22:23], v[34:35], v[7:8]
	s_waitcnt vmcnt(13)
	v_fma_f64 v[11:12], v[62:63], v[34:35], v[11:12]
	s_waitcnt vmcnt(12)
	s_delay_alu instid0(VALU_DEP_3) | instskip(SKIP_1) | instid1(VALU_DEP_3)
	v_fma_f64 v[9:10], v[64:65], v[34:35], v[9:10]
	s_waitcnt vmcnt(7)
	v_fma_f64 v[7:8], v[40:41], v[44:45], v[7:8]
	s_delay_alu instid0(VALU_DEP_3) | instskip(NEXT) | instid1(VALU_DEP_3)
	v_fma_f64 v[11:12], v[66:67], v[44:45], v[11:12]
	v_fma_f64 v[9:10], v[68:69], v[44:45], v[9:10]
	s_delay_alu instid0(VALU_DEP_3) | instskip(SKIP_1) | instid1(VALU_DEP_3)
	v_fma_f64 v[7:8], v[42:43], v[46:47], v[7:8]
	s_waitcnt vmcnt(5)
	v_fma_f64 v[11:12], v[70:71], v[46:47], v[11:12]
	s_waitcnt vmcnt(4)
	s_delay_alu instid0(VALU_DEP_3) | instskip(NEXT) | instid1(VALU_DEP_3)
	v_fma_f64 v[9:10], v[72:73], v[46:47], v[9:10]
	v_fma_f64 v[7:8], v[36:37], v[48:49], v[7:8]
	s_waitcnt vmcnt(3)
	s_delay_alu instid0(VALU_DEP_3) | instskip(SKIP_1) | instid1(VALU_DEP_3)
	v_fma_f64 v[11:12], v[74:75], v[48:49], v[11:12]
	s_waitcnt vmcnt(2)
	v_fma_f64 v[17:18], v[76:77], v[48:49], v[9:10]
	s_delay_alu instid0(VALU_DEP_3) | instskip(SKIP_1) | instid1(VALU_DEP_3)
	v_fma_f64 v[8:9], v[38:39], v[50:51], v[7:8]
	s_waitcnt vmcnt(1)
	v_fma_f64 v[12:13], v[80:81], v[50:51], v[11:12]
	s_waitcnt vmcnt(0)
	s_delay_alu instid0(VALU_DEP_3)
	v_fma_f64 v[10:11], v[78:79], v[50:51], v[17:18]
	s_and_not1_b32 exec_lo, exec_lo, s2
	s_cbranch_execnz .LBB67_15
; %bb.16:
	s_or_b32 exec_lo, exec_lo, s2
.LBB67_17:
	s_delay_alu instid0(SALU_CYCLE_1)
	s_or_b32 exec_lo, exec_lo, s3
.LBB67_18:
	v_mbcnt_lo_u32_b32 v18, -1, 0
	s_delay_alu instid0(VALU_DEP_1) | instskip(NEXT) | instid1(VALU_DEP_1)
	v_xor_b32_e32 v6, 2, v18
	v_cmp_gt_i32_e32 vcc_lo, 32, v6
	v_cndmask_b32_e32 v6, v18, v6, vcc_lo
	s_delay_alu instid0(VALU_DEP_1)
	v_lshlrev_b32_e32 v17, 2, v6
	ds_bpermute_b32 v6, v17, v8
	ds_bpermute_b32 v7, v17, v9
	;; [unrolled: 1-line block ×6, first 2 shown]
	s_waitcnt lgkmcnt(4)
	v_add_f64 v[8:9], v[8:9], v[6:7]
	s_waitcnt lgkmcnt(2)
	v_add_f64 v[6:7], v[12:13], v[14:15]
	;; [unrolled: 2-line block ×3, first 2 shown]
	v_xor_b32_e32 v10, 1, v18
	s_delay_alu instid0(VALU_DEP_1) | instskip(SKIP_2) | instid1(VALU_DEP_2)
	v_cmp_gt_i32_e32 vcc_lo, 32, v10
	v_cndmask_b32_e32 v10, v18, v10, vcc_lo
	v_cmp_eq_u32_e32 vcc_lo, 3, v0
	v_lshlrev_b32_e32 v15, 2, v10
	ds_bpermute_b32 v10, v15, v8
	ds_bpermute_b32 v11, v15, v9
	ds_bpermute_b32 v16, v15, v6
	ds_bpermute_b32 v17, v15, v7
	ds_bpermute_b32 v14, v15, v12
	ds_bpermute_b32 v15, v15, v13
	s_and_b32 exec_lo, exec_lo, vcc_lo
	s_cbranch_execz .LBB67_23
; %bb.19:
	s_waitcnt lgkmcnt(4)
	v_add_f64 v[10:11], v[8:9], v[10:11]
	s_waitcnt lgkmcnt(2)
	v_add_f64 v[8:9], v[6:7], v[16:17]
	;; [unrolled: 2-line block ×3, first 2 shown]
	s_load_b64 s[0:1], s[0:1], 0x38
	s_mov_b32 s2, exec_lo
	v_cmpx_eq_f64_e32 0, v[3:4]
	s_xor_b32 s2, exec_lo, s2
	s_cbranch_execz .LBB67_21
; %bb.20:
	s_delay_alu instid0(VALU_DEP_4) | instskip(NEXT) | instid1(VALU_DEP_4)
	v_mul_f64 v[10:11], v[1:2], v[10:11]
	v_mul_f64 v[12:13], v[1:2], v[8:9]
	s_delay_alu instid0(VALU_DEP_4) | instskip(SKIP_1) | instid1(VALU_DEP_1)
	v_mul_f64 v[0:1], v[1:2], v[6:7]
	v_lshl_add_u32 v2, v5, 1, v5
                                        ; implicit-def: $vgpr5
                                        ; implicit-def: $vgpr8_vgpr9
                                        ; implicit-def: $vgpr6_vgpr7
	v_ashrrev_i32_e32 v3, 31, v2
	s_delay_alu instid0(VALU_DEP_1) | instskip(SKIP_1) | instid1(VALU_DEP_1)
	v_lshlrev_b64 v[2:3], 3, v[2:3]
	s_waitcnt lgkmcnt(0)
	v_add_co_u32 v2, vcc_lo, s0, v2
	s_delay_alu instid0(VALU_DEP_2)
	v_add_co_ci_u32_e32 v3, vcc_lo, s1, v3, vcc_lo
	s_clause 0x1
	global_store_b128 v[2:3], v[10:13], off
	global_store_b64 v[2:3], v[0:1], off offset:16
                                        ; implicit-def: $vgpr1_vgpr2
                                        ; implicit-def: $vgpr10_vgpr11
                                        ; implicit-def: $vgpr3_vgpr4
.LBB67_21:
	s_and_not1_saveexec_b32 s2, s2
	s_cbranch_execz .LBB67_23
; %bb.22:
	v_lshl_add_u32 v12, v5, 1, v5
	v_mul_f64 v[10:11], v[1:2], v[10:11]
	v_mul_f64 v[8:9], v[1:2], v[8:9]
	;; [unrolled: 1-line block ×3, first 2 shown]
	s_delay_alu instid0(VALU_DEP_4) | instskip(NEXT) | instid1(VALU_DEP_1)
	v_ashrrev_i32_e32 v13, 31, v12
	v_lshlrev_b64 v[12:13], 3, v[12:13]
	s_waitcnt lgkmcnt(0)
	s_delay_alu instid0(VALU_DEP_1) | instskip(NEXT) | instid1(VALU_DEP_2)
	v_add_co_u32 v16, vcc_lo, s0, v12
	v_add_co_ci_u32_e32 v17, vcc_lo, s1, v13, vcc_lo
	s_clause 0x1
	global_load_b128 v[12:15], v[16:17], off
	global_load_b64 v[18:19], v[16:17], off offset:16
	s_waitcnt vmcnt(1)
	v_fma_f64 v[5:6], v[3:4], v[12:13], v[10:11]
	v_fma_f64 v[7:8], v[3:4], v[14:15], v[8:9]
	s_waitcnt vmcnt(0)
	v_fma_f64 v[0:1], v[3:4], v[18:19], v[0:1]
	s_clause 0x1
	global_store_b128 v[16:17], v[5:8], off
	global_store_b64 v[16:17], v[0:1], off offset:16
.LBB67_23:
	s_nop 0
	s_sendmsg sendmsg(MSG_DEALLOC_VGPRS)
	s_endpgm
	.section	.rodata,"a",@progbits
	.p2align	6, 0x0
	.amdhsa_kernel _ZN9rocsparseL19gebsrmvn_3xn_kernelILj128ELj8ELj4EdEEvi20rocsparse_direction_NS_24const_host_device_scalarIT2_EEPKiS6_PKS3_S8_S4_PS3_21rocsparse_index_base_b
		.amdhsa_group_segment_fixed_size 0
		.amdhsa_private_segment_fixed_size 0
		.amdhsa_kernarg_size 72
		.amdhsa_user_sgpr_count 15
		.amdhsa_user_sgpr_dispatch_ptr 0
		.amdhsa_user_sgpr_queue_ptr 0
		.amdhsa_user_sgpr_kernarg_segment_ptr 1
		.amdhsa_user_sgpr_dispatch_id 0
		.amdhsa_user_sgpr_private_segment_size 0
		.amdhsa_wavefront_size32 1
		.amdhsa_uses_dynamic_stack 0
		.amdhsa_enable_private_segment 0
		.amdhsa_system_sgpr_workgroup_id_x 1
		.amdhsa_system_sgpr_workgroup_id_y 0
		.amdhsa_system_sgpr_workgroup_id_z 0
		.amdhsa_system_sgpr_workgroup_info 0
		.amdhsa_system_vgpr_workitem_id 0
		.amdhsa_next_free_vgpr 84
		.amdhsa_next_free_sgpr 16
		.amdhsa_reserve_vcc 1
		.amdhsa_float_round_mode_32 0
		.amdhsa_float_round_mode_16_64 0
		.amdhsa_float_denorm_mode_32 3
		.amdhsa_float_denorm_mode_16_64 3
		.amdhsa_dx10_clamp 1
		.amdhsa_ieee_mode 1
		.amdhsa_fp16_overflow 0
		.amdhsa_workgroup_processor_mode 1
		.amdhsa_memory_ordered 1
		.amdhsa_forward_progress 0
		.amdhsa_shared_vgpr_count 0
		.amdhsa_exception_fp_ieee_invalid_op 0
		.amdhsa_exception_fp_denorm_src 0
		.amdhsa_exception_fp_ieee_div_zero 0
		.amdhsa_exception_fp_ieee_overflow 0
		.amdhsa_exception_fp_ieee_underflow 0
		.amdhsa_exception_fp_ieee_inexact 0
		.amdhsa_exception_int_div_zero 0
	.end_amdhsa_kernel
	.section	.text._ZN9rocsparseL19gebsrmvn_3xn_kernelILj128ELj8ELj4EdEEvi20rocsparse_direction_NS_24const_host_device_scalarIT2_EEPKiS6_PKS3_S8_S4_PS3_21rocsparse_index_base_b,"axG",@progbits,_ZN9rocsparseL19gebsrmvn_3xn_kernelILj128ELj8ELj4EdEEvi20rocsparse_direction_NS_24const_host_device_scalarIT2_EEPKiS6_PKS3_S8_S4_PS3_21rocsparse_index_base_b,comdat
.Lfunc_end67:
	.size	_ZN9rocsparseL19gebsrmvn_3xn_kernelILj128ELj8ELj4EdEEvi20rocsparse_direction_NS_24const_host_device_scalarIT2_EEPKiS6_PKS3_S8_S4_PS3_21rocsparse_index_base_b, .Lfunc_end67-_ZN9rocsparseL19gebsrmvn_3xn_kernelILj128ELj8ELj4EdEEvi20rocsparse_direction_NS_24const_host_device_scalarIT2_EEPKiS6_PKS3_S8_S4_PS3_21rocsparse_index_base_b
                                        ; -- End function
	.section	.AMDGPU.csdata,"",@progbits
; Kernel info:
; codeLenInByte = 3192
; NumSgprs: 18
; NumVgprs: 84
; ScratchSize: 0
; MemoryBound: 1
; FloatMode: 240
; IeeeMode: 1
; LDSByteSize: 0 bytes/workgroup (compile time only)
; SGPRBlocks: 2
; VGPRBlocks: 10
; NumSGPRsForWavesPerEU: 18
; NumVGPRsForWavesPerEU: 84
; Occupancy: 16
; WaveLimiterHint : 1
; COMPUTE_PGM_RSRC2:SCRATCH_EN: 0
; COMPUTE_PGM_RSRC2:USER_SGPR: 15
; COMPUTE_PGM_RSRC2:TRAP_HANDLER: 0
; COMPUTE_PGM_RSRC2:TGID_X_EN: 1
; COMPUTE_PGM_RSRC2:TGID_Y_EN: 0
; COMPUTE_PGM_RSRC2:TGID_Z_EN: 0
; COMPUTE_PGM_RSRC2:TIDIG_COMP_CNT: 0
	.section	.text._ZN9rocsparseL19gebsrmvn_3xn_kernelILj128ELj8ELj8EdEEvi20rocsparse_direction_NS_24const_host_device_scalarIT2_EEPKiS6_PKS3_S8_S4_PS3_21rocsparse_index_base_b,"axG",@progbits,_ZN9rocsparseL19gebsrmvn_3xn_kernelILj128ELj8ELj8EdEEvi20rocsparse_direction_NS_24const_host_device_scalarIT2_EEPKiS6_PKS3_S8_S4_PS3_21rocsparse_index_base_b,comdat
	.globl	_ZN9rocsparseL19gebsrmvn_3xn_kernelILj128ELj8ELj8EdEEvi20rocsparse_direction_NS_24const_host_device_scalarIT2_EEPKiS6_PKS3_S8_S4_PS3_21rocsparse_index_base_b ; -- Begin function _ZN9rocsparseL19gebsrmvn_3xn_kernelILj128ELj8ELj8EdEEvi20rocsparse_direction_NS_24const_host_device_scalarIT2_EEPKiS6_PKS3_S8_S4_PS3_21rocsparse_index_base_b
	.p2align	8
	.type	_ZN9rocsparseL19gebsrmvn_3xn_kernelILj128ELj8ELj8EdEEvi20rocsparse_direction_NS_24const_host_device_scalarIT2_EEPKiS6_PKS3_S8_S4_PS3_21rocsparse_index_base_b,@function
_ZN9rocsparseL19gebsrmvn_3xn_kernelILj128ELj8ELj8EdEEvi20rocsparse_direction_NS_24const_host_device_scalarIT2_EEPKiS6_PKS3_S8_S4_PS3_21rocsparse_index_base_b: ; @_ZN9rocsparseL19gebsrmvn_3xn_kernelILj128ELj8ELj8EdEEvi20rocsparse_direction_NS_24const_host_device_scalarIT2_EEPKiS6_PKS3_S8_S4_PS3_21rocsparse_index_base_b
; %bb.0:
	s_clause 0x2
	s_load_b64 s[12:13], s[0:1], 0x40
	s_load_b64 s[4:5], s[0:1], 0x8
	;; [unrolled: 1-line block ×3, first 2 shown]
	s_waitcnt lgkmcnt(0)
	s_bitcmp1_b32 s13, 0
	v_dual_mov_b32 v1, s4 :: v_dual_mov_b32 v2, s5
	s_cselect_b32 s6, -1, 0
	s_delay_alu instid0(SALU_CYCLE_1)
	s_and_b32 vcc_lo, exec_lo, s6
	s_xor_b32 s6, s6, -1
	s_cbranch_vccnz .LBB68_2
; %bb.1:
	v_dual_mov_b32 v1, s4 :: v_dual_mov_b32 v2, s5
	flat_load_b64 v[1:2], v[1:2]
.LBB68_2:
	v_dual_mov_b32 v4, s3 :: v_dual_mov_b32 v3, s2
	s_and_not1_b32 vcc_lo, exec_lo, s6
	s_cbranch_vccnz .LBB68_4
; %bb.3:
	v_dual_mov_b32 v4, s3 :: v_dual_mov_b32 v3, s2
	flat_load_b64 v[3:4], v[3:4]
.LBB68_4:
	s_waitcnt vmcnt(0) lgkmcnt(0)
	v_cmp_neq_f64_e32 vcc_lo, 0, v[1:2]
	v_cmp_neq_f64_e64 s2, 1.0, v[3:4]
	s_delay_alu instid0(VALU_DEP_1) | instskip(NEXT) | instid1(SALU_CYCLE_1)
	s_or_b32 s2, vcc_lo, s2
	s_and_saveexec_b32 s3, s2
	s_cbranch_execz .LBB68_23
; %bb.5:
	s_load_b64 s[2:3], s[0:1], 0x0
	v_lshrrev_b32_e32 v5, 3, v0
	s_delay_alu instid0(VALU_DEP_1) | instskip(SKIP_1) | instid1(VALU_DEP_1)
	v_lshl_or_b32 v5, s15, 4, v5
	s_waitcnt lgkmcnt(0)
	v_cmp_gt_i32_e32 vcc_lo, s2, v5
	s_and_b32 exec_lo, exec_lo, vcc_lo
	s_cbranch_execz .LBB68_23
; %bb.6:
	s_load_b256 s[4:11], s[0:1], 0x10
	v_ashrrev_i32_e32 v6, 31, v5
	v_and_b32_e32 v0, 7, v0
	s_cmp_lg_u32 s3, 0
	s_delay_alu instid0(VALU_DEP_2) | instskip(SKIP_1) | instid1(VALU_DEP_1)
	v_lshlrev_b64 v[6:7], 2, v[5:6]
	s_waitcnt lgkmcnt(0)
	v_add_co_u32 v6, vcc_lo, s4, v6
	s_delay_alu instid0(VALU_DEP_2) | instskip(SKIP_4) | instid1(VALU_DEP_2)
	v_add_co_ci_u32_e32 v7, vcc_lo, s5, v7, vcc_lo
	global_load_b64 v[6:7], v[6:7], off
	s_waitcnt vmcnt(0)
	v_subrev_nc_u32_e32 v6, s12, v6
	v_subrev_nc_u32_e32 v19, s12, v7
	v_add_nc_u32_e32 v6, v6, v0
	s_delay_alu instid0(VALU_DEP_1)
	v_cmp_lt_i32_e64 s2, v6, v19
	s_cbranch_scc0 .LBB68_12
; %bb.7:
	v_mov_b32_e32 v8, 0
	v_mov_b32_e32 v9, 0
	s_delay_alu instid0(VALU_DEP_1)
	v_dual_mov_b32 v11, v9 :: v_dual_mov_b32 v10, v8
	v_dual_mov_b32 v13, v9 :: v_dual_mov_b32 v12, v8
	s_and_saveexec_b32 s3, s2
	s_cbranch_execz .LBB68_11
; %bb.8:
	v_dual_mov_b32 v8, 0 :: v_dual_mov_b32 v17, v6
	v_dual_mov_b32 v9, 0 :: v_dual_mov_b32 v16, 0
	v_mad_u64_u32 v[14:15], null, v6, 24, 23
	s_mov_b32 s4, 0
	s_delay_alu instid0(VALU_DEP_2)
	v_dual_mov_b32 v11, v9 :: v_dual_mov_b32 v10, v8
	v_dual_mov_b32 v13, v9 :: v_dual_mov_b32 v12, v8
.LBB68_9:                               ; =>This Inner Loop Header: Depth=1
	v_ashrrev_i32_e32 v18, 31, v17
	s_delay_alu instid0(VALU_DEP_4) | instskip(NEXT) | instid1(VALU_DEP_2)
	v_subrev_nc_u32_e32 v15, 23, v14
	v_lshlrev_b64 v[20:21], 2, v[17:18]
	s_delay_alu instid0(VALU_DEP_2) | instskip(SKIP_2) | instid1(VALU_DEP_4)
	v_lshlrev_b64 v[22:23], 3, v[15:16]
	v_add_nc_u32_e32 v15, -15, v14
	v_add_nc_u32_e32 v17, 8, v17
	v_add_co_u32 v20, vcc_lo, s6, v20
	v_add_co_ci_u32_e32 v21, vcc_lo, s7, v21, vcc_lo
	v_add_co_u32 v40, vcc_lo, s8, v22
	v_add_co_ci_u32_e32 v41, vcc_lo, s9, v23, vcc_lo
	global_load_b32 v7, v[20:21], off
	v_lshlrev_b64 v[44:45], 3, v[15:16]
	v_add_nc_u32_e32 v15, -14, v14
	s_waitcnt vmcnt(0)
	v_subrev_nc_u32_e32 v7, s12, v7
	s_delay_alu instid0(VALU_DEP_1) | instskip(NEXT) | instid1(VALU_DEP_1)
	v_dual_mov_b32 v21, v16 :: v_dual_lshlrev_b32 v20, 3, v7
	v_lshlrev_b64 v[20:21], 3, v[20:21]
	s_delay_alu instid0(VALU_DEP_1) | instskip(NEXT) | instid1(VALU_DEP_2)
	v_add_co_u32 v48, vcc_lo, s10, v20
	v_add_co_ci_u32_e32 v49, vcc_lo, s11, v21, vcc_lo
	s_clause 0x1
	global_load_b128 v[20:23], v[40:41], off offset:16
	global_load_b128 v[24:27], v[40:41], off
	s_clause 0x1
	global_load_b128 v[28:31], v[48:49], off
	global_load_b128 v[32:35], v[48:49], off offset:16
	s_clause 0x1
	global_load_b128 v[36:39], v[40:41], off offset:32
	global_load_b128 v[40:43], v[40:41], off offset:48
	v_add_co_u32 v44, vcc_lo, s8, v44
	v_add_co_ci_u32_e32 v45, vcc_lo, s9, v45, vcc_lo
	global_load_b64 v[52:53], v[44:45], off
	v_lshlrev_b64 v[44:45], 3, v[15:16]
	v_add_nc_u32_e32 v15, -13, v14
	s_delay_alu instid0(VALU_DEP_1) | instskip(SKIP_1) | instid1(VALU_DEP_4)
	v_lshlrev_b64 v[46:47], 3, v[15:16]
	v_add_nc_u32_e32 v15, -12, v14
	v_add_co_u32 v44, vcc_lo, s8, v44
	v_add_co_ci_u32_e32 v45, vcc_lo, s9, v45, vcc_lo
	s_delay_alu instid0(VALU_DEP_3) | instskip(SKIP_3) | instid1(VALU_DEP_4)
	v_lshlrev_b64 v[50:51], 3, v[15:16]
	v_add_co_u32 v46, vcc_lo, s8, v46
	v_add_co_ci_u32_e32 v47, vcc_lo, s9, v47, vcc_lo
	v_add_nc_u32_e32 v15, -11, v14
	v_add_co_u32 v50, vcc_lo, s8, v50
	v_add_co_ci_u32_e32 v51, vcc_lo, s9, v51, vcc_lo
	s_clause 0x2
	global_load_b64 v[54:55], v[44:45], off
	global_load_b64 v[56:57], v[46:47], off
	global_load_b64 v[58:59], v[50:51], off
	v_lshlrev_b64 v[44:45], 3, v[15:16]
	v_add_nc_u32_e32 v15, -10, v14
	s_delay_alu instid0(VALU_DEP_1) | instskip(SKIP_1) | instid1(VALU_DEP_4)
	v_lshlrev_b64 v[46:47], 3, v[15:16]
	v_add_nc_u32_e32 v15, -9, v14
	v_add_co_u32 v44, vcc_lo, s8, v44
	v_add_co_ci_u32_e32 v45, vcc_lo, s9, v45, vcc_lo
	s_delay_alu instid0(VALU_DEP_3)
	v_lshlrev_b64 v[50:51], 3, v[15:16]
	v_add_nc_u32_e32 v15, -8, v14
	global_load_b64 v[60:61], v[44:45], off
	v_add_co_u32 v44, vcc_lo, s8, v46
	v_add_co_ci_u32_e32 v45, vcc_lo, s9, v47, vcc_lo
	v_add_co_u32 v46, vcc_lo, s8, v50
	v_add_co_ci_u32_e32 v47, vcc_lo, s9, v51, vcc_lo
	s_clause 0x1
	global_load_b64 v[62:63], v[44:45], off
	global_load_b64 v[64:65], v[46:47], off
	s_clause 0x1
	global_load_b128 v[44:47], v[48:49], off offset:32
	global_load_b128 v[48:51], v[48:49], off offset:48
	v_lshlrev_b64 v[66:67], 3, v[15:16]
	v_add_nc_u32_e32 v15, -7, v14
	s_delay_alu instid0(VALU_DEP_1) | instskip(SKIP_1) | instid1(VALU_DEP_4)
	v_lshlrev_b64 v[68:69], 3, v[15:16]
	v_add_nc_u32_e32 v15, -6, v14
	v_add_co_u32 v66, vcc_lo, s8, v66
	v_add_co_ci_u32_e32 v67, vcc_lo, s9, v67, vcc_lo
	s_delay_alu instid0(VALU_DEP_3) | instskip(SKIP_3) | instid1(VALU_DEP_4)
	v_lshlrev_b64 v[70:71], 3, v[15:16]
	v_add_co_u32 v68, vcc_lo, s8, v68
	v_add_co_ci_u32_e32 v69, vcc_lo, s9, v69, vcc_lo
	v_add_nc_u32_e32 v15, -5, v14
	v_add_co_u32 v70, vcc_lo, s8, v70
	v_add_co_ci_u32_e32 v71, vcc_lo, s9, v71, vcc_lo
	s_clause 0x2
	global_load_b64 v[66:67], v[66:67], off
	global_load_b64 v[68:69], v[68:69], off
	;; [unrolled: 1-line block ×3, first 2 shown]
	v_lshlrev_b64 v[72:73], 3, v[15:16]
	v_add_nc_u32_e32 v15, -4, v14
	s_delay_alu instid0(VALU_DEP_1) | instskip(SKIP_1) | instid1(VALU_DEP_4)
	v_lshlrev_b64 v[74:75], 3, v[15:16]
	v_add_nc_u32_e32 v15, -3, v14
	v_add_co_u32 v72, vcc_lo, s8, v72
	v_add_co_ci_u32_e32 v73, vcc_lo, s9, v73, vcc_lo
	s_delay_alu instid0(VALU_DEP_3) | instskip(SKIP_3) | instid1(VALU_DEP_4)
	v_lshlrev_b64 v[76:77], 3, v[15:16]
	v_add_co_u32 v74, vcc_lo, s8, v74
	v_add_co_ci_u32_e32 v75, vcc_lo, s9, v75, vcc_lo
	v_mov_b32_e32 v15, v16
	v_add_co_u32 v76, vcc_lo, s8, v76
	v_add_co_ci_u32_e32 v77, vcc_lo, s9, v77, vcc_lo
	s_clause 0x2
	global_load_b64 v[72:73], v[72:73], off
	global_load_b64 v[74:75], v[74:75], off
	;; [unrolled: 1-line block ×3, first 2 shown]
	v_lshlrev_b64 v[78:79], 3, v[14:15]
	v_add_nc_u32_e32 v15, -2, v14
	s_delay_alu instid0(VALU_DEP_1) | instskip(SKIP_4) | instid1(VALU_DEP_4)
	v_lshlrev_b64 v[80:81], 3, v[15:16]
	v_add_nc_u32_e32 v15, -1, v14
	v_add_nc_u32_e32 v14, 0xc0, v14
	v_add_co_u32 v78, vcc_lo, s8, v78
	v_add_co_ci_u32_e32 v79, vcc_lo, s9, v79, vcc_lo
	v_lshlrev_b64 v[82:83], 3, v[15:16]
	v_add_co_u32 v80, vcc_lo, s8, v80
	v_add_co_ci_u32_e32 v81, vcc_lo, s9, v81, vcc_lo
	s_delay_alu instid0(VALU_DEP_3) | instskip(NEXT) | instid1(VALU_DEP_4)
	v_add_co_u32 v82, vcc_lo, s8, v82
	v_add_co_ci_u32_e32 v83, vcc_lo, s9, v83, vcc_lo
	s_clause 0x2
	global_load_b64 v[80:81], v[80:81], off
	global_load_b64 v[82:83], v[82:83], off
	;; [unrolled: 1-line block ×3, first 2 shown]
	v_cmp_ge_i32_e32 vcc_lo, v17, v19
	s_or_b32 s4, vcc_lo, s4
	s_waitcnt vmcnt(21)
	v_fma_f64 v[7:8], v[24:25], v[28:29], v[8:9]
	v_fma_f64 v[12:13], v[26:27], v[28:29], v[12:13]
	;; [unrolled: 1-line block ×3, first 2 shown]
	s_delay_alu instid0(VALU_DEP_3) | instskip(SKIP_1) | instid1(VALU_DEP_3)
	v_fma_f64 v[7:8], v[22:23], v[30:31], v[7:8]
	s_waitcnt vmcnt(19)
	v_fma_f64 v[11:12], v[36:37], v[30:31], v[12:13]
	s_delay_alu instid0(VALU_DEP_3) | instskip(SKIP_1) | instid1(VALU_DEP_3)
	v_fma_f64 v[9:10], v[38:39], v[30:31], v[9:10]
	s_waitcnt vmcnt(18)
	v_fma_f64 v[7:8], v[40:41], v[32:33], v[7:8]
	s_delay_alu instid0(VALU_DEP_3) | instskip(SKIP_1) | instid1(VALU_DEP_3)
	v_fma_f64 v[11:12], v[42:43], v[32:33], v[11:12]
	s_waitcnt vmcnt(17)
	v_fma_f64 v[9:10], v[52:53], v[32:33], v[9:10]
	s_waitcnt vmcnt(16)
	s_delay_alu instid0(VALU_DEP_3) | instskip(SKIP_1) | instid1(VALU_DEP_3)
	v_fma_f64 v[7:8], v[54:55], v[34:35], v[7:8]
	s_waitcnt vmcnt(15)
	v_fma_f64 v[11:12], v[56:57], v[34:35], v[11:12]
	s_waitcnt vmcnt(14)
	s_delay_alu instid0(VALU_DEP_3) | instskip(SKIP_1) | instid1(VALU_DEP_3)
	v_fma_f64 v[9:10], v[58:59], v[34:35], v[9:10]
	s_waitcnt vmcnt(10)
	v_fma_f64 v[7:8], v[60:61], v[44:45], v[7:8]
	s_delay_alu instid0(VALU_DEP_3) | instskip(NEXT) | instid1(VALU_DEP_3)
	v_fma_f64 v[11:12], v[62:63], v[44:45], v[11:12]
	v_fma_f64 v[9:10], v[64:65], v[44:45], v[9:10]
	s_waitcnt vmcnt(8)
	s_delay_alu instid0(VALU_DEP_3) | instskip(SKIP_1) | instid1(VALU_DEP_3)
	v_fma_f64 v[7:8], v[66:67], v[46:47], v[7:8]
	s_waitcnt vmcnt(7)
	v_fma_f64 v[11:12], v[68:69], v[46:47], v[11:12]
	s_waitcnt vmcnt(6)
	s_delay_alu instid0(VALU_DEP_3) | instskip(SKIP_1) | instid1(VALU_DEP_3)
	v_fma_f64 v[9:10], v[70:71], v[46:47], v[9:10]
	s_waitcnt vmcnt(5)
	;; [unrolled: 5-line block ×4, first 2 shown]
	v_fma_f64 v[12:13], v[82:83], v[50:51], v[11:12]
	s_waitcnt vmcnt(0)
	s_delay_alu instid0(VALU_DEP_3)
	v_fma_f64 v[10:11], v[78:79], v[50:51], v[20:21]
	s_and_not1_b32 exec_lo, exec_lo, s4
	s_cbranch_execnz .LBB68_9
; %bb.10:
	s_or_b32 exec_lo, exec_lo, s4
.LBB68_11:
	s_delay_alu instid0(SALU_CYCLE_1)
	s_or_b32 exec_lo, exec_lo, s3
	s_cbranch_execz .LBB68_13
	s_branch .LBB68_18
.LBB68_12:
                                        ; implicit-def: $vgpr8_vgpr9
                                        ; implicit-def: $vgpr10_vgpr11
                                        ; implicit-def: $vgpr12_vgpr13
.LBB68_13:
	v_mov_b32_e32 v8, 0
	v_mov_b32_e32 v9, 0
	s_delay_alu instid0(VALU_DEP_1)
	v_dual_mov_b32 v11, v9 :: v_dual_mov_b32 v10, v8
	v_dual_mov_b32 v13, v9 :: v_dual_mov_b32 v12, v8
	s_and_saveexec_b32 s3, s2
	s_cbranch_execz .LBB68_17
; %bb.14:
	v_mov_b32_e32 v8, 0
	v_dual_mov_b32 v9, 0 :: v_dual_mov_b32 v16, 0
	v_mad_u64_u32 v[14:15], null, v6, 24, 23
	s_mov_b32 s2, 0
	s_delay_alu instid0(VALU_DEP_2)
	v_dual_mov_b32 v11, v9 :: v_dual_mov_b32 v10, v8
	v_dual_mov_b32 v13, v9 :: v_dual_mov_b32 v12, v8
.LBB68_15:                              ; =>This Inner Loop Header: Depth=1
	v_ashrrev_i32_e32 v7, 31, v6
	s_delay_alu instid0(VALU_DEP_4) | instskip(SKIP_1) | instid1(VALU_DEP_3)
	v_subrev_nc_u32_e32 v15, 23, v14
	v_dual_mov_b32 v29, v16 :: v_dual_add_nc_u32 v20, -7, v14
	v_lshlrev_b64 v[17:18], 2, v[6:7]
	s_delay_alu instid0(VALU_DEP_3) | instskip(SKIP_2) | instid1(VALU_DEP_4)
	v_lshlrev_b64 v[22:23], 3, v[15:16]
	v_add_nc_u32_e32 v15, -14, v14
	v_add_nc_u32_e32 v6, 8, v6
	v_add_co_u32 v17, vcc_lo, s6, v17
	v_add_co_ci_u32_e32 v18, vcc_lo, s7, v18, vcc_lo
	v_add_co_u32 v40, vcc_lo, s8, v22
	v_add_co_ci_u32_e32 v41, vcc_lo, s9, v23, vcc_lo
	global_load_b32 v7, v[17:18], off
	v_dual_mov_b32 v18, v16 :: v_dual_add_nc_u32 v17, -15, v14
	v_lshlrev_b64 v[36:37], 3, v[15:16]
	v_add_nc_u32_e32 v15, -6, v14
	s_delay_alu instid0(VALU_DEP_3) | instskip(NEXT) | instid1(VALU_DEP_2)
	v_lshlrev_b64 v[17:18], 3, v[17:18]
	v_lshlrev_b64 v[38:39], 3, v[15:16]
	v_add_nc_u32_e32 v15, -13, v14
	s_delay_alu instid0(VALU_DEP_3) | instskip(NEXT) | instid1(VALU_DEP_4)
	v_add_co_u32 v17, vcc_lo, s8, v17
	v_add_co_ci_u32_e32 v18, vcc_lo, s9, v18, vcc_lo
	s_waitcnt vmcnt(0)
	v_subrev_nc_u32_e32 v7, s12, v7
	s_delay_alu instid0(VALU_DEP_1) | instskip(NEXT) | instid1(VALU_DEP_1)
	v_dual_mov_b32 v21, v16 :: v_dual_lshlrev_b32 v28, 3, v7
	v_lshlrev_b64 v[20:21], 3, v[20:21]
	s_delay_alu instid0(VALU_DEP_2) | instskip(NEXT) | instid1(VALU_DEP_2)
	v_lshlrev_b64 v[28:29], 3, v[28:29]
	v_add_co_u32 v30, vcc_lo, s8, v20
	s_delay_alu instid0(VALU_DEP_3) | instskip(NEXT) | instid1(VALU_DEP_3)
	v_add_co_ci_u32_e32 v31, vcc_lo, s9, v21, vcc_lo
	v_add_co_u32 v48, vcc_lo, s10, v28
	s_delay_alu instid0(VALU_DEP_4)
	v_add_co_ci_u32_e32 v49, vcc_lo, s11, v29, vcc_lo
	s_clause 0x3
	global_load_b128 v[20:23], v[40:41], off offset:16
	global_load_b128 v[24:27], v[40:41], off
	global_load_b64 v[17:18], v[17:18], off
	global_load_b64 v[52:53], v[30:31], off
	s_clause 0x1
	global_load_b128 v[28:31], v[48:49], off
	global_load_b128 v[32:35], v[48:49], off offset:16
	v_add_co_u32 v36, vcc_lo, s8, v36
	v_add_co_ci_u32_e32 v37, vcc_lo, s9, v37, vcc_lo
	v_add_co_u32 v38, vcc_lo, s8, v38
	v_add_co_ci_u32_e32 v39, vcc_lo, s9, v39, vcc_lo
	s_clause 0x1
	global_load_b64 v[54:55], v[36:37], off
	global_load_b64 v[56:57], v[38:39], off
	v_lshlrev_b64 v[36:37], 3, v[15:16]
	v_add_nc_u32_e32 v15, -5, v14
	s_delay_alu instid0(VALU_DEP_1) | instskip(NEXT) | instid1(VALU_DEP_3)
	v_lshlrev_b64 v[38:39], 3, v[15:16]
	v_add_co_u32 v36, vcc_lo, s8, v36
	s_delay_alu instid0(VALU_DEP_4) | instskip(SKIP_1) | instid1(VALU_DEP_4)
	v_add_co_ci_u32_e32 v37, vcc_lo, s9, v37, vcc_lo
	v_add_nc_u32_e32 v15, -12, v14
	v_add_co_u32 v38, vcc_lo, s8, v38
	v_add_co_ci_u32_e32 v39, vcc_lo, s9, v39, vcc_lo
	s_clause 0x1
	global_load_b64 v[58:59], v[36:37], off
	global_load_b64 v[60:61], v[38:39], off
	v_lshlrev_b64 v[36:37], 3, v[15:16]
	v_add_nc_u32_e32 v15, -4, v14
	s_delay_alu instid0(VALU_DEP_1) | instskip(NEXT) | instid1(VALU_DEP_3)
	v_lshlrev_b64 v[38:39], 3, v[15:16]
	v_add_co_u32 v36, vcc_lo, s8, v36
	s_delay_alu instid0(VALU_DEP_4) | instskip(SKIP_1) | instid1(VALU_DEP_4)
	v_add_co_ci_u32_e32 v37, vcc_lo, s9, v37, vcc_lo
	v_add_nc_u32_e32 v15, -11, v14
	v_add_co_u32 v38, vcc_lo, s8, v38
	v_add_co_ci_u32_e32 v39, vcc_lo, s9, v39, vcc_lo
	s_clause 0x3
	global_load_b64 v[62:63], v[36:37], off
	global_load_b64 v[64:65], v[38:39], off
	global_load_b128 v[36:39], v[40:41], off offset:48
	global_load_b128 v[40:43], v[40:41], off offset:32
	v_lshlrev_b64 v[44:45], 3, v[15:16]
	v_add_nc_u32_e32 v15, -3, v14
	s_delay_alu instid0(VALU_DEP_1) | instskip(NEXT) | instid1(VALU_DEP_3)
	v_lshlrev_b64 v[46:47], 3, v[15:16]
	v_add_co_u32 v44, vcc_lo, s8, v44
	s_delay_alu instid0(VALU_DEP_4) | instskip(SKIP_1) | instid1(VALU_DEP_4)
	v_add_co_ci_u32_e32 v45, vcc_lo, s9, v45, vcc_lo
	v_add_nc_u32_e32 v15, -10, v14
	v_add_co_u32 v46, vcc_lo, s8, v46
	v_add_co_ci_u32_e32 v47, vcc_lo, s9, v47, vcc_lo
	s_clause 0x1
	global_load_b64 v[66:67], v[44:45], off
	global_load_b64 v[68:69], v[46:47], off
	s_clause 0x1
	global_load_b128 v[44:47], v[48:49], off offset:32
	global_load_b128 v[48:51], v[48:49], off offset:48
	v_lshlrev_b64 v[70:71], 3, v[15:16]
	v_add_nc_u32_e32 v15, -2, v14
	s_delay_alu instid0(VALU_DEP_1) | instskip(NEXT) | instid1(VALU_DEP_3)
	v_lshlrev_b64 v[72:73], 3, v[15:16]
	v_add_co_u32 v70, vcc_lo, s8, v70
	s_delay_alu instid0(VALU_DEP_4) | instskip(SKIP_1) | instid1(VALU_DEP_4)
	v_add_co_ci_u32_e32 v71, vcc_lo, s9, v71, vcc_lo
	v_add_nc_u32_e32 v15, -9, v14
	v_add_co_u32 v72, vcc_lo, s8, v72
	v_add_co_ci_u32_e32 v73, vcc_lo, s9, v73, vcc_lo
	s_clause 0x1
	global_load_b64 v[70:71], v[70:71], off
	global_load_b64 v[72:73], v[72:73], off
	v_lshlrev_b64 v[74:75], 3, v[15:16]
	v_add_nc_u32_e32 v15, -1, v14
	s_delay_alu instid0(VALU_DEP_1) | instskip(NEXT) | instid1(VALU_DEP_3)
	v_lshlrev_b64 v[76:77], 3, v[15:16]
	v_add_co_u32 v74, vcc_lo, s8, v74
	s_delay_alu instid0(VALU_DEP_4) | instskip(SKIP_1) | instid1(VALU_DEP_4)
	v_add_co_ci_u32_e32 v75, vcc_lo, s9, v75, vcc_lo
	v_mov_b32_e32 v15, v16
	v_add_co_u32 v76, vcc_lo, s8, v76
	v_add_co_ci_u32_e32 v77, vcc_lo, s9, v77, vcc_lo
	s_clause 0x1
	global_load_b64 v[74:75], v[74:75], off
	global_load_b64 v[76:77], v[76:77], off
	v_lshlrev_b64 v[78:79], 3, v[14:15]
	v_add_nc_u32_e32 v15, -8, v14
	v_add_nc_u32_e32 v14, 0xc0, v14
	s_delay_alu instid0(VALU_DEP_2) | instskip(NEXT) | instid1(VALU_DEP_4)
	v_lshlrev_b64 v[80:81], 3, v[15:16]
	v_add_co_u32 v78, vcc_lo, s8, v78
	v_add_co_ci_u32_e32 v79, vcc_lo, s9, v79, vcc_lo
	s_delay_alu instid0(VALU_DEP_3) | instskip(NEXT) | instid1(VALU_DEP_4)
	v_add_co_u32 v80, vcc_lo, s8, v80
	v_add_co_ci_u32_e32 v81, vcc_lo, s9, v81, vcc_lo
	s_clause 0x1
	global_load_b64 v[80:81], v[80:81], off
	global_load_b64 v[78:79], v[78:79], off
	v_cmp_ge_i32_e32 vcc_lo, v6, v19
	s_or_b32 s2, vcc_lo, s2
	s_waitcnt vmcnt(19)
	v_fma_f64 v[7:8], v[24:25], v[28:29], v[8:9]
	v_fma_f64 v[12:13], v[17:18], v[28:29], v[12:13]
	;; [unrolled: 1-line block ×3, first 2 shown]
	s_delay_alu instid0(VALU_DEP_3) | instskip(SKIP_1) | instid1(VALU_DEP_3)
	v_fma_f64 v[7:8], v[26:27], v[30:31], v[7:8]
	s_waitcnt vmcnt(17)
	v_fma_f64 v[11:12], v[54:55], v[30:31], v[12:13]
	s_waitcnt vmcnt(16)
	s_delay_alu instid0(VALU_DEP_3) | instskip(NEXT) | instid1(VALU_DEP_3)
	v_fma_f64 v[9:10], v[56:57], v[30:31], v[9:10]
	v_fma_f64 v[7:8], v[20:21], v[32:33], v[7:8]
	s_waitcnt vmcnt(15)
	s_delay_alu instid0(VALU_DEP_3) | instskip(SKIP_1) | instid1(VALU_DEP_3)
	v_fma_f64 v[11:12], v[58:59], v[32:33], v[11:12]
	s_waitcnt vmcnt(14)
	v_fma_f64 v[9:10], v[60:61], v[32:33], v[9:10]
	s_delay_alu instid0(VALU_DEP_3) | instskip(SKIP_1) | instid1(VALU_DEP_3)
	v_fma_f64 v[7:8], v[22:23], v[34:35], v[7:8]
	s_waitcnt vmcnt(13)
	v_fma_f64 v[11:12], v[62:63], v[34:35], v[11:12]
	s_waitcnt vmcnt(12)
	s_delay_alu instid0(VALU_DEP_3) | instskip(SKIP_1) | instid1(VALU_DEP_3)
	v_fma_f64 v[9:10], v[64:65], v[34:35], v[9:10]
	s_waitcnt vmcnt(7)
	v_fma_f64 v[7:8], v[40:41], v[44:45], v[7:8]
	s_delay_alu instid0(VALU_DEP_3) | instskip(NEXT) | instid1(VALU_DEP_3)
	v_fma_f64 v[11:12], v[66:67], v[44:45], v[11:12]
	v_fma_f64 v[9:10], v[68:69], v[44:45], v[9:10]
	s_delay_alu instid0(VALU_DEP_3) | instskip(SKIP_1) | instid1(VALU_DEP_3)
	v_fma_f64 v[7:8], v[42:43], v[46:47], v[7:8]
	s_waitcnt vmcnt(5)
	v_fma_f64 v[11:12], v[70:71], v[46:47], v[11:12]
	s_waitcnt vmcnt(4)
	s_delay_alu instid0(VALU_DEP_3) | instskip(NEXT) | instid1(VALU_DEP_3)
	v_fma_f64 v[9:10], v[72:73], v[46:47], v[9:10]
	v_fma_f64 v[7:8], v[36:37], v[48:49], v[7:8]
	s_waitcnt vmcnt(3)
	s_delay_alu instid0(VALU_DEP_3) | instskip(SKIP_1) | instid1(VALU_DEP_3)
	v_fma_f64 v[11:12], v[74:75], v[48:49], v[11:12]
	s_waitcnt vmcnt(2)
	v_fma_f64 v[17:18], v[76:77], v[48:49], v[9:10]
	s_delay_alu instid0(VALU_DEP_3) | instskip(SKIP_1) | instid1(VALU_DEP_3)
	v_fma_f64 v[8:9], v[38:39], v[50:51], v[7:8]
	s_waitcnt vmcnt(1)
	v_fma_f64 v[12:13], v[80:81], v[50:51], v[11:12]
	s_waitcnt vmcnt(0)
	s_delay_alu instid0(VALU_DEP_3)
	v_fma_f64 v[10:11], v[78:79], v[50:51], v[17:18]
	s_and_not1_b32 exec_lo, exec_lo, s2
	s_cbranch_execnz .LBB68_15
; %bb.16:
	s_or_b32 exec_lo, exec_lo, s2
.LBB68_17:
	s_delay_alu instid0(SALU_CYCLE_1)
	s_or_b32 exec_lo, exec_lo, s3
.LBB68_18:
	v_mbcnt_lo_u32_b32 v18, -1, 0
	s_delay_alu instid0(VALU_DEP_1) | instskip(NEXT) | instid1(VALU_DEP_1)
	v_xor_b32_e32 v6, 4, v18
	v_cmp_gt_i32_e32 vcc_lo, 32, v6
	v_cndmask_b32_e32 v6, v18, v6, vcc_lo
	s_delay_alu instid0(VALU_DEP_1)
	v_lshlrev_b32_e32 v17, 2, v6
	ds_bpermute_b32 v6, v17, v8
	ds_bpermute_b32 v7, v17, v9
	s_waitcnt lgkmcnt(0)
	v_add_f64 v[6:7], v[8:9], v[6:7]
	v_xor_b32_e32 v8, 2, v18
	s_delay_alu instid0(VALU_DEP_1)
	v_cmp_gt_i32_e32 vcc_lo, 32, v8
	v_cndmask_b32_e32 v8, v18, v8, vcc_lo
	ds_bpermute_b32 v14, v17, v12
	ds_bpermute_b32 v15, v17, v13
	;; [unrolled: 1-line block ×4, first 2 shown]
	s_waitcnt lgkmcnt(2)
	v_add_f64 v[12:13], v[12:13], v[14:15]
	s_waitcnt lgkmcnt(0)
	v_add_f64 v[10:11], v[10:11], v[16:17]
	v_lshlrev_b32_e32 v17, 2, v8
	ds_bpermute_b32 v8, v17, v6
	ds_bpermute_b32 v9, v17, v7
	s_waitcnt lgkmcnt(0)
	v_add_f64 v[8:9], v[6:7], v[8:9]
	ds_bpermute_b32 v14, v17, v12
	ds_bpermute_b32 v15, v17, v13
	;; [unrolled: 1-line block ×4, first 2 shown]
	s_waitcnt lgkmcnt(2)
	v_add_f64 v[6:7], v[12:13], v[14:15]
	s_waitcnt lgkmcnt(0)
	v_add_f64 v[12:13], v[10:11], v[16:17]
	v_xor_b32_e32 v10, 1, v18
	s_delay_alu instid0(VALU_DEP_1) | instskip(SKIP_2) | instid1(VALU_DEP_2)
	v_cmp_gt_i32_e32 vcc_lo, 32, v10
	v_cndmask_b32_e32 v10, v18, v10, vcc_lo
	v_cmp_eq_u32_e32 vcc_lo, 7, v0
	v_lshlrev_b32_e32 v15, 2, v10
	ds_bpermute_b32 v10, v15, v8
	ds_bpermute_b32 v11, v15, v9
	ds_bpermute_b32 v16, v15, v6
	ds_bpermute_b32 v17, v15, v7
	ds_bpermute_b32 v14, v15, v12
	ds_bpermute_b32 v15, v15, v13
	s_and_b32 exec_lo, exec_lo, vcc_lo
	s_cbranch_execz .LBB68_23
; %bb.19:
	s_waitcnt lgkmcnt(4)
	v_add_f64 v[10:11], v[8:9], v[10:11]
	s_waitcnt lgkmcnt(2)
	v_add_f64 v[8:9], v[6:7], v[16:17]
	;; [unrolled: 2-line block ×3, first 2 shown]
	s_load_b64 s[0:1], s[0:1], 0x38
	s_mov_b32 s2, exec_lo
	v_cmpx_eq_f64_e32 0, v[3:4]
	s_xor_b32 s2, exec_lo, s2
	s_cbranch_execz .LBB68_21
; %bb.20:
	s_delay_alu instid0(VALU_DEP_4) | instskip(NEXT) | instid1(VALU_DEP_4)
	v_mul_f64 v[10:11], v[1:2], v[10:11]
	v_mul_f64 v[12:13], v[1:2], v[8:9]
	s_delay_alu instid0(VALU_DEP_4) | instskip(SKIP_1) | instid1(VALU_DEP_1)
	v_mul_f64 v[0:1], v[1:2], v[6:7]
	v_lshl_add_u32 v2, v5, 1, v5
                                        ; implicit-def: $vgpr5
                                        ; implicit-def: $vgpr8_vgpr9
                                        ; implicit-def: $vgpr6_vgpr7
	v_ashrrev_i32_e32 v3, 31, v2
	s_delay_alu instid0(VALU_DEP_1) | instskip(SKIP_1) | instid1(VALU_DEP_1)
	v_lshlrev_b64 v[2:3], 3, v[2:3]
	s_waitcnt lgkmcnt(0)
	v_add_co_u32 v2, vcc_lo, s0, v2
	s_delay_alu instid0(VALU_DEP_2)
	v_add_co_ci_u32_e32 v3, vcc_lo, s1, v3, vcc_lo
	s_clause 0x1
	global_store_b128 v[2:3], v[10:13], off
	global_store_b64 v[2:3], v[0:1], off offset:16
                                        ; implicit-def: $vgpr1_vgpr2
                                        ; implicit-def: $vgpr10_vgpr11
                                        ; implicit-def: $vgpr3_vgpr4
.LBB68_21:
	s_and_not1_saveexec_b32 s2, s2
	s_cbranch_execz .LBB68_23
; %bb.22:
	v_lshl_add_u32 v12, v5, 1, v5
	v_mul_f64 v[10:11], v[1:2], v[10:11]
	v_mul_f64 v[8:9], v[1:2], v[8:9]
	;; [unrolled: 1-line block ×3, first 2 shown]
	s_delay_alu instid0(VALU_DEP_4) | instskip(NEXT) | instid1(VALU_DEP_1)
	v_ashrrev_i32_e32 v13, 31, v12
	v_lshlrev_b64 v[12:13], 3, v[12:13]
	s_waitcnt lgkmcnt(0)
	s_delay_alu instid0(VALU_DEP_1) | instskip(NEXT) | instid1(VALU_DEP_2)
	v_add_co_u32 v16, vcc_lo, s0, v12
	v_add_co_ci_u32_e32 v17, vcc_lo, s1, v13, vcc_lo
	s_clause 0x1
	global_load_b128 v[12:15], v[16:17], off
	global_load_b64 v[18:19], v[16:17], off offset:16
	s_waitcnt vmcnt(1)
	v_fma_f64 v[5:6], v[3:4], v[12:13], v[10:11]
	v_fma_f64 v[7:8], v[3:4], v[14:15], v[8:9]
	s_waitcnt vmcnt(0)
	v_fma_f64 v[0:1], v[3:4], v[18:19], v[0:1]
	s_clause 0x1
	global_store_b128 v[16:17], v[5:8], off
	global_store_b64 v[16:17], v[0:1], off offset:16
.LBB68_23:
	s_nop 0
	s_sendmsg sendmsg(MSG_DEALLOC_VGPRS)
	s_endpgm
	.section	.rodata,"a",@progbits
	.p2align	6, 0x0
	.amdhsa_kernel _ZN9rocsparseL19gebsrmvn_3xn_kernelILj128ELj8ELj8EdEEvi20rocsparse_direction_NS_24const_host_device_scalarIT2_EEPKiS6_PKS3_S8_S4_PS3_21rocsparse_index_base_b
		.amdhsa_group_segment_fixed_size 0
		.amdhsa_private_segment_fixed_size 0
		.amdhsa_kernarg_size 72
		.amdhsa_user_sgpr_count 15
		.amdhsa_user_sgpr_dispatch_ptr 0
		.amdhsa_user_sgpr_queue_ptr 0
		.amdhsa_user_sgpr_kernarg_segment_ptr 1
		.amdhsa_user_sgpr_dispatch_id 0
		.amdhsa_user_sgpr_private_segment_size 0
		.amdhsa_wavefront_size32 1
		.amdhsa_uses_dynamic_stack 0
		.amdhsa_enable_private_segment 0
		.amdhsa_system_sgpr_workgroup_id_x 1
		.amdhsa_system_sgpr_workgroup_id_y 0
		.amdhsa_system_sgpr_workgroup_id_z 0
		.amdhsa_system_sgpr_workgroup_info 0
		.amdhsa_system_vgpr_workitem_id 0
		.amdhsa_next_free_vgpr 84
		.amdhsa_next_free_sgpr 16
		.amdhsa_reserve_vcc 1
		.amdhsa_float_round_mode_32 0
		.amdhsa_float_round_mode_16_64 0
		.amdhsa_float_denorm_mode_32 3
		.amdhsa_float_denorm_mode_16_64 3
		.amdhsa_dx10_clamp 1
		.amdhsa_ieee_mode 1
		.amdhsa_fp16_overflow 0
		.amdhsa_workgroup_processor_mode 1
		.amdhsa_memory_ordered 1
		.amdhsa_forward_progress 0
		.amdhsa_shared_vgpr_count 0
		.amdhsa_exception_fp_ieee_invalid_op 0
		.amdhsa_exception_fp_denorm_src 0
		.amdhsa_exception_fp_ieee_div_zero 0
		.amdhsa_exception_fp_ieee_overflow 0
		.amdhsa_exception_fp_ieee_underflow 0
		.amdhsa_exception_fp_ieee_inexact 0
		.amdhsa_exception_int_div_zero 0
	.end_amdhsa_kernel
	.section	.text._ZN9rocsparseL19gebsrmvn_3xn_kernelILj128ELj8ELj8EdEEvi20rocsparse_direction_NS_24const_host_device_scalarIT2_EEPKiS6_PKS3_S8_S4_PS3_21rocsparse_index_base_b,"axG",@progbits,_ZN9rocsparseL19gebsrmvn_3xn_kernelILj128ELj8ELj8EdEEvi20rocsparse_direction_NS_24const_host_device_scalarIT2_EEPKiS6_PKS3_S8_S4_PS3_21rocsparse_index_base_b,comdat
.Lfunc_end68:
	.size	_ZN9rocsparseL19gebsrmvn_3xn_kernelILj128ELj8ELj8EdEEvi20rocsparse_direction_NS_24const_host_device_scalarIT2_EEPKiS6_PKS3_S8_S4_PS3_21rocsparse_index_base_b, .Lfunc_end68-_ZN9rocsparseL19gebsrmvn_3xn_kernelILj128ELj8ELj8EdEEvi20rocsparse_direction_NS_24const_host_device_scalarIT2_EEPKiS6_PKS3_S8_S4_PS3_21rocsparse_index_base_b
                                        ; -- End function
	.section	.AMDGPU.csdata,"",@progbits
; Kernel info:
; codeLenInByte = 3296
; NumSgprs: 18
; NumVgprs: 84
; ScratchSize: 0
; MemoryBound: 1
; FloatMode: 240
; IeeeMode: 1
; LDSByteSize: 0 bytes/workgroup (compile time only)
; SGPRBlocks: 2
; VGPRBlocks: 10
; NumSGPRsForWavesPerEU: 18
; NumVGPRsForWavesPerEU: 84
; Occupancy: 16
; WaveLimiterHint : 1
; COMPUTE_PGM_RSRC2:SCRATCH_EN: 0
; COMPUTE_PGM_RSRC2:USER_SGPR: 15
; COMPUTE_PGM_RSRC2:TRAP_HANDLER: 0
; COMPUTE_PGM_RSRC2:TGID_X_EN: 1
; COMPUTE_PGM_RSRC2:TGID_Y_EN: 0
; COMPUTE_PGM_RSRC2:TGID_Z_EN: 0
; COMPUTE_PGM_RSRC2:TIDIG_COMP_CNT: 0
	.section	.text._ZN9rocsparseL19gebsrmvn_3xn_kernelILj128ELj8ELj16EdEEvi20rocsparse_direction_NS_24const_host_device_scalarIT2_EEPKiS6_PKS3_S8_S4_PS3_21rocsparse_index_base_b,"axG",@progbits,_ZN9rocsparseL19gebsrmvn_3xn_kernelILj128ELj8ELj16EdEEvi20rocsparse_direction_NS_24const_host_device_scalarIT2_EEPKiS6_PKS3_S8_S4_PS3_21rocsparse_index_base_b,comdat
	.globl	_ZN9rocsparseL19gebsrmvn_3xn_kernelILj128ELj8ELj16EdEEvi20rocsparse_direction_NS_24const_host_device_scalarIT2_EEPKiS6_PKS3_S8_S4_PS3_21rocsparse_index_base_b ; -- Begin function _ZN9rocsparseL19gebsrmvn_3xn_kernelILj128ELj8ELj16EdEEvi20rocsparse_direction_NS_24const_host_device_scalarIT2_EEPKiS6_PKS3_S8_S4_PS3_21rocsparse_index_base_b
	.p2align	8
	.type	_ZN9rocsparseL19gebsrmvn_3xn_kernelILj128ELj8ELj16EdEEvi20rocsparse_direction_NS_24const_host_device_scalarIT2_EEPKiS6_PKS3_S8_S4_PS3_21rocsparse_index_base_b,@function
_ZN9rocsparseL19gebsrmvn_3xn_kernelILj128ELj8ELj16EdEEvi20rocsparse_direction_NS_24const_host_device_scalarIT2_EEPKiS6_PKS3_S8_S4_PS3_21rocsparse_index_base_b: ; @_ZN9rocsparseL19gebsrmvn_3xn_kernelILj128ELj8ELj16EdEEvi20rocsparse_direction_NS_24const_host_device_scalarIT2_EEPKiS6_PKS3_S8_S4_PS3_21rocsparse_index_base_b
; %bb.0:
	s_clause 0x2
	s_load_b64 s[12:13], s[0:1], 0x40
	s_load_b64 s[4:5], s[0:1], 0x8
	;; [unrolled: 1-line block ×3, first 2 shown]
	s_waitcnt lgkmcnt(0)
	s_bitcmp1_b32 s13, 0
	v_dual_mov_b32 v1, s4 :: v_dual_mov_b32 v2, s5
	s_cselect_b32 s6, -1, 0
	s_delay_alu instid0(SALU_CYCLE_1)
	s_and_b32 vcc_lo, exec_lo, s6
	s_xor_b32 s6, s6, -1
	s_cbranch_vccnz .LBB69_2
; %bb.1:
	v_dual_mov_b32 v1, s4 :: v_dual_mov_b32 v2, s5
	flat_load_b64 v[1:2], v[1:2]
.LBB69_2:
	v_dual_mov_b32 v4, s3 :: v_dual_mov_b32 v3, s2
	s_and_not1_b32 vcc_lo, exec_lo, s6
	s_cbranch_vccnz .LBB69_4
; %bb.3:
	v_dual_mov_b32 v4, s3 :: v_dual_mov_b32 v3, s2
	flat_load_b64 v[3:4], v[3:4]
.LBB69_4:
	s_waitcnt vmcnt(0) lgkmcnt(0)
	v_cmp_neq_f64_e32 vcc_lo, 0, v[1:2]
	v_cmp_neq_f64_e64 s2, 1.0, v[3:4]
	s_delay_alu instid0(VALU_DEP_1) | instskip(NEXT) | instid1(SALU_CYCLE_1)
	s_or_b32 s2, vcc_lo, s2
	s_and_saveexec_b32 s3, s2
	s_cbranch_execz .LBB69_23
; %bb.5:
	s_load_b64 s[2:3], s[0:1], 0x0
	v_lshrrev_b32_e32 v5, 4, v0
	s_delay_alu instid0(VALU_DEP_1) | instskip(SKIP_1) | instid1(VALU_DEP_1)
	v_lshl_or_b32 v5, s15, 3, v5
	s_waitcnt lgkmcnt(0)
	v_cmp_gt_i32_e32 vcc_lo, s2, v5
	s_and_b32 exec_lo, exec_lo, vcc_lo
	s_cbranch_execz .LBB69_23
; %bb.6:
	s_load_b256 s[4:11], s[0:1], 0x10
	v_ashrrev_i32_e32 v6, 31, v5
	v_and_b32_e32 v0, 15, v0
	s_cmp_lg_u32 s3, 0
	s_delay_alu instid0(VALU_DEP_2) | instskip(SKIP_1) | instid1(VALU_DEP_1)
	v_lshlrev_b64 v[6:7], 2, v[5:6]
	s_waitcnt lgkmcnt(0)
	v_add_co_u32 v6, vcc_lo, s4, v6
	s_delay_alu instid0(VALU_DEP_2) | instskip(SKIP_4) | instid1(VALU_DEP_2)
	v_add_co_ci_u32_e32 v7, vcc_lo, s5, v7, vcc_lo
	global_load_b64 v[6:7], v[6:7], off
	s_waitcnt vmcnt(0)
	v_subrev_nc_u32_e32 v6, s12, v6
	v_subrev_nc_u32_e32 v19, s12, v7
	v_add_nc_u32_e32 v8, v6, v0
	s_delay_alu instid0(VALU_DEP_1)
	v_cmp_lt_i32_e64 s2, v8, v19
	s_cbranch_scc0 .LBB69_12
; %bb.7:
	v_mov_b32_e32 v6, 0
	v_mov_b32_e32 v7, 0
	s_delay_alu instid0(VALU_DEP_1)
	v_dual_mov_b32 v11, v7 :: v_dual_mov_b32 v10, v6
	v_dual_mov_b32 v13, v7 :: v_dual_mov_b32 v12, v6
	s_and_saveexec_b32 s3, s2
	s_cbranch_execz .LBB69_11
; %bb.8:
	v_dual_mov_b32 v6, 0 :: v_dual_mov_b32 v17, v8
	v_dual_mov_b32 v7, 0 :: v_dual_mov_b32 v16, 0
	v_mad_u64_u32 v[14:15], null, v8, 24, 23
	s_mov_b32 s4, 0
	s_delay_alu instid0(VALU_DEP_2)
	v_dual_mov_b32 v11, v7 :: v_dual_mov_b32 v10, v6
	v_dual_mov_b32 v13, v7 :: v_dual_mov_b32 v12, v6
.LBB69_9:                               ; =>This Inner Loop Header: Depth=1
	v_ashrrev_i32_e32 v18, 31, v17
	s_delay_alu instid0(VALU_DEP_4) | instskip(NEXT) | instid1(VALU_DEP_2)
	v_subrev_nc_u32_e32 v15, 23, v14
	v_lshlrev_b64 v[20:21], 2, v[17:18]
	s_delay_alu instid0(VALU_DEP_2) | instskip(SKIP_2) | instid1(VALU_DEP_4)
	v_lshlrev_b64 v[22:23], 3, v[15:16]
	v_add_nc_u32_e32 v15, -15, v14
	v_add_nc_u32_e32 v17, 16, v17
	v_add_co_u32 v20, vcc_lo, s6, v20
	v_add_co_ci_u32_e32 v21, vcc_lo, s7, v21, vcc_lo
	v_add_co_u32 v40, vcc_lo, s8, v22
	v_add_co_ci_u32_e32 v41, vcc_lo, s9, v23, vcc_lo
	global_load_b32 v9, v[20:21], off
	v_lshlrev_b64 v[44:45], 3, v[15:16]
	v_add_nc_u32_e32 v15, -14, v14
	s_waitcnt vmcnt(0)
	v_subrev_nc_u32_e32 v9, s12, v9
	s_delay_alu instid0(VALU_DEP_1) | instskip(NEXT) | instid1(VALU_DEP_1)
	v_dual_mov_b32 v21, v16 :: v_dual_lshlrev_b32 v20, 3, v9
	v_lshlrev_b64 v[20:21], 3, v[20:21]
	s_delay_alu instid0(VALU_DEP_1) | instskip(NEXT) | instid1(VALU_DEP_2)
	v_add_co_u32 v48, vcc_lo, s10, v20
	v_add_co_ci_u32_e32 v49, vcc_lo, s11, v21, vcc_lo
	s_clause 0x1
	global_load_b128 v[20:23], v[40:41], off offset:16
	global_load_b128 v[24:27], v[40:41], off
	s_clause 0x1
	global_load_b128 v[28:31], v[48:49], off
	global_load_b128 v[32:35], v[48:49], off offset:16
	s_clause 0x1
	global_load_b128 v[36:39], v[40:41], off offset:32
	global_load_b128 v[40:43], v[40:41], off offset:48
	v_add_co_u32 v44, vcc_lo, s8, v44
	v_add_co_ci_u32_e32 v45, vcc_lo, s9, v45, vcc_lo
	global_load_b64 v[52:53], v[44:45], off
	v_lshlrev_b64 v[44:45], 3, v[15:16]
	v_add_nc_u32_e32 v15, -13, v14
	s_delay_alu instid0(VALU_DEP_1) | instskip(SKIP_1) | instid1(VALU_DEP_4)
	v_lshlrev_b64 v[46:47], 3, v[15:16]
	v_add_nc_u32_e32 v15, -12, v14
	v_add_co_u32 v44, vcc_lo, s8, v44
	v_add_co_ci_u32_e32 v45, vcc_lo, s9, v45, vcc_lo
	s_delay_alu instid0(VALU_DEP_3) | instskip(SKIP_3) | instid1(VALU_DEP_4)
	v_lshlrev_b64 v[50:51], 3, v[15:16]
	v_add_co_u32 v46, vcc_lo, s8, v46
	v_add_co_ci_u32_e32 v47, vcc_lo, s9, v47, vcc_lo
	v_add_nc_u32_e32 v15, -11, v14
	v_add_co_u32 v50, vcc_lo, s8, v50
	v_add_co_ci_u32_e32 v51, vcc_lo, s9, v51, vcc_lo
	s_clause 0x2
	global_load_b64 v[54:55], v[44:45], off
	global_load_b64 v[56:57], v[46:47], off
	;; [unrolled: 1-line block ×3, first 2 shown]
	v_lshlrev_b64 v[44:45], 3, v[15:16]
	v_add_nc_u32_e32 v15, -10, v14
	s_delay_alu instid0(VALU_DEP_1) | instskip(SKIP_1) | instid1(VALU_DEP_4)
	v_lshlrev_b64 v[46:47], 3, v[15:16]
	v_add_nc_u32_e32 v15, -9, v14
	v_add_co_u32 v44, vcc_lo, s8, v44
	v_add_co_ci_u32_e32 v45, vcc_lo, s9, v45, vcc_lo
	s_delay_alu instid0(VALU_DEP_3)
	v_lshlrev_b64 v[50:51], 3, v[15:16]
	v_add_nc_u32_e32 v15, -8, v14
	global_load_b64 v[60:61], v[44:45], off
	v_add_co_u32 v44, vcc_lo, s8, v46
	v_add_co_ci_u32_e32 v45, vcc_lo, s9, v47, vcc_lo
	v_add_co_u32 v46, vcc_lo, s8, v50
	v_add_co_ci_u32_e32 v47, vcc_lo, s9, v51, vcc_lo
	s_clause 0x1
	global_load_b64 v[62:63], v[44:45], off
	global_load_b64 v[64:65], v[46:47], off
	s_clause 0x1
	global_load_b128 v[44:47], v[48:49], off offset:32
	global_load_b128 v[48:51], v[48:49], off offset:48
	v_lshlrev_b64 v[66:67], 3, v[15:16]
	v_add_nc_u32_e32 v15, -7, v14
	s_delay_alu instid0(VALU_DEP_1) | instskip(SKIP_1) | instid1(VALU_DEP_4)
	v_lshlrev_b64 v[68:69], 3, v[15:16]
	v_add_nc_u32_e32 v15, -6, v14
	v_add_co_u32 v66, vcc_lo, s8, v66
	v_add_co_ci_u32_e32 v67, vcc_lo, s9, v67, vcc_lo
	s_delay_alu instid0(VALU_DEP_3) | instskip(SKIP_3) | instid1(VALU_DEP_4)
	v_lshlrev_b64 v[70:71], 3, v[15:16]
	v_add_co_u32 v68, vcc_lo, s8, v68
	v_add_co_ci_u32_e32 v69, vcc_lo, s9, v69, vcc_lo
	v_add_nc_u32_e32 v15, -5, v14
	v_add_co_u32 v70, vcc_lo, s8, v70
	v_add_co_ci_u32_e32 v71, vcc_lo, s9, v71, vcc_lo
	s_clause 0x2
	global_load_b64 v[66:67], v[66:67], off
	global_load_b64 v[68:69], v[68:69], off
	;; [unrolled: 1-line block ×3, first 2 shown]
	v_lshlrev_b64 v[72:73], 3, v[15:16]
	v_add_nc_u32_e32 v15, -4, v14
	s_delay_alu instid0(VALU_DEP_1) | instskip(SKIP_1) | instid1(VALU_DEP_4)
	v_lshlrev_b64 v[74:75], 3, v[15:16]
	v_add_nc_u32_e32 v15, -3, v14
	v_add_co_u32 v72, vcc_lo, s8, v72
	v_add_co_ci_u32_e32 v73, vcc_lo, s9, v73, vcc_lo
	s_delay_alu instid0(VALU_DEP_3) | instskip(SKIP_3) | instid1(VALU_DEP_4)
	v_lshlrev_b64 v[76:77], 3, v[15:16]
	v_add_co_u32 v74, vcc_lo, s8, v74
	v_add_co_ci_u32_e32 v75, vcc_lo, s9, v75, vcc_lo
	v_mov_b32_e32 v15, v16
	v_add_co_u32 v76, vcc_lo, s8, v76
	v_add_co_ci_u32_e32 v77, vcc_lo, s9, v77, vcc_lo
	s_clause 0x2
	global_load_b64 v[72:73], v[72:73], off
	global_load_b64 v[74:75], v[74:75], off
	;; [unrolled: 1-line block ×3, first 2 shown]
	v_lshlrev_b64 v[78:79], 3, v[14:15]
	v_add_nc_u32_e32 v15, -2, v14
	s_delay_alu instid0(VALU_DEP_1) | instskip(SKIP_4) | instid1(VALU_DEP_4)
	v_lshlrev_b64 v[80:81], 3, v[15:16]
	v_add_nc_u32_e32 v15, -1, v14
	v_add_nc_u32_e32 v14, 0x180, v14
	v_add_co_u32 v78, vcc_lo, s8, v78
	v_add_co_ci_u32_e32 v79, vcc_lo, s9, v79, vcc_lo
	v_lshlrev_b64 v[82:83], 3, v[15:16]
	v_add_co_u32 v80, vcc_lo, s8, v80
	v_add_co_ci_u32_e32 v81, vcc_lo, s9, v81, vcc_lo
	s_delay_alu instid0(VALU_DEP_3) | instskip(NEXT) | instid1(VALU_DEP_4)
	v_add_co_u32 v82, vcc_lo, s8, v82
	v_add_co_ci_u32_e32 v83, vcc_lo, s9, v83, vcc_lo
	s_clause 0x2
	global_load_b64 v[80:81], v[80:81], off
	global_load_b64 v[82:83], v[82:83], off
	;; [unrolled: 1-line block ×3, first 2 shown]
	v_cmp_ge_i32_e32 vcc_lo, v17, v19
	s_or_b32 s4, vcc_lo, s4
	s_waitcnt vmcnt(21)
	v_fma_f64 v[6:7], v[24:25], v[28:29], v[6:7]
	v_fma_f64 v[12:13], v[26:27], v[28:29], v[12:13]
	;; [unrolled: 1-line block ×3, first 2 shown]
	s_delay_alu instid0(VALU_DEP_3) | instskip(SKIP_1) | instid1(VALU_DEP_3)
	v_fma_f64 v[6:7], v[22:23], v[30:31], v[6:7]
	s_waitcnt vmcnt(19)
	v_fma_f64 v[11:12], v[36:37], v[30:31], v[12:13]
	s_delay_alu instid0(VALU_DEP_3) | instskip(SKIP_1) | instid1(VALU_DEP_3)
	v_fma_f64 v[9:10], v[38:39], v[30:31], v[9:10]
	s_waitcnt vmcnt(18)
	v_fma_f64 v[6:7], v[40:41], v[32:33], v[6:7]
	;; [unrolled: 4-line block ×3, first 2 shown]
	s_waitcnt vmcnt(16)
	s_delay_alu instid0(VALU_DEP_3) | instskip(SKIP_1) | instid1(VALU_DEP_3)
	v_fma_f64 v[6:7], v[54:55], v[34:35], v[6:7]
	s_waitcnt vmcnt(15)
	v_fma_f64 v[11:12], v[56:57], v[34:35], v[11:12]
	s_waitcnt vmcnt(14)
	s_delay_alu instid0(VALU_DEP_3) | instskip(SKIP_1) | instid1(VALU_DEP_3)
	v_fma_f64 v[9:10], v[58:59], v[34:35], v[9:10]
	s_waitcnt vmcnt(10)
	v_fma_f64 v[6:7], v[60:61], v[44:45], v[6:7]
	s_delay_alu instid0(VALU_DEP_3) | instskip(NEXT) | instid1(VALU_DEP_3)
	v_fma_f64 v[11:12], v[62:63], v[44:45], v[11:12]
	v_fma_f64 v[9:10], v[64:65], v[44:45], v[9:10]
	s_waitcnt vmcnt(8)
	s_delay_alu instid0(VALU_DEP_3) | instskip(SKIP_1) | instid1(VALU_DEP_3)
	v_fma_f64 v[6:7], v[66:67], v[46:47], v[6:7]
	s_waitcnt vmcnt(7)
	v_fma_f64 v[11:12], v[68:69], v[46:47], v[11:12]
	s_waitcnt vmcnt(6)
	s_delay_alu instid0(VALU_DEP_3) | instskip(SKIP_1) | instid1(VALU_DEP_3)
	v_fma_f64 v[9:10], v[70:71], v[46:47], v[9:10]
	s_waitcnt vmcnt(5)
	;; [unrolled: 5-line block ×4, first 2 shown]
	v_fma_f64 v[12:13], v[82:83], v[50:51], v[11:12]
	s_waitcnt vmcnt(0)
	s_delay_alu instid0(VALU_DEP_3)
	v_fma_f64 v[10:11], v[78:79], v[50:51], v[9:10]
	s_and_not1_b32 exec_lo, exec_lo, s4
	s_cbranch_execnz .LBB69_9
; %bb.10:
	s_or_b32 exec_lo, exec_lo, s4
.LBB69_11:
	s_delay_alu instid0(SALU_CYCLE_1)
	s_or_b32 exec_lo, exec_lo, s3
	s_cbranch_execz .LBB69_13
	s_branch .LBB69_18
.LBB69_12:
                                        ; implicit-def: $vgpr6_vgpr7
                                        ; implicit-def: $vgpr10_vgpr11
                                        ; implicit-def: $vgpr12_vgpr13
.LBB69_13:
	v_mov_b32_e32 v6, 0
	v_mov_b32_e32 v7, 0
	s_delay_alu instid0(VALU_DEP_1)
	v_dual_mov_b32 v11, v7 :: v_dual_mov_b32 v10, v6
	v_dual_mov_b32 v13, v7 :: v_dual_mov_b32 v12, v6
	s_and_saveexec_b32 s3, s2
	s_cbranch_execz .LBB69_17
; %bb.14:
	v_mov_b32_e32 v6, 0
	v_dual_mov_b32 v7, 0 :: v_dual_mov_b32 v16, 0
	v_mad_u64_u32 v[14:15], null, v8, 24, 23
	s_mov_b32 s2, 0
	s_delay_alu instid0(VALU_DEP_2)
	v_dual_mov_b32 v11, v7 :: v_dual_mov_b32 v10, v6
	v_dual_mov_b32 v13, v7 :: v_dual_mov_b32 v12, v6
.LBB69_15:                              ; =>This Inner Loop Header: Depth=1
	v_ashrrev_i32_e32 v9, 31, v8
	s_delay_alu instid0(VALU_DEP_4) | instskip(SKIP_1) | instid1(VALU_DEP_3)
	v_subrev_nc_u32_e32 v15, 23, v14
	v_dual_mov_b32 v29, v16 :: v_dual_add_nc_u32 v20, -7, v14
	v_lshlrev_b64 v[17:18], 2, v[8:9]
	s_delay_alu instid0(VALU_DEP_3) | instskip(SKIP_2) | instid1(VALU_DEP_4)
	v_lshlrev_b64 v[22:23], 3, v[15:16]
	v_add_nc_u32_e32 v15, -14, v14
	v_add_nc_u32_e32 v8, 16, v8
	v_add_co_u32 v17, vcc_lo, s6, v17
	v_add_co_ci_u32_e32 v18, vcc_lo, s7, v18, vcc_lo
	v_add_co_u32 v40, vcc_lo, s8, v22
	v_add_co_ci_u32_e32 v41, vcc_lo, s9, v23, vcc_lo
	global_load_b32 v9, v[17:18], off
	v_dual_mov_b32 v18, v16 :: v_dual_add_nc_u32 v17, -15, v14
	v_lshlrev_b64 v[36:37], 3, v[15:16]
	v_add_nc_u32_e32 v15, -6, v14
	s_delay_alu instid0(VALU_DEP_3) | instskip(NEXT) | instid1(VALU_DEP_2)
	v_lshlrev_b64 v[17:18], 3, v[17:18]
	v_lshlrev_b64 v[38:39], 3, v[15:16]
	v_add_nc_u32_e32 v15, -13, v14
	s_delay_alu instid0(VALU_DEP_3) | instskip(NEXT) | instid1(VALU_DEP_4)
	v_add_co_u32 v17, vcc_lo, s8, v17
	v_add_co_ci_u32_e32 v18, vcc_lo, s9, v18, vcc_lo
	s_waitcnt vmcnt(0)
	v_subrev_nc_u32_e32 v9, s12, v9
	s_delay_alu instid0(VALU_DEP_1) | instskip(NEXT) | instid1(VALU_DEP_1)
	v_dual_mov_b32 v21, v16 :: v_dual_lshlrev_b32 v28, 3, v9
	v_lshlrev_b64 v[20:21], 3, v[20:21]
	s_delay_alu instid0(VALU_DEP_2) | instskip(NEXT) | instid1(VALU_DEP_2)
	v_lshlrev_b64 v[28:29], 3, v[28:29]
	v_add_co_u32 v30, vcc_lo, s8, v20
	s_delay_alu instid0(VALU_DEP_3) | instskip(NEXT) | instid1(VALU_DEP_3)
	v_add_co_ci_u32_e32 v31, vcc_lo, s9, v21, vcc_lo
	v_add_co_u32 v48, vcc_lo, s10, v28
	s_delay_alu instid0(VALU_DEP_4)
	v_add_co_ci_u32_e32 v49, vcc_lo, s11, v29, vcc_lo
	s_clause 0x3
	global_load_b128 v[20:23], v[40:41], off offset:16
	global_load_b128 v[24:27], v[40:41], off
	global_load_b64 v[17:18], v[17:18], off
	global_load_b64 v[52:53], v[30:31], off
	s_clause 0x1
	global_load_b128 v[28:31], v[48:49], off
	global_load_b128 v[32:35], v[48:49], off offset:16
	v_add_co_u32 v36, vcc_lo, s8, v36
	v_add_co_ci_u32_e32 v37, vcc_lo, s9, v37, vcc_lo
	v_add_co_u32 v38, vcc_lo, s8, v38
	v_add_co_ci_u32_e32 v39, vcc_lo, s9, v39, vcc_lo
	s_clause 0x1
	global_load_b64 v[54:55], v[36:37], off
	global_load_b64 v[56:57], v[38:39], off
	v_lshlrev_b64 v[36:37], 3, v[15:16]
	v_add_nc_u32_e32 v15, -5, v14
	s_delay_alu instid0(VALU_DEP_1) | instskip(NEXT) | instid1(VALU_DEP_3)
	v_lshlrev_b64 v[38:39], 3, v[15:16]
	v_add_co_u32 v36, vcc_lo, s8, v36
	s_delay_alu instid0(VALU_DEP_4) | instskip(SKIP_1) | instid1(VALU_DEP_4)
	v_add_co_ci_u32_e32 v37, vcc_lo, s9, v37, vcc_lo
	v_add_nc_u32_e32 v15, -12, v14
	v_add_co_u32 v38, vcc_lo, s8, v38
	v_add_co_ci_u32_e32 v39, vcc_lo, s9, v39, vcc_lo
	s_clause 0x1
	global_load_b64 v[58:59], v[36:37], off
	global_load_b64 v[60:61], v[38:39], off
	v_lshlrev_b64 v[36:37], 3, v[15:16]
	v_add_nc_u32_e32 v15, -4, v14
	s_delay_alu instid0(VALU_DEP_1) | instskip(NEXT) | instid1(VALU_DEP_3)
	v_lshlrev_b64 v[38:39], 3, v[15:16]
	v_add_co_u32 v36, vcc_lo, s8, v36
	s_delay_alu instid0(VALU_DEP_4) | instskip(SKIP_1) | instid1(VALU_DEP_4)
	v_add_co_ci_u32_e32 v37, vcc_lo, s9, v37, vcc_lo
	v_add_nc_u32_e32 v15, -11, v14
	v_add_co_u32 v38, vcc_lo, s8, v38
	v_add_co_ci_u32_e32 v39, vcc_lo, s9, v39, vcc_lo
	s_clause 0x3
	global_load_b64 v[62:63], v[36:37], off
	global_load_b64 v[64:65], v[38:39], off
	global_load_b128 v[36:39], v[40:41], off offset:48
	global_load_b128 v[40:43], v[40:41], off offset:32
	v_lshlrev_b64 v[44:45], 3, v[15:16]
	v_add_nc_u32_e32 v15, -3, v14
	s_delay_alu instid0(VALU_DEP_1) | instskip(NEXT) | instid1(VALU_DEP_3)
	v_lshlrev_b64 v[46:47], 3, v[15:16]
	v_add_co_u32 v44, vcc_lo, s8, v44
	s_delay_alu instid0(VALU_DEP_4) | instskip(SKIP_1) | instid1(VALU_DEP_4)
	v_add_co_ci_u32_e32 v45, vcc_lo, s9, v45, vcc_lo
	v_add_nc_u32_e32 v15, -10, v14
	v_add_co_u32 v46, vcc_lo, s8, v46
	v_add_co_ci_u32_e32 v47, vcc_lo, s9, v47, vcc_lo
	s_clause 0x1
	global_load_b64 v[66:67], v[44:45], off
	global_load_b64 v[68:69], v[46:47], off
	s_clause 0x1
	global_load_b128 v[44:47], v[48:49], off offset:32
	global_load_b128 v[48:51], v[48:49], off offset:48
	v_lshlrev_b64 v[70:71], 3, v[15:16]
	v_add_nc_u32_e32 v15, -2, v14
	s_delay_alu instid0(VALU_DEP_1) | instskip(NEXT) | instid1(VALU_DEP_3)
	v_lshlrev_b64 v[72:73], 3, v[15:16]
	v_add_co_u32 v70, vcc_lo, s8, v70
	s_delay_alu instid0(VALU_DEP_4) | instskip(SKIP_1) | instid1(VALU_DEP_4)
	v_add_co_ci_u32_e32 v71, vcc_lo, s9, v71, vcc_lo
	v_add_nc_u32_e32 v15, -9, v14
	v_add_co_u32 v72, vcc_lo, s8, v72
	v_add_co_ci_u32_e32 v73, vcc_lo, s9, v73, vcc_lo
	s_clause 0x1
	global_load_b64 v[70:71], v[70:71], off
	global_load_b64 v[72:73], v[72:73], off
	v_lshlrev_b64 v[74:75], 3, v[15:16]
	v_add_nc_u32_e32 v15, -1, v14
	s_delay_alu instid0(VALU_DEP_1) | instskip(NEXT) | instid1(VALU_DEP_3)
	v_lshlrev_b64 v[76:77], 3, v[15:16]
	v_add_co_u32 v74, vcc_lo, s8, v74
	s_delay_alu instid0(VALU_DEP_4) | instskip(SKIP_1) | instid1(VALU_DEP_4)
	v_add_co_ci_u32_e32 v75, vcc_lo, s9, v75, vcc_lo
	v_mov_b32_e32 v15, v16
	v_add_co_u32 v76, vcc_lo, s8, v76
	v_add_co_ci_u32_e32 v77, vcc_lo, s9, v77, vcc_lo
	s_clause 0x1
	global_load_b64 v[74:75], v[74:75], off
	global_load_b64 v[76:77], v[76:77], off
	v_lshlrev_b64 v[78:79], 3, v[14:15]
	v_add_nc_u32_e32 v15, -8, v14
	v_add_nc_u32_e32 v14, 0x180, v14
	s_delay_alu instid0(VALU_DEP_2) | instskip(NEXT) | instid1(VALU_DEP_4)
	v_lshlrev_b64 v[80:81], 3, v[15:16]
	v_add_co_u32 v78, vcc_lo, s8, v78
	v_add_co_ci_u32_e32 v79, vcc_lo, s9, v79, vcc_lo
	s_delay_alu instid0(VALU_DEP_3) | instskip(NEXT) | instid1(VALU_DEP_4)
	v_add_co_u32 v80, vcc_lo, s8, v80
	v_add_co_ci_u32_e32 v81, vcc_lo, s9, v81, vcc_lo
	s_clause 0x1
	global_load_b64 v[80:81], v[80:81], off
	global_load_b64 v[78:79], v[78:79], off
	v_cmp_ge_i32_e32 vcc_lo, v8, v19
	s_or_b32 s2, vcc_lo, s2
	s_waitcnt vmcnt(19)
	v_fma_f64 v[6:7], v[24:25], v[28:29], v[6:7]
	v_fma_f64 v[12:13], v[17:18], v[28:29], v[12:13]
	;; [unrolled: 1-line block ×3, first 2 shown]
	s_delay_alu instid0(VALU_DEP_3) | instskip(SKIP_1) | instid1(VALU_DEP_3)
	v_fma_f64 v[6:7], v[26:27], v[30:31], v[6:7]
	s_waitcnt vmcnt(17)
	v_fma_f64 v[11:12], v[54:55], v[30:31], v[12:13]
	s_waitcnt vmcnt(16)
	s_delay_alu instid0(VALU_DEP_3) | instskip(NEXT) | instid1(VALU_DEP_3)
	v_fma_f64 v[9:10], v[56:57], v[30:31], v[9:10]
	v_fma_f64 v[6:7], v[20:21], v[32:33], v[6:7]
	s_waitcnt vmcnt(15)
	s_delay_alu instid0(VALU_DEP_3) | instskip(SKIP_1) | instid1(VALU_DEP_3)
	v_fma_f64 v[11:12], v[58:59], v[32:33], v[11:12]
	s_waitcnt vmcnt(14)
	v_fma_f64 v[9:10], v[60:61], v[32:33], v[9:10]
	s_delay_alu instid0(VALU_DEP_3) | instskip(SKIP_1) | instid1(VALU_DEP_3)
	v_fma_f64 v[6:7], v[22:23], v[34:35], v[6:7]
	s_waitcnt vmcnt(13)
	v_fma_f64 v[11:12], v[62:63], v[34:35], v[11:12]
	s_waitcnt vmcnt(12)
	s_delay_alu instid0(VALU_DEP_3) | instskip(SKIP_1) | instid1(VALU_DEP_3)
	v_fma_f64 v[9:10], v[64:65], v[34:35], v[9:10]
	s_waitcnt vmcnt(7)
	v_fma_f64 v[6:7], v[40:41], v[44:45], v[6:7]
	s_delay_alu instid0(VALU_DEP_3) | instskip(NEXT) | instid1(VALU_DEP_3)
	v_fma_f64 v[11:12], v[66:67], v[44:45], v[11:12]
	v_fma_f64 v[9:10], v[68:69], v[44:45], v[9:10]
	s_delay_alu instid0(VALU_DEP_3) | instskip(SKIP_1) | instid1(VALU_DEP_3)
	v_fma_f64 v[6:7], v[42:43], v[46:47], v[6:7]
	s_waitcnt vmcnt(5)
	v_fma_f64 v[11:12], v[70:71], v[46:47], v[11:12]
	s_waitcnt vmcnt(4)
	s_delay_alu instid0(VALU_DEP_3) | instskip(NEXT) | instid1(VALU_DEP_3)
	v_fma_f64 v[9:10], v[72:73], v[46:47], v[9:10]
	v_fma_f64 v[6:7], v[36:37], v[48:49], v[6:7]
	s_waitcnt vmcnt(3)
	s_delay_alu instid0(VALU_DEP_3) | instskip(SKIP_1) | instid1(VALU_DEP_3)
	v_fma_f64 v[11:12], v[74:75], v[48:49], v[11:12]
	s_waitcnt vmcnt(2)
	v_fma_f64 v[9:10], v[76:77], v[48:49], v[9:10]
	s_delay_alu instid0(VALU_DEP_3) | instskip(SKIP_1) | instid1(VALU_DEP_3)
	v_fma_f64 v[6:7], v[38:39], v[50:51], v[6:7]
	s_waitcnt vmcnt(1)
	v_fma_f64 v[12:13], v[80:81], v[50:51], v[11:12]
	s_waitcnt vmcnt(0)
	s_delay_alu instid0(VALU_DEP_3)
	v_fma_f64 v[10:11], v[78:79], v[50:51], v[9:10]
	s_and_not1_b32 exec_lo, exec_lo, s2
	s_cbranch_execnz .LBB69_15
; %bb.16:
	s_or_b32 exec_lo, exec_lo, s2
.LBB69_17:
	s_delay_alu instid0(SALU_CYCLE_1)
	s_or_b32 exec_lo, exec_lo, s3
.LBB69_18:
	v_mbcnt_lo_u32_b32 v18, -1, 0
	s_delay_alu instid0(VALU_DEP_1) | instskip(NEXT) | instid1(VALU_DEP_1)
	v_xor_b32_e32 v8, 8, v18
	v_cmp_gt_i32_e32 vcc_lo, 32, v8
	v_cndmask_b32_e32 v8, v18, v8, vcc_lo
	s_delay_alu instid0(VALU_DEP_1)
	v_lshlrev_b32_e32 v17, 2, v8
	ds_bpermute_b32 v8, v17, v6
	ds_bpermute_b32 v9, v17, v7
	;; [unrolled: 1-line block ×6, first 2 shown]
	s_waitcnt lgkmcnt(4)
	v_add_f64 v[6:7], v[6:7], v[8:9]
	s_waitcnt lgkmcnt(2)
	v_add_f64 v[8:9], v[12:13], v[14:15]
	v_xor_b32_e32 v12, 4, v18
	s_waitcnt lgkmcnt(0)
	v_add_f64 v[10:11], v[10:11], v[16:17]
	s_delay_alu instid0(VALU_DEP_2) | instskip(SKIP_1) | instid1(VALU_DEP_1)
	v_cmp_gt_i32_e32 vcc_lo, 32, v12
	v_cndmask_b32_e32 v12, v18, v12, vcc_lo
	v_lshlrev_b32_e32 v17, 2, v12
	ds_bpermute_b32 v12, v17, v6
	ds_bpermute_b32 v13, v17, v7
	;; [unrolled: 1-line block ×6, first 2 shown]
	s_waitcnt lgkmcnt(4)
	v_add_f64 v[6:7], v[6:7], v[12:13]
	s_waitcnt lgkmcnt(2)
	v_add_f64 v[12:13], v[8:9], v[14:15]
	v_xor_b32_e32 v8, 2, v18
	s_waitcnt lgkmcnt(0)
	v_add_f64 v[10:11], v[10:11], v[16:17]
	s_delay_alu instid0(VALU_DEP_2) | instskip(SKIP_1) | instid1(VALU_DEP_1)
	v_cmp_gt_i32_e32 vcc_lo, 32, v8
	v_cndmask_b32_e32 v8, v18, v8, vcc_lo
	v_lshlrev_b32_e32 v17, 2, v8
	ds_bpermute_b32 v8, v17, v6
	ds_bpermute_b32 v9, v17, v7
	;; [unrolled: 1-line block ×6, first 2 shown]
	s_waitcnt lgkmcnt(4)
	v_add_f64 v[8:9], v[6:7], v[8:9]
	s_waitcnt lgkmcnt(2)
	v_add_f64 v[6:7], v[12:13], v[14:15]
	;; [unrolled: 2-line block ×3, first 2 shown]
	v_xor_b32_e32 v10, 1, v18
	s_delay_alu instid0(VALU_DEP_1) | instskip(SKIP_2) | instid1(VALU_DEP_2)
	v_cmp_gt_i32_e32 vcc_lo, 32, v10
	v_cndmask_b32_e32 v10, v18, v10, vcc_lo
	v_cmp_eq_u32_e32 vcc_lo, 15, v0
	v_lshlrev_b32_e32 v15, 2, v10
	ds_bpermute_b32 v10, v15, v8
	ds_bpermute_b32 v11, v15, v9
	;; [unrolled: 1-line block ×6, first 2 shown]
	s_and_b32 exec_lo, exec_lo, vcc_lo
	s_cbranch_execz .LBB69_23
; %bb.19:
	s_waitcnt lgkmcnt(4)
	v_add_f64 v[10:11], v[8:9], v[10:11]
	s_waitcnt lgkmcnt(2)
	v_add_f64 v[8:9], v[6:7], v[16:17]
	;; [unrolled: 2-line block ×3, first 2 shown]
	s_load_b64 s[0:1], s[0:1], 0x38
	s_mov_b32 s2, exec_lo
	v_cmpx_eq_f64_e32 0, v[3:4]
	s_xor_b32 s2, exec_lo, s2
	s_cbranch_execz .LBB69_21
; %bb.20:
	s_delay_alu instid0(VALU_DEP_4) | instskip(NEXT) | instid1(VALU_DEP_4)
	v_mul_f64 v[10:11], v[1:2], v[10:11]
	v_mul_f64 v[12:13], v[1:2], v[8:9]
	s_delay_alu instid0(VALU_DEP_4) | instskip(SKIP_1) | instid1(VALU_DEP_1)
	v_mul_f64 v[0:1], v[1:2], v[6:7]
	v_lshl_add_u32 v2, v5, 1, v5
                                        ; implicit-def: $vgpr5
                                        ; implicit-def: $vgpr8_vgpr9
                                        ; implicit-def: $vgpr6_vgpr7
	v_ashrrev_i32_e32 v3, 31, v2
	s_delay_alu instid0(VALU_DEP_1) | instskip(SKIP_1) | instid1(VALU_DEP_1)
	v_lshlrev_b64 v[2:3], 3, v[2:3]
	s_waitcnt lgkmcnt(0)
	v_add_co_u32 v2, vcc_lo, s0, v2
	s_delay_alu instid0(VALU_DEP_2)
	v_add_co_ci_u32_e32 v3, vcc_lo, s1, v3, vcc_lo
	s_clause 0x1
	global_store_b128 v[2:3], v[10:13], off
	global_store_b64 v[2:3], v[0:1], off offset:16
                                        ; implicit-def: $vgpr1_vgpr2
                                        ; implicit-def: $vgpr10_vgpr11
                                        ; implicit-def: $vgpr3_vgpr4
.LBB69_21:
	s_and_not1_saveexec_b32 s2, s2
	s_cbranch_execz .LBB69_23
; %bb.22:
	v_lshl_add_u32 v12, v5, 1, v5
	v_mul_f64 v[10:11], v[1:2], v[10:11]
	v_mul_f64 v[8:9], v[1:2], v[8:9]
	;; [unrolled: 1-line block ×3, first 2 shown]
	s_delay_alu instid0(VALU_DEP_4) | instskip(NEXT) | instid1(VALU_DEP_1)
	v_ashrrev_i32_e32 v13, 31, v12
	v_lshlrev_b64 v[12:13], 3, v[12:13]
	s_waitcnt lgkmcnt(0)
	s_delay_alu instid0(VALU_DEP_1) | instskip(NEXT) | instid1(VALU_DEP_2)
	v_add_co_u32 v16, vcc_lo, s0, v12
	v_add_co_ci_u32_e32 v17, vcc_lo, s1, v13, vcc_lo
	s_clause 0x1
	global_load_b128 v[12:15], v[16:17], off
	global_load_b64 v[18:19], v[16:17], off offset:16
	s_waitcnt vmcnt(1)
	v_fma_f64 v[5:6], v[3:4], v[12:13], v[10:11]
	v_fma_f64 v[7:8], v[3:4], v[14:15], v[8:9]
	s_waitcnt vmcnt(0)
	v_fma_f64 v[0:1], v[3:4], v[18:19], v[0:1]
	s_clause 0x1
	global_store_b128 v[16:17], v[5:8], off
	global_store_b64 v[16:17], v[0:1], off offset:16
.LBB69_23:
	s_nop 0
	s_sendmsg sendmsg(MSG_DEALLOC_VGPRS)
	s_endpgm
	.section	.rodata,"a",@progbits
	.p2align	6, 0x0
	.amdhsa_kernel _ZN9rocsparseL19gebsrmvn_3xn_kernelILj128ELj8ELj16EdEEvi20rocsparse_direction_NS_24const_host_device_scalarIT2_EEPKiS6_PKS3_S8_S4_PS3_21rocsparse_index_base_b
		.amdhsa_group_segment_fixed_size 0
		.amdhsa_private_segment_fixed_size 0
		.amdhsa_kernarg_size 72
		.amdhsa_user_sgpr_count 15
		.amdhsa_user_sgpr_dispatch_ptr 0
		.amdhsa_user_sgpr_queue_ptr 0
		.amdhsa_user_sgpr_kernarg_segment_ptr 1
		.amdhsa_user_sgpr_dispatch_id 0
		.amdhsa_user_sgpr_private_segment_size 0
		.amdhsa_wavefront_size32 1
		.amdhsa_uses_dynamic_stack 0
		.amdhsa_enable_private_segment 0
		.amdhsa_system_sgpr_workgroup_id_x 1
		.amdhsa_system_sgpr_workgroup_id_y 0
		.amdhsa_system_sgpr_workgroup_id_z 0
		.amdhsa_system_sgpr_workgroup_info 0
		.amdhsa_system_vgpr_workitem_id 0
		.amdhsa_next_free_vgpr 84
		.amdhsa_next_free_sgpr 16
		.amdhsa_reserve_vcc 1
		.amdhsa_float_round_mode_32 0
		.amdhsa_float_round_mode_16_64 0
		.amdhsa_float_denorm_mode_32 3
		.amdhsa_float_denorm_mode_16_64 3
		.amdhsa_dx10_clamp 1
		.amdhsa_ieee_mode 1
		.amdhsa_fp16_overflow 0
		.amdhsa_workgroup_processor_mode 1
		.amdhsa_memory_ordered 1
		.amdhsa_forward_progress 0
		.amdhsa_shared_vgpr_count 0
		.amdhsa_exception_fp_ieee_invalid_op 0
		.amdhsa_exception_fp_denorm_src 0
		.amdhsa_exception_fp_ieee_div_zero 0
		.amdhsa_exception_fp_ieee_overflow 0
		.amdhsa_exception_fp_ieee_underflow 0
		.amdhsa_exception_fp_ieee_inexact 0
		.amdhsa_exception_int_div_zero 0
	.end_amdhsa_kernel
	.section	.text._ZN9rocsparseL19gebsrmvn_3xn_kernelILj128ELj8ELj16EdEEvi20rocsparse_direction_NS_24const_host_device_scalarIT2_EEPKiS6_PKS3_S8_S4_PS3_21rocsparse_index_base_b,"axG",@progbits,_ZN9rocsparseL19gebsrmvn_3xn_kernelILj128ELj8ELj16EdEEvi20rocsparse_direction_NS_24const_host_device_scalarIT2_EEPKiS6_PKS3_S8_S4_PS3_21rocsparse_index_base_b,comdat
.Lfunc_end69:
	.size	_ZN9rocsparseL19gebsrmvn_3xn_kernelILj128ELj8ELj16EdEEvi20rocsparse_direction_NS_24const_host_device_scalarIT2_EEPKiS6_PKS3_S8_S4_PS3_21rocsparse_index_base_b, .Lfunc_end69-_ZN9rocsparseL19gebsrmvn_3xn_kernelILj128ELj8ELj16EdEEvi20rocsparse_direction_NS_24const_host_device_scalarIT2_EEPKiS6_PKS3_S8_S4_PS3_21rocsparse_index_base_b
                                        ; -- End function
	.section	.AMDGPU.csdata,"",@progbits
; Kernel info:
; codeLenInByte = 3400
; NumSgprs: 18
; NumVgprs: 84
; ScratchSize: 0
; MemoryBound: 1
; FloatMode: 240
; IeeeMode: 1
; LDSByteSize: 0 bytes/workgroup (compile time only)
; SGPRBlocks: 2
; VGPRBlocks: 10
; NumSGPRsForWavesPerEU: 18
; NumVGPRsForWavesPerEU: 84
; Occupancy: 16
; WaveLimiterHint : 1
; COMPUTE_PGM_RSRC2:SCRATCH_EN: 0
; COMPUTE_PGM_RSRC2:USER_SGPR: 15
; COMPUTE_PGM_RSRC2:TRAP_HANDLER: 0
; COMPUTE_PGM_RSRC2:TGID_X_EN: 1
; COMPUTE_PGM_RSRC2:TGID_Y_EN: 0
; COMPUTE_PGM_RSRC2:TGID_Z_EN: 0
; COMPUTE_PGM_RSRC2:TIDIG_COMP_CNT: 0
	.section	.text._ZN9rocsparseL19gebsrmvn_3xn_kernelILj128ELj8ELj32EdEEvi20rocsparse_direction_NS_24const_host_device_scalarIT2_EEPKiS6_PKS3_S8_S4_PS3_21rocsparse_index_base_b,"axG",@progbits,_ZN9rocsparseL19gebsrmvn_3xn_kernelILj128ELj8ELj32EdEEvi20rocsparse_direction_NS_24const_host_device_scalarIT2_EEPKiS6_PKS3_S8_S4_PS3_21rocsparse_index_base_b,comdat
	.globl	_ZN9rocsparseL19gebsrmvn_3xn_kernelILj128ELj8ELj32EdEEvi20rocsparse_direction_NS_24const_host_device_scalarIT2_EEPKiS6_PKS3_S8_S4_PS3_21rocsparse_index_base_b ; -- Begin function _ZN9rocsparseL19gebsrmvn_3xn_kernelILj128ELj8ELj32EdEEvi20rocsparse_direction_NS_24const_host_device_scalarIT2_EEPKiS6_PKS3_S8_S4_PS3_21rocsparse_index_base_b
	.p2align	8
	.type	_ZN9rocsparseL19gebsrmvn_3xn_kernelILj128ELj8ELj32EdEEvi20rocsparse_direction_NS_24const_host_device_scalarIT2_EEPKiS6_PKS3_S8_S4_PS3_21rocsparse_index_base_b,@function
_ZN9rocsparseL19gebsrmvn_3xn_kernelILj128ELj8ELj32EdEEvi20rocsparse_direction_NS_24const_host_device_scalarIT2_EEPKiS6_PKS3_S8_S4_PS3_21rocsparse_index_base_b: ; @_ZN9rocsparseL19gebsrmvn_3xn_kernelILj128ELj8ELj32EdEEvi20rocsparse_direction_NS_24const_host_device_scalarIT2_EEPKiS6_PKS3_S8_S4_PS3_21rocsparse_index_base_b
; %bb.0:
	s_clause 0x2
	s_load_b64 s[12:13], s[0:1], 0x40
	s_load_b64 s[4:5], s[0:1], 0x8
	;; [unrolled: 1-line block ×3, first 2 shown]
	s_waitcnt lgkmcnt(0)
	s_bitcmp1_b32 s13, 0
	v_dual_mov_b32 v1, s4 :: v_dual_mov_b32 v2, s5
	s_cselect_b32 s6, -1, 0
	s_delay_alu instid0(SALU_CYCLE_1)
	s_and_b32 vcc_lo, exec_lo, s6
	s_xor_b32 s6, s6, -1
	s_cbranch_vccnz .LBB70_2
; %bb.1:
	v_dual_mov_b32 v1, s4 :: v_dual_mov_b32 v2, s5
	flat_load_b64 v[1:2], v[1:2]
.LBB70_2:
	v_dual_mov_b32 v4, s3 :: v_dual_mov_b32 v3, s2
	s_and_not1_b32 vcc_lo, exec_lo, s6
	s_cbranch_vccnz .LBB70_4
; %bb.3:
	v_dual_mov_b32 v4, s3 :: v_dual_mov_b32 v3, s2
	flat_load_b64 v[3:4], v[3:4]
.LBB70_4:
	s_waitcnt vmcnt(0) lgkmcnt(0)
	v_cmp_neq_f64_e32 vcc_lo, 0, v[1:2]
	v_cmp_neq_f64_e64 s2, 1.0, v[3:4]
	s_delay_alu instid0(VALU_DEP_1) | instskip(NEXT) | instid1(SALU_CYCLE_1)
	s_or_b32 s2, vcc_lo, s2
	s_and_saveexec_b32 s3, s2
	s_cbranch_execz .LBB70_23
; %bb.5:
	s_load_b64 s[2:3], s[0:1], 0x0
	v_lshrrev_b32_e32 v5, 5, v0
	s_delay_alu instid0(VALU_DEP_1) | instskip(SKIP_1) | instid1(VALU_DEP_1)
	v_lshl_or_b32 v5, s15, 2, v5
	s_waitcnt lgkmcnt(0)
	v_cmp_gt_i32_e32 vcc_lo, s2, v5
	s_and_b32 exec_lo, exec_lo, vcc_lo
	s_cbranch_execz .LBB70_23
; %bb.6:
	s_load_b256 s[4:11], s[0:1], 0x10
	v_ashrrev_i32_e32 v6, 31, v5
	v_and_b32_e32 v0, 31, v0
	s_cmp_lg_u32 s3, 0
	s_delay_alu instid0(VALU_DEP_2) | instskip(SKIP_1) | instid1(VALU_DEP_1)
	v_lshlrev_b64 v[6:7], 2, v[5:6]
	s_waitcnt lgkmcnt(0)
	v_add_co_u32 v6, vcc_lo, s4, v6
	s_delay_alu instid0(VALU_DEP_2) | instskip(SKIP_4) | instid1(VALU_DEP_2)
	v_add_co_ci_u32_e32 v7, vcc_lo, s5, v7, vcc_lo
	global_load_b64 v[6:7], v[6:7], off
	s_waitcnt vmcnt(0)
	v_subrev_nc_u32_e32 v6, s12, v6
	v_subrev_nc_u32_e32 v18, s12, v7
	v_add_nc_u32_e32 v12, v6, v0
	s_delay_alu instid0(VALU_DEP_1)
	v_cmp_lt_i32_e64 s2, v12, v18
	s_cbranch_scc0 .LBB70_12
; %bb.7:
	v_mov_b32_e32 v6, 0
	v_mov_b32_e32 v7, 0
	s_delay_alu instid0(VALU_DEP_1)
	v_dual_mov_b32 v9, v7 :: v_dual_mov_b32 v8, v6
	v_dual_mov_b32 v11, v7 :: v_dual_mov_b32 v10, v6
	s_and_saveexec_b32 s3, s2
	s_cbranch_execz .LBB70_11
; %bb.8:
	v_dual_mov_b32 v6, 0 :: v_dual_mov_b32 v15, 0
	v_dual_mov_b32 v7, 0 :: v_dual_mov_b32 v16, v12
	v_mad_u64_u32 v[13:14], null, v12, 24, 23
	s_mov_b32 s4, 0
	s_delay_alu instid0(VALU_DEP_2)
	v_dual_mov_b32 v9, v7 :: v_dual_mov_b32 v8, v6
	v_dual_mov_b32 v11, v7 :: v_dual_mov_b32 v10, v6
.LBB70_9:                               ; =>This Inner Loop Header: Depth=1
	v_ashrrev_i32_e32 v17, 31, v16
	s_delay_alu instid0(VALU_DEP_4) | instskip(NEXT) | instid1(VALU_DEP_2)
	v_subrev_nc_u32_e32 v14, 23, v13
	v_lshlrev_b64 v[19:20], 2, v[16:17]
	s_delay_alu instid0(VALU_DEP_2) | instskip(SKIP_1) | instid1(VALU_DEP_3)
	v_lshlrev_b64 v[21:22], 3, v[14:15]
	v_add_nc_u32_e32 v16, 32, v16
	v_add_co_u32 v19, vcc_lo, s6, v19
	s_delay_alu instid0(VALU_DEP_4) | instskip(NEXT) | instid1(VALU_DEP_4)
	v_add_co_ci_u32_e32 v20, vcc_lo, s7, v20, vcc_lo
	v_add_co_u32 v39, vcc_lo, s8, v21
	v_add_co_ci_u32_e32 v40, vcc_lo, s9, v22, vcc_lo
	global_load_b32 v17, v[19:20], off
	s_waitcnt vmcnt(0)
	v_subrev_nc_u32_e32 v14, s12, v17
	s_delay_alu instid0(VALU_DEP_1) | instskip(SKIP_1) | instid1(VALU_DEP_2)
	v_dual_mov_b32 v20, v15 :: v_dual_lshlrev_b32 v19, 3, v14
	v_add_nc_u32_e32 v14, -15, v13
	v_lshlrev_b64 v[19:20], 3, v[19:20]
	s_delay_alu instid0(VALU_DEP_2) | instskip(SKIP_1) | instid1(VALU_DEP_3)
	v_lshlrev_b64 v[43:44], 3, v[14:15]
	v_add_nc_u32_e32 v14, -14, v13
	v_add_co_u32 v47, vcc_lo, s10, v19
	s_delay_alu instid0(VALU_DEP_4)
	v_add_co_ci_u32_e32 v48, vcc_lo, s11, v20, vcc_lo
	s_clause 0x1
	global_load_b128 v[19:22], v[39:40], off offset:16
	global_load_b128 v[23:26], v[39:40], off
	s_clause 0x1
	global_load_b128 v[27:30], v[47:48], off
	global_load_b128 v[31:34], v[47:48], off offset:16
	s_clause 0x1
	global_load_b128 v[35:38], v[39:40], off offset:32
	global_load_b128 v[39:42], v[39:40], off offset:48
	v_add_co_u32 v43, vcc_lo, s8, v43
	v_add_co_ci_u32_e32 v44, vcc_lo, s9, v44, vcc_lo
	global_load_b64 v[51:52], v[43:44], off
	v_lshlrev_b64 v[43:44], 3, v[14:15]
	v_add_nc_u32_e32 v14, -13, v13
	s_delay_alu instid0(VALU_DEP_1) | instskip(SKIP_1) | instid1(VALU_DEP_4)
	v_lshlrev_b64 v[45:46], 3, v[14:15]
	v_add_nc_u32_e32 v14, -12, v13
	v_add_co_u32 v43, vcc_lo, s8, v43
	v_add_co_ci_u32_e32 v44, vcc_lo, s9, v44, vcc_lo
	s_delay_alu instid0(VALU_DEP_3) | instskip(SKIP_3) | instid1(VALU_DEP_4)
	v_lshlrev_b64 v[49:50], 3, v[14:15]
	v_add_co_u32 v45, vcc_lo, s8, v45
	v_add_co_ci_u32_e32 v46, vcc_lo, s9, v46, vcc_lo
	v_add_nc_u32_e32 v14, -11, v13
	v_add_co_u32 v49, vcc_lo, s8, v49
	v_add_co_ci_u32_e32 v50, vcc_lo, s9, v50, vcc_lo
	s_clause 0x2
	global_load_b64 v[53:54], v[43:44], off
	global_load_b64 v[55:56], v[45:46], off
	;; [unrolled: 1-line block ×3, first 2 shown]
	v_lshlrev_b64 v[43:44], 3, v[14:15]
	v_add_nc_u32_e32 v14, -10, v13
	s_delay_alu instid0(VALU_DEP_1) | instskip(SKIP_1) | instid1(VALU_DEP_4)
	v_lshlrev_b64 v[45:46], 3, v[14:15]
	v_add_nc_u32_e32 v14, -9, v13
	v_add_co_u32 v43, vcc_lo, s8, v43
	v_add_co_ci_u32_e32 v44, vcc_lo, s9, v44, vcc_lo
	s_delay_alu instid0(VALU_DEP_3)
	v_lshlrev_b64 v[49:50], 3, v[14:15]
	v_add_nc_u32_e32 v14, -8, v13
	global_load_b64 v[59:60], v[43:44], off
	v_add_co_u32 v43, vcc_lo, s8, v45
	v_add_co_ci_u32_e32 v44, vcc_lo, s9, v46, vcc_lo
	v_add_co_u32 v45, vcc_lo, s8, v49
	v_add_co_ci_u32_e32 v46, vcc_lo, s9, v50, vcc_lo
	s_clause 0x1
	global_load_b64 v[61:62], v[43:44], off
	global_load_b64 v[63:64], v[45:46], off
	s_clause 0x1
	global_load_b128 v[43:46], v[47:48], off offset:32
	global_load_b128 v[47:50], v[47:48], off offset:48
	v_lshlrev_b64 v[65:66], 3, v[14:15]
	v_add_nc_u32_e32 v14, -7, v13
	s_delay_alu instid0(VALU_DEP_1) | instskip(SKIP_1) | instid1(VALU_DEP_4)
	v_lshlrev_b64 v[67:68], 3, v[14:15]
	v_add_nc_u32_e32 v14, -6, v13
	v_add_co_u32 v65, vcc_lo, s8, v65
	v_add_co_ci_u32_e32 v66, vcc_lo, s9, v66, vcc_lo
	s_delay_alu instid0(VALU_DEP_3) | instskip(SKIP_3) | instid1(VALU_DEP_4)
	v_lshlrev_b64 v[69:70], 3, v[14:15]
	v_add_co_u32 v67, vcc_lo, s8, v67
	v_add_co_ci_u32_e32 v68, vcc_lo, s9, v68, vcc_lo
	v_add_nc_u32_e32 v14, -5, v13
	v_add_co_u32 v69, vcc_lo, s8, v69
	v_add_co_ci_u32_e32 v70, vcc_lo, s9, v70, vcc_lo
	s_clause 0x2
	global_load_b64 v[65:66], v[65:66], off
	global_load_b64 v[67:68], v[67:68], off
	;; [unrolled: 1-line block ×3, first 2 shown]
	v_lshlrev_b64 v[71:72], 3, v[14:15]
	v_add_nc_u32_e32 v14, -4, v13
	s_delay_alu instid0(VALU_DEP_1) | instskip(SKIP_1) | instid1(VALU_DEP_4)
	v_lshlrev_b64 v[73:74], 3, v[14:15]
	v_add_nc_u32_e32 v14, -3, v13
	v_add_co_u32 v71, vcc_lo, s8, v71
	v_add_co_ci_u32_e32 v72, vcc_lo, s9, v72, vcc_lo
	s_delay_alu instid0(VALU_DEP_3) | instskip(SKIP_3) | instid1(VALU_DEP_4)
	v_lshlrev_b64 v[75:76], 3, v[14:15]
	v_add_co_u32 v73, vcc_lo, s8, v73
	v_add_co_ci_u32_e32 v74, vcc_lo, s9, v74, vcc_lo
	v_mov_b32_e32 v14, v15
	v_add_co_u32 v75, vcc_lo, s8, v75
	v_add_co_ci_u32_e32 v76, vcc_lo, s9, v76, vcc_lo
	s_clause 0x2
	global_load_b64 v[71:72], v[71:72], off
	global_load_b64 v[73:74], v[73:74], off
	;; [unrolled: 1-line block ×3, first 2 shown]
	v_lshlrev_b64 v[77:78], 3, v[13:14]
	v_add_nc_u32_e32 v14, -2, v13
	s_delay_alu instid0(VALU_DEP_1) | instskip(SKIP_4) | instid1(VALU_DEP_4)
	v_lshlrev_b64 v[79:80], 3, v[14:15]
	v_add_nc_u32_e32 v14, -1, v13
	v_add_nc_u32_e32 v13, 0x300, v13
	v_add_co_u32 v77, vcc_lo, s8, v77
	v_add_co_ci_u32_e32 v78, vcc_lo, s9, v78, vcc_lo
	v_lshlrev_b64 v[81:82], 3, v[14:15]
	v_add_co_u32 v79, vcc_lo, s8, v79
	v_add_co_ci_u32_e32 v80, vcc_lo, s9, v80, vcc_lo
	s_delay_alu instid0(VALU_DEP_3) | instskip(NEXT) | instid1(VALU_DEP_4)
	v_add_co_u32 v81, vcc_lo, s8, v81
	v_add_co_ci_u32_e32 v82, vcc_lo, s9, v82, vcc_lo
	s_clause 0x2
	global_load_b64 v[79:80], v[79:80], off
	global_load_b64 v[81:82], v[81:82], off
	;; [unrolled: 1-line block ×3, first 2 shown]
	v_cmp_ge_i32_e32 vcc_lo, v16, v18
	s_or_b32 s4, vcc_lo, s4
	s_waitcnt vmcnt(21)
	v_fma_f64 v[6:7], v[23:24], v[27:28], v[6:7]
	v_fma_f64 v[10:11], v[25:26], v[27:28], v[10:11]
	;; [unrolled: 1-line block ×3, first 2 shown]
	s_delay_alu instid0(VALU_DEP_3) | instskip(SKIP_1) | instid1(VALU_DEP_3)
	v_fma_f64 v[6:7], v[21:22], v[29:30], v[6:7]
	s_waitcnt vmcnt(19)
	v_fma_f64 v[10:11], v[35:36], v[29:30], v[10:11]
	s_delay_alu instid0(VALU_DEP_3) | instskip(SKIP_1) | instid1(VALU_DEP_3)
	v_fma_f64 v[8:9], v[37:38], v[29:30], v[8:9]
	s_waitcnt vmcnt(18)
	v_fma_f64 v[6:7], v[39:40], v[31:32], v[6:7]
	s_delay_alu instid0(VALU_DEP_3) | instskip(SKIP_1) | instid1(VALU_DEP_3)
	v_fma_f64 v[10:11], v[41:42], v[31:32], v[10:11]
	s_waitcnt vmcnt(17)
	v_fma_f64 v[8:9], v[51:52], v[31:32], v[8:9]
	s_waitcnt vmcnt(16)
	s_delay_alu instid0(VALU_DEP_3) | instskip(SKIP_1) | instid1(VALU_DEP_3)
	v_fma_f64 v[6:7], v[53:54], v[33:34], v[6:7]
	s_waitcnt vmcnt(15)
	v_fma_f64 v[10:11], v[55:56], v[33:34], v[10:11]
	s_waitcnt vmcnt(14)
	s_delay_alu instid0(VALU_DEP_3) | instskip(SKIP_1) | instid1(VALU_DEP_3)
	v_fma_f64 v[8:9], v[57:58], v[33:34], v[8:9]
	s_waitcnt vmcnt(10)
	v_fma_f64 v[6:7], v[59:60], v[43:44], v[6:7]
	s_delay_alu instid0(VALU_DEP_3) | instskip(NEXT) | instid1(VALU_DEP_3)
	v_fma_f64 v[10:11], v[61:62], v[43:44], v[10:11]
	v_fma_f64 v[8:9], v[63:64], v[43:44], v[8:9]
	s_waitcnt vmcnt(8)
	s_delay_alu instid0(VALU_DEP_3) | instskip(SKIP_1) | instid1(VALU_DEP_3)
	v_fma_f64 v[6:7], v[65:66], v[45:46], v[6:7]
	s_waitcnt vmcnt(7)
	v_fma_f64 v[10:11], v[67:68], v[45:46], v[10:11]
	s_waitcnt vmcnt(6)
	s_delay_alu instid0(VALU_DEP_3) | instskip(SKIP_1) | instid1(VALU_DEP_3)
	v_fma_f64 v[8:9], v[69:70], v[45:46], v[8:9]
	s_waitcnt vmcnt(5)
	;; [unrolled: 5-line block ×4, first 2 shown]
	v_fma_f64 v[10:11], v[81:82], v[49:50], v[10:11]
	s_waitcnt vmcnt(0)
	s_delay_alu instid0(VALU_DEP_3)
	v_fma_f64 v[8:9], v[77:78], v[49:50], v[8:9]
	s_and_not1_b32 exec_lo, exec_lo, s4
	s_cbranch_execnz .LBB70_9
; %bb.10:
	s_or_b32 exec_lo, exec_lo, s4
.LBB70_11:
	s_delay_alu instid0(SALU_CYCLE_1)
	s_or_b32 exec_lo, exec_lo, s3
	s_cbranch_execz .LBB70_13
	s_branch .LBB70_18
.LBB70_12:
                                        ; implicit-def: $vgpr6_vgpr7
                                        ; implicit-def: $vgpr8_vgpr9
                                        ; implicit-def: $vgpr10_vgpr11
.LBB70_13:
	v_mov_b32_e32 v6, 0
	v_mov_b32_e32 v7, 0
	s_delay_alu instid0(VALU_DEP_1)
	v_dual_mov_b32 v9, v7 :: v_dual_mov_b32 v8, v6
	v_dual_mov_b32 v11, v7 :: v_dual_mov_b32 v10, v6
	s_and_saveexec_b32 s3, s2
	s_cbranch_execz .LBB70_17
; %bb.14:
	v_mov_b32_e32 v6, 0
	v_dual_mov_b32 v7, 0 :: v_dual_mov_b32 v16, 0
	v_mad_u64_u32 v[14:15], null, v12, 24, 23
	s_mov_b32 s2, 0
	s_delay_alu instid0(VALU_DEP_2)
	v_dual_mov_b32 v9, v7 :: v_dual_mov_b32 v8, v6
	v_dual_mov_b32 v11, v7 :: v_dual_mov_b32 v10, v6
.LBB70_15:                              ; =>This Inner Loop Header: Depth=1
	v_ashrrev_i32_e32 v13, 31, v12
	s_delay_alu instid0(VALU_DEP_4) | instskip(SKIP_1) | instid1(VALU_DEP_3)
	v_subrev_nc_u32_e32 v15, 23, v14
	v_dual_mov_b32 v28, v16 :: v_dual_add_nc_u32 v21, -7, v14
	v_lshlrev_b64 v[19:20], 2, v[12:13]
	s_delay_alu instid0(VALU_DEP_3) | instskip(SKIP_2) | instid1(VALU_DEP_4)
	v_lshlrev_b64 v[23:24], 3, v[15:16]
	v_add_nc_u32_e32 v15, -14, v14
	v_add_nc_u32_e32 v12, 32, v12
	v_add_co_u32 v19, vcc_lo, s6, v19
	v_add_co_ci_u32_e32 v20, vcc_lo, s7, v20, vcc_lo
	v_add_co_u32 v39, vcc_lo, s8, v23
	v_add_co_ci_u32_e32 v40, vcc_lo, s9, v24, vcc_lo
	global_load_b32 v13, v[19:20], off
	v_dual_mov_b32 v20, v16 :: v_dual_add_nc_u32 v19, -15, v14
	v_lshlrev_b64 v[35:36], 3, v[15:16]
	v_add_nc_u32_e32 v15, -6, v14
	s_delay_alu instid0(VALU_DEP_3) | instskip(NEXT) | instid1(VALU_DEP_2)
	v_lshlrev_b64 v[19:20], 3, v[19:20]
	v_lshlrev_b64 v[37:38], 3, v[15:16]
	v_add_nc_u32_e32 v15, -13, v14
	s_delay_alu instid0(VALU_DEP_3) | instskip(NEXT) | instid1(VALU_DEP_4)
	v_add_co_u32 v29, vcc_lo, s8, v19
	v_add_co_ci_u32_e32 v30, vcc_lo, s9, v20, vcc_lo
	s_waitcnt vmcnt(0)
	v_subrev_nc_u32_e32 v13, s12, v13
	s_delay_alu instid0(VALU_DEP_1) | instskip(NEXT) | instid1(VALU_DEP_1)
	v_dual_mov_b32 v22, v16 :: v_dual_lshlrev_b32 v27, 3, v13
	v_lshlrev_b64 v[21:22], 3, v[21:22]
	s_delay_alu instid0(VALU_DEP_2) | instskip(NEXT) | instid1(VALU_DEP_2)
	v_lshlrev_b64 v[27:28], 3, v[27:28]
	v_add_co_u32 v31, vcc_lo, s8, v21
	s_delay_alu instid0(VALU_DEP_3) | instskip(NEXT) | instid1(VALU_DEP_3)
	v_add_co_ci_u32_e32 v32, vcc_lo, s9, v22, vcc_lo
	v_add_co_u32 v47, vcc_lo, s10, v27
	s_delay_alu instid0(VALU_DEP_4)
	v_add_co_ci_u32_e32 v48, vcc_lo, s11, v28, vcc_lo
	s_clause 0x3
	global_load_b128 v[19:22], v[39:40], off offset:16
	global_load_b128 v[23:26], v[39:40], off
	global_load_b64 v[51:52], v[29:30], off
	global_load_b64 v[53:54], v[31:32], off
	s_clause 0x1
	global_load_b128 v[27:30], v[47:48], off
	global_load_b128 v[31:34], v[47:48], off offset:16
	v_add_co_u32 v35, vcc_lo, s8, v35
	v_add_co_ci_u32_e32 v36, vcc_lo, s9, v36, vcc_lo
	v_add_co_u32 v37, vcc_lo, s8, v37
	v_add_co_ci_u32_e32 v38, vcc_lo, s9, v38, vcc_lo
	s_clause 0x1
	global_load_b64 v[55:56], v[35:36], off
	global_load_b64 v[57:58], v[37:38], off
	v_lshlrev_b64 v[35:36], 3, v[15:16]
	v_add_nc_u32_e32 v15, -5, v14
	s_delay_alu instid0(VALU_DEP_1) | instskip(NEXT) | instid1(VALU_DEP_3)
	v_lshlrev_b64 v[37:38], 3, v[15:16]
	v_add_co_u32 v35, vcc_lo, s8, v35
	s_delay_alu instid0(VALU_DEP_4) | instskip(SKIP_1) | instid1(VALU_DEP_4)
	v_add_co_ci_u32_e32 v36, vcc_lo, s9, v36, vcc_lo
	v_add_nc_u32_e32 v15, -12, v14
	v_add_co_u32 v37, vcc_lo, s8, v37
	v_add_co_ci_u32_e32 v38, vcc_lo, s9, v38, vcc_lo
	s_clause 0x1
	global_load_b64 v[59:60], v[35:36], off
	global_load_b64 v[61:62], v[37:38], off
	v_lshlrev_b64 v[35:36], 3, v[15:16]
	v_add_nc_u32_e32 v15, -4, v14
	s_delay_alu instid0(VALU_DEP_1) | instskip(NEXT) | instid1(VALU_DEP_3)
	v_lshlrev_b64 v[37:38], 3, v[15:16]
	v_add_co_u32 v35, vcc_lo, s8, v35
	s_delay_alu instid0(VALU_DEP_4) | instskip(SKIP_1) | instid1(VALU_DEP_4)
	v_add_co_ci_u32_e32 v36, vcc_lo, s9, v36, vcc_lo
	v_add_nc_u32_e32 v15, -11, v14
	v_add_co_u32 v37, vcc_lo, s8, v37
	v_add_co_ci_u32_e32 v38, vcc_lo, s9, v38, vcc_lo
	s_clause 0x3
	global_load_b64 v[63:64], v[35:36], off
	global_load_b64 v[65:66], v[37:38], off
	global_load_b128 v[35:38], v[39:40], off offset:48
	global_load_b128 v[39:42], v[39:40], off offset:32
	v_lshlrev_b64 v[43:44], 3, v[15:16]
	v_add_nc_u32_e32 v15, -3, v14
	s_delay_alu instid0(VALU_DEP_1) | instskip(NEXT) | instid1(VALU_DEP_3)
	v_lshlrev_b64 v[45:46], 3, v[15:16]
	v_add_co_u32 v43, vcc_lo, s8, v43
	s_delay_alu instid0(VALU_DEP_4) | instskip(SKIP_1) | instid1(VALU_DEP_4)
	v_add_co_ci_u32_e32 v44, vcc_lo, s9, v44, vcc_lo
	v_add_nc_u32_e32 v15, -10, v14
	v_add_co_u32 v45, vcc_lo, s8, v45
	v_add_co_ci_u32_e32 v46, vcc_lo, s9, v46, vcc_lo
	s_clause 0x1
	global_load_b64 v[67:68], v[43:44], off
	global_load_b64 v[69:70], v[45:46], off
	s_clause 0x1
	global_load_b128 v[43:46], v[47:48], off offset:32
	global_load_b128 v[47:50], v[47:48], off offset:48
	v_lshlrev_b64 v[71:72], 3, v[15:16]
	v_add_nc_u32_e32 v15, -2, v14
	s_delay_alu instid0(VALU_DEP_1) | instskip(NEXT) | instid1(VALU_DEP_3)
	v_lshlrev_b64 v[73:74], 3, v[15:16]
	v_add_co_u32 v71, vcc_lo, s8, v71
	s_delay_alu instid0(VALU_DEP_4) | instskip(SKIP_1) | instid1(VALU_DEP_4)
	v_add_co_ci_u32_e32 v72, vcc_lo, s9, v72, vcc_lo
	v_add_nc_u32_e32 v15, -9, v14
	v_add_co_u32 v73, vcc_lo, s8, v73
	v_add_co_ci_u32_e32 v74, vcc_lo, s9, v74, vcc_lo
	s_clause 0x1
	global_load_b64 v[71:72], v[71:72], off
	global_load_b64 v[73:74], v[73:74], off
	v_lshlrev_b64 v[75:76], 3, v[15:16]
	v_add_nc_u32_e32 v15, -1, v14
	s_delay_alu instid0(VALU_DEP_1) | instskip(NEXT) | instid1(VALU_DEP_3)
	v_lshlrev_b64 v[77:78], 3, v[15:16]
	v_add_co_u32 v75, vcc_lo, s8, v75
	s_delay_alu instid0(VALU_DEP_4) | instskip(SKIP_1) | instid1(VALU_DEP_4)
	v_add_co_ci_u32_e32 v76, vcc_lo, s9, v76, vcc_lo
	v_mov_b32_e32 v15, v16
	v_add_co_u32 v77, vcc_lo, s8, v77
	v_add_co_ci_u32_e32 v78, vcc_lo, s9, v78, vcc_lo
	s_clause 0x1
	global_load_b64 v[75:76], v[75:76], off
	global_load_b64 v[77:78], v[77:78], off
	v_lshlrev_b64 v[79:80], 3, v[14:15]
	v_add_nc_u32_e32 v15, -8, v14
	v_add_nc_u32_e32 v14, 0x300, v14
	s_delay_alu instid0(VALU_DEP_2) | instskip(NEXT) | instid1(VALU_DEP_4)
	v_lshlrev_b64 v[81:82], 3, v[15:16]
	v_add_co_u32 v79, vcc_lo, s8, v79
	v_add_co_ci_u32_e32 v80, vcc_lo, s9, v80, vcc_lo
	s_delay_alu instid0(VALU_DEP_3) | instskip(NEXT) | instid1(VALU_DEP_4)
	v_add_co_u32 v81, vcc_lo, s8, v81
	v_add_co_ci_u32_e32 v82, vcc_lo, s9, v82, vcc_lo
	s_clause 0x1
	global_load_b64 v[81:82], v[81:82], off
	global_load_b64 v[79:80], v[79:80], off
	v_cmp_ge_i32_e32 vcc_lo, v12, v18
	s_or_b32 s2, vcc_lo, s2
	s_waitcnt vmcnt(19)
	v_fma_f64 v[6:7], v[23:24], v[27:28], v[6:7]
	v_fma_f64 v[10:11], v[51:52], v[27:28], v[10:11]
	;; [unrolled: 1-line block ×3, first 2 shown]
	s_delay_alu instid0(VALU_DEP_3) | instskip(SKIP_1) | instid1(VALU_DEP_3)
	v_fma_f64 v[6:7], v[25:26], v[29:30], v[6:7]
	s_waitcnt vmcnt(17)
	v_fma_f64 v[10:11], v[55:56], v[29:30], v[10:11]
	s_waitcnt vmcnt(16)
	s_delay_alu instid0(VALU_DEP_3) | instskip(NEXT) | instid1(VALU_DEP_3)
	v_fma_f64 v[8:9], v[57:58], v[29:30], v[8:9]
	v_fma_f64 v[6:7], v[19:20], v[31:32], v[6:7]
	s_waitcnt vmcnt(15)
	s_delay_alu instid0(VALU_DEP_3) | instskip(SKIP_1) | instid1(VALU_DEP_3)
	v_fma_f64 v[10:11], v[59:60], v[31:32], v[10:11]
	s_waitcnt vmcnt(14)
	v_fma_f64 v[8:9], v[61:62], v[31:32], v[8:9]
	s_delay_alu instid0(VALU_DEP_3) | instskip(SKIP_1) | instid1(VALU_DEP_3)
	v_fma_f64 v[6:7], v[21:22], v[33:34], v[6:7]
	s_waitcnt vmcnt(13)
	v_fma_f64 v[10:11], v[63:64], v[33:34], v[10:11]
	s_waitcnt vmcnt(12)
	s_delay_alu instid0(VALU_DEP_3) | instskip(SKIP_1) | instid1(VALU_DEP_3)
	v_fma_f64 v[8:9], v[65:66], v[33:34], v[8:9]
	s_waitcnt vmcnt(7)
	v_fma_f64 v[6:7], v[39:40], v[43:44], v[6:7]
	s_delay_alu instid0(VALU_DEP_3) | instskip(NEXT) | instid1(VALU_DEP_3)
	v_fma_f64 v[10:11], v[67:68], v[43:44], v[10:11]
	v_fma_f64 v[8:9], v[69:70], v[43:44], v[8:9]
	s_delay_alu instid0(VALU_DEP_3) | instskip(SKIP_1) | instid1(VALU_DEP_3)
	v_fma_f64 v[6:7], v[41:42], v[45:46], v[6:7]
	s_waitcnt vmcnt(5)
	v_fma_f64 v[10:11], v[71:72], v[45:46], v[10:11]
	s_waitcnt vmcnt(4)
	s_delay_alu instid0(VALU_DEP_3) | instskip(NEXT) | instid1(VALU_DEP_3)
	v_fma_f64 v[8:9], v[73:74], v[45:46], v[8:9]
	v_fma_f64 v[6:7], v[35:36], v[47:48], v[6:7]
	s_waitcnt vmcnt(3)
	s_delay_alu instid0(VALU_DEP_3) | instskip(SKIP_1) | instid1(VALU_DEP_3)
	v_fma_f64 v[10:11], v[75:76], v[47:48], v[10:11]
	s_waitcnt vmcnt(2)
	v_fma_f64 v[8:9], v[77:78], v[47:48], v[8:9]
	s_delay_alu instid0(VALU_DEP_3) | instskip(SKIP_1) | instid1(VALU_DEP_3)
	v_fma_f64 v[6:7], v[37:38], v[49:50], v[6:7]
	s_waitcnt vmcnt(1)
	v_fma_f64 v[10:11], v[81:82], v[49:50], v[10:11]
	s_waitcnt vmcnt(0)
	s_delay_alu instid0(VALU_DEP_3)
	v_fma_f64 v[8:9], v[79:80], v[49:50], v[8:9]
	s_and_not1_b32 exec_lo, exec_lo, s2
	s_cbranch_execnz .LBB70_15
; %bb.16:
	s_or_b32 exec_lo, exec_lo, s2
.LBB70_17:
	s_delay_alu instid0(SALU_CYCLE_1)
	s_or_b32 exec_lo, exec_lo, s3
.LBB70_18:
	v_mbcnt_lo_u32_b32 v18, -1, 0
	s_delay_alu instid0(VALU_DEP_1) | instskip(NEXT) | instid1(VALU_DEP_1)
	v_xor_b32_e32 v12, 16, v18
	v_cmp_gt_i32_e32 vcc_lo, 32, v12
	v_cndmask_b32_e32 v12, v18, v12, vcc_lo
	s_delay_alu instid0(VALU_DEP_1)
	v_lshlrev_b32_e32 v17, 2, v12
	ds_bpermute_b32 v12, v17, v6
	ds_bpermute_b32 v13, v17, v7
	;; [unrolled: 1-line block ×6, first 2 shown]
	s_waitcnt lgkmcnt(4)
	v_add_f64 v[6:7], v[6:7], v[12:13]
	v_xor_b32_e32 v12, 8, v18
	s_waitcnt lgkmcnt(2)
	v_add_f64 v[10:11], v[10:11], v[14:15]
	s_waitcnt lgkmcnt(0)
	v_add_f64 v[8:9], v[8:9], v[16:17]
	v_cmp_gt_i32_e32 vcc_lo, 32, v12
	v_cndmask_b32_e32 v12, v18, v12, vcc_lo
	s_delay_alu instid0(VALU_DEP_1)
	v_lshlrev_b32_e32 v17, 2, v12
	ds_bpermute_b32 v12, v17, v6
	ds_bpermute_b32 v13, v17, v7
	ds_bpermute_b32 v14, v17, v10
	ds_bpermute_b32 v15, v17, v11
	ds_bpermute_b32 v16, v17, v8
	ds_bpermute_b32 v17, v17, v9
	s_waitcnt lgkmcnt(4)
	v_add_f64 v[6:7], v[6:7], v[12:13]
	v_xor_b32_e32 v12, 4, v18
	s_waitcnt lgkmcnt(2)
	v_add_f64 v[10:11], v[10:11], v[14:15]
	s_waitcnt lgkmcnt(0)
	v_add_f64 v[8:9], v[8:9], v[16:17]
	v_cmp_gt_i32_e32 vcc_lo, 32, v12
	v_cndmask_b32_e32 v12, v18, v12, vcc_lo
	s_delay_alu instid0(VALU_DEP_1)
	v_lshlrev_b32_e32 v17, 2, v12
	ds_bpermute_b32 v12, v17, v6
	ds_bpermute_b32 v13, v17, v7
	;; [unrolled: 1-line block ×6, first 2 shown]
	s_waitcnt lgkmcnt(4)
	v_add_f64 v[6:7], v[6:7], v[12:13]
	s_waitcnt lgkmcnt(2)
	v_add_f64 v[10:11], v[10:11], v[14:15]
	;; [unrolled: 2-line block ×3, first 2 shown]
	v_xor_b32_e32 v8, 2, v18
	s_delay_alu instid0(VALU_DEP_1) | instskip(SKIP_1) | instid1(VALU_DEP_1)
	v_cmp_gt_i32_e32 vcc_lo, 32, v8
	v_cndmask_b32_e32 v8, v18, v8, vcc_lo
	v_lshlrev_b32_e32 v17, 2, v8
	ds_bpermute_b32 v8, v17, v6
	ds_bpermute_b32 v9, v17, v7
	;; [unrolled: 1-line block ×6, first 2 shown]
	s_waitcnt lgkmcnt(4)
	v_add_f64 v[8:9], v[6:7], v[8:9]
	s_waitcnt lgkmcnt(2)
	v_add_f64 v[6:7], v[10:11], v[14:15]
	v_xor_b32_e32 v10, 1, v18
	s_waitcnt lgkmcnt(0)
	v_add_f64 v[12:13], v[12:13], v[16:17]
	s_delay_alu instid0(VALU_DEP_2) | instskip(SKIP_2) | instid1(VALU_DEP_2)
	v_cmp_gt_i32_e32 vcc_lo, 32, v10
	v_cndmask_b32_e32 v10, v18, v10, vcc_lo
	v_cmp_eq_u32_e32 vcc_lo, 31, v0
	v_lshlrev_b32_e32 v15, 2, v10
	ds_bpermute_b32 v10, v15, v8
	ds_bpermute_b32 v11, v15, v9
	;; [unrolled: 1-line block ×6, first 2 shown]
	s_and_b32 exec_lo, exec_lo, vcc_lo
	s_cbranch_execz .LBB70_23
; %bb.19:
	s_waitcnt lgkmcnt(4)
	v_add_f64 v[10:11], v[8:9], v[10:11]
	s_waitcnt lgkmcnt(2)
	v_add_f64 v[8:9], v[6:7], v[16:17]
	;; [unrolled: 2-line block ×3, first 2 shown]
	s_load_b64 s[0:1], s[0:1], 0x38
	s_mov_b32 s2, exec_lo
	v_cmpx_eq_f64_e32 0, v[3:4]
	s_xor_b32 s2, exec_lo, s2
	s_cbranch_execz .LBB70_21
; %bb.20:
	s_delay_alu instid0(VALU_DEP_4) | instskip(NEXT) | instid1(VALU_DEP_4)
	v_mul_f64 v[10:11], v[1:2], v[10:11]
	v_mul_f64 v[12:13], v[1:2], v[8:9]
	s_delay_alu instid0(VALU_DEP_4) | instskip(SKIP_1) | instid1(VALU_DEP_1)
	v_mul_f64 v[0:1], v[1:2], v[6:7]
	v_lshl_add_u32 v2, v5, 1, v5
                                        ; implicit-def: $vgpr5
                                        ; implicit-def: $vgpr8_vgpr9
                                        ; implicit-def: $vgpr6_vgpr7
	v_ashrrev_i32_e32 v3, 31, v2
	s_delay_alu instid0(VALU_DEP_1) | instskip(SKIP_1) | instid1(VALU_DEP_1)
	v_lshlrev_b64 v[2:3], 3, v[2:3]
	s_waitcnt lgkmcnt(0)
	v_add_co_u32 v2, vcc_lo, s0, v2
	s_delay_alu instid0(VALU_DEP_2)
	v_add_co_ci_u32_e32 v3, vcc_lo, s1, v3, vcc_lo
	s_clause 0x1
	global_store_b128 v[2:3], v[10:13], off
	global_store_b64 v[2:3], v[0:1], off offset:16
                                        ; implicit-def: $vgpr1_vgpr2
                                        ; implicit-def: $vgpr10_vgpr11
                                        ; implicit-def: $vgpr3_vgpr4
.LBB70_21:
	s_and_not1_saveexec_b32 s2, s2
	s_cbranch_execz .LBB70_23
; %bb.22:
	v_lshl_add_u32 v12, v5, 1, v5
	v_mul_f64 v[10:11], v[1:2], v[10:11]
	v_mul_f64 v[8:9], v[1:2], v[8:9]
	v_mul_f64 v[0:1], v[1:2], v[6:7]
	s_delay_alu instid0(VALU_DEP_4) | instskip(NEXT) | instid1(VALU_DEP_1)
	v_ashrrev_i32_e32 v13, 31, v12
	v_lshlrev_b64 v[12:13], 3, v[12:13]
	s_waitcnt lgkmcnt(0)
	s_delay_alu instid0(VALU_DEP_1) | instskip(NEXT) | instid1(VALU_DEP_2)
	v_add_co_u32 v16, vcc_lo, s0, v12
	v_add_co_ci_u32_e32 v17, vcc_lo, s1, v13, vcc_lo
	s_clause 0x1
	global_load_b128 v[12:15], v[16:17], off
	global_load_b64 v[18:19], v[16:17], off offset:16
	s_waitcnt vmcnt(1)
	v_fma_f64 v[5:6], v[3:4], v[12:13], v[10:11]
	v_fma_f64 v[7:8], v[3:4], v[14:15], v[8:9]
	s_waitcnt vmcnt(0)
	v_fma_f64 v[0:1], v[3:4], v[18:19], v[0:1]
	s_clause 0x1
	global_store_b128 v[16:17], v[5:8], off
	global_store_b64 v[16:17], v[0:1], off offset:16
.LBB70_23:
	s_nop 0
	s_sendmsg sendmsg(MSG_DEALLOC_VGPRS)
	s_endpgm
	.section	.rodata,"a",@progbits
	.p2align	6, 0x0
	.amdhsa_kernel _ZN9rocsparseL19gebsrmvn_3xn_kernelILj128ELj8ELj32EdEEvi20rocsparse_direction_NS_24const_host_device_scalarIT2_EEPKiS6_PKS3_S8_S4_PS3_21rocsparse_index_base_b
		.amdhsa_group_segment_fixed_size 0
		.amdhsa_private_segment_fixed_size 0
		.amdhsa_kernarg_size 72
		.amdhsa_user_sgpr_count 15
		.amdhsa_user_sgpr_dispatch_ptr 0
		.amdhsa_user_sgpr_queue_ptr 0
		.amdhsa_user_sgpr_kernarg_segment_ptr 1
		.amdhsa_user_sgpr_dispatch_id 0
		.amdhsa_user_sgpr_private_segment_size 0
		.amdhsa_wavefront_size32 1
		.amdhsa_uses_dynamic_stack 0
		.amdhsa_enable_private_segment 0
		.amdhsa_system_sgpr_workgroup_id_x 1
		.amdhsa_system_sgpr_workgroup_id_y 0
		.amdhsa_system_sgpr_workgroup_id_z 0
		.amdhsa_system_sgpr_workgroup_info 0
		.amdhsa_system_vgpr_workitem_id 0
		.amdhsa_next_free_vgpr 83
		.amdhsa_next_free_sgpr 16
		.amdhsa_reserve_vcc 1
		.amdhsa_float_round_mode_32 0
		.amdhsa_float_round_mode_16_64 0
		.amdhsa_float_denorm_mode_32 3
		.amdhsa_float_denorm_mode_16_64 3
		.amdhsa_dx10_clamp 1
		.amdhsa_ieee_mode 1
		.amdhsa_fp16_overflow 0
		.amdhsa_workgroup_processor_mode 1
		.amdhsa_memory_ordered 1
		.amdhsa_forward_progress 0
		.amdhsa_shared_vgpr_count 0
		.amdhsa_exception_fp_ieee_invalid_op 0
		.amdhsa_exception_fp_denorm_src 0
		.amdhsa_exception_fp_ieee_div_zero 0
		.amdhsa_exception_fp_ieee_overflow 0
		.amdhsa_exception_fp_ieee_underflow 0
		.amdhsa_exception_fp_ieee_inexact 0
		.amdhsa_exception_int_div_zero 0
	.end_amdhsa_kernel
	.section	.text._ZN9rocsparseL19gebsrmvn_3xn_kernelILj128ELj8ELj32EdEEvi20rocsparse_direction_NS_24const_host_device_scalarIT2_EEPKiS6_PKS3_S8_S4_PS3_21rocsparse_index_base_b,"axG",@progbits,_ZN9rocsparseL19gebsrmvn_3xn_kernelILj128ELj8ELj32EdEEvi20rocsparse_direction_NS_24const_host_device_scalarIT2_EEPKiS6_PKS3_S8_S4_PS3_21rocsparse_index_base_b,comdat
.Lfunc_end70:
	.size	_ZN9rocsparseL19gebsrmvn_3xn_kernelILj128ELj8ELj32EdEEvi20rocsparse_direction_NS_24const_host_device_scalarIT2_EEPKiS6_PKS3_S8_S4_PS3_21rocsparse_index_base_b, .Lfunc_end70-_ZN9rocsparseL19gebsrmvn_3xn_kernelILj128ELj8ELj32EdEEvi20rocsparse_direction_NS_24const_host_device_scalarIT2_EEPKiS6_PKS3_S8_S4_PS3_21rocsparse_index_base_b
                                        ; -- End function
	.section	.AMDGPU.csdata,"",@progbits
; Kernel info:
; codeLenInByte = 3512
; NumSgprs: 18
; NumVgprs: 83
; ScratchSize: 0
; MemoryBound: 1
; FloatMode: 240
; IeeeMode: 1
; LDSByteSize: 0 bytes/workgroup (compile time only)
; SGPRBlocks: 2
; VGPRBlocks: 10
; NumSGPRsForWavesPerEU: 18
; NumVGPRsForWavesPerEU: 83
; Occupancy: 16
; WaveLimiterHint : 1
; COMPUTE_PGM_RSRC2:SCRATCH_EN: 0
; COMPUTE_PGM_RSRC2:USER_SGPR: 15
; COMPUTE_PGM_RSRC2:TRAP_HANDLER: 0
; COMPUTE_PGM_RSRC2:TGID_X_EN: 1
; COMPUTE_PGM_RSRC2:TGID_Y_EN: 0
; COMPUTE_PGM_RSRC2:TGID_Z_EN: 0
; COMPUTE_PGM_RSRC2:TIDIG_COMP_CNT: 0
	.section	.text._ZN9rocsparseL19gebsrmvn_3xn_kernelILj128ELj8ELj64EdEEvi20rocsparse_direction_NS_24const_host_device_scalarIT2_EEPKiS6_PKS3_S8_S4_PS3_21rocsparse_index_base_b,"axG",@progbits,_ZN9rocsparseL19gebsrmvn_3xn_kernelILj128ELj8ELj64EdEEvi20rocsparse_direction_NS_24const_host_device_scalarIT2_EEPKiS6_PKS3_S8_S4_PS3_21rocsparse_index_base_b,comdat
	.globl	_ZN9rocsparseL19gebsrmvn_3xn_kernelILj128ELj8ELj64EdEEvi20rocsparse_direction_NS_24const_host_device_scalarIT2_EEPKiS6_PKS3_S8_S4_PS3_21rocsparse_index_base_b ; -- Begin function _ZN9rocsparseL19gebsrmvn_3xn_kernelILj128ELj8ELj64EdEEvi20rocsparse_direction_NS_24const_host_device_scalarIT2_EEPKiS6_PKS3_S8_S4_PS3_21rocsparse_index_base_b
	.p2align	8
	.type	_ZN9rocsparseL19gebsrmvn_3xn_kernelILj128ELj8ELj64EdEEvi20rocsparse_direction_NS_24const_host_device_scalarIT2_EEPKiS6_PKS3_S8_S4_PS3_21rocsparse_index_base_b,@function
_ZN9rocsparseL19gebsrmvn_3xn_kernelILj128ELj8ELj64EdEEvi20rocsparse_direction_NS_24const_host_device_scalarIT2_EEPKiS6_PKS3_S8_S4_PS3_21rocsparse_index_base_b: ; @_ZN9rocsparseL19gebsrmvn_3xn_kernelILj128ELj8ELj64EdEEvi20rocsparse_direction_NS_24const_host_device_scalarIT2_EEPKiS6_PKS3_S8_S4_PS3_21rocsparse_index_base_b
; %bb.0:
	s_clause 0x2
	s_load_b64 s[12:13], s[0:1], 0x40
	s_load_b64 s[4:5], s[0:1], 0x8
	s_load_b64 s[2:3], s[0:1], 0x30
	s_waitcnt lgkmcnt(0)
	s_bitcmp1_b32 s13, 0
	v_dual_mov_b32 v1, s4 :: v_dual_mov_b32 v2, s5
	s_cselect_b32 s6, -1, 0
	s_delay_alu instid0(SALU_CYCLE_1)
	s_and_b32 vcc_lo, exec_lo, s6
	s_xor_b32 s6, s6, -1
	s_cbranch_vccnz .LBB71_2
; %bb.1:
	v_dual_mov_b32 v1, s4 :: v_dual_mov_b32 v2, s5
	flat_load_b64 v[1:2], v[1:2]
.LBB71_2:
	v_dual_mov_b32 v4, s3 :: v_dual_mov_b32 v3, s2
	s_and_not1_b32 vcc_lo, exec_lo, s6
	s_cbranch_vccnz .LBB71_4
; %bb.3:
	v_dual_mov_b32 v4, s3 :: v_dual_mov_b32 v3, s2
	flat_load_b64 v[3:4], v[3:4]
.LBB71_4:
	s_waitcnt vmcnt(0) lgkmcnt(0)
	v_cmp_neq_f64_e32 vcc_lo, 0, v[1:2]
	v_cmp_neq_f64_e64 s2, 1.0, v[3:4]
	s_delay_alu instid0(VALU_DEP_1) | instskip(NEXT) | instid1(SALU_CYCLE_1)
	s_or_b32 s2, vcc_lo, s2
	s_and_saveexec_b32 s3, s2
	s_cbranch_execz .LBB71_23
; %bb.5:
	s_load_b64 s[2:3], s[0:1], 0x0
	v_lshrrev_b32_e32 v5, 6, v0
	s_delay_alu instid0(VALU_DEP_1) | instskip(SKIP_1) | instid1(VALU_DEP_1)
	v_lshl_or_b32 v5, s15, 1, v5
	s_waitcnt lgkmcnt(0)
	v_cmp_gt_i32_e32 vcc_lo, s2, v5
	s_and_b32 exec_lo, exec_lo, vcc_lo
	s_cbranch_execz .LBB71_23
; %bb.6:
	s_load_b256 s[4:11], s[0:1], 0x10
	v_ashrrev_i32_e32 v6, 31, v5
	v_and_b32_e32 v0, 63, v0
	s_cmp_lg_u32 s3, 0
	s_delay_alu instid0(VALU_DEP_2) | instskip(SKIP_1) | instid1(VALU_DEP_1)
	v_lshlrev_b64 v[6:7], 2, v[5:6]
	s_waitcnt lgkmcnt(0)
	v_add_co_u32 v6, vcc_lo, s4, v6
	s_delay_alu instid0(VALU_DEP_2) | instskip(SKIP_4) | instid1(VALU_DEP_2)
	v_add_co_ci_u32_e32 v7, vcc_lo, s5, v7, vcc_lo
	global_load_b64 v[6:7], v[6:7], off
	s_waitcnt vmcnt(0)
	v_subrev_nc_u32_e32 v6, s12, v6
	v_subrev_nc_u32_e32 v18, s12, v7
	v_add_nc_u32_e32 v12, v6, v0
	s_delay_alu instid0(VALU_DEP_1)
	v_cmp_lt_i32_e64 s2, v12, v18
	s_cbranch_scc0 .LBB71_12
; %bb.7:
	v_mov_b32_e32 v6, 0
	v_mov_b32_e32 v7, 0
	s_delay_alu instid0(VALU_DEP_1)
	v_dual_mov_b32 v9, v7 :: v_dual_mov_b32 v8, v6
	v_dual_mov_b32 v11, v7 :: v_dual_mov_b32 v10, v6
	s_and_saveexec_b32 s3, s2
	s_cbranch_execz .LBB71_11
; %bb.8:
	v_dual_mov_b32 v6, 0 :: v_dual_mov_b32 v15, 0
	v_dual_mov_b32 v7, 0 :: v_dual_mov_b32 v16, v12
	v_mad_u64_u32 v[13:14], null, v12, 24, 23
	s_mov_b32 s4, 0
	s_delay_alu instid0(VALU_DEP_2)
	v_dual_mov_b32 v9, v7 :: v_dual_mov_b32 v8, v6
	v_dual_mov_b32 v11, v7 :: v_dual_mov_b32 v10, v6
.LBB71_9:                               ; =>This Inner Loop Header: Depth=1
	v_ashrrev_i32_e32 v17, 31, v16
	s_delay_alu instid0(VALU_DEP_4) | instskip(NEXT) | instid1(VALU_DEP_2)
	v_subrev_nc_u32_e32 v14, 23, v13
	v_lshlrev_b64 v[19:20], 2, v[16:17]
	s_delay_alu instid0(VALU_DEP_2) | instskip(SKIP_1) | instid1(VALU_DEP_3)
	v_lshlrev_b64 v[21:22], 3, v[14:15]
	v_add_nc_u32_e32 v16, 64, v16
	v_add_co_u32 v19, vcc_lo, s6, v19
	s_delay_alu instid0(VALU_DEP_4) | instskip(NEXT) | instid1(VALU_DEP_4)
	v_add_co_ci_u32_e32 v20, vcc_lo, s7, v20, vcc_lo
	v_add_co_u32 v39, vcc_lo, s8, v21
	v_add_co_ci_u32_e32 v40, vcc_lo, s9, v22, vcc_lo
	global_load_b32 v17, v[19:20], off
	s_waitcnt vmcnt(0)
	v_subrev_nc_u32_e32 v14, s12, v17
	s_delay_alu instid0(VALU_DEP_1) | instskip(SKIP_1) | instid1(VALU_DEP_2)
	v_dual_mov_b32 v20, v15 :: v_dual_lshlrev_b32 v19, 3, v14
	v_add_nc_u32_e32 v14, -15, v13
	v_lshlrev_b64 v[19:20], 3, v[19:20]
	s_delay_alu instid0(VALU_DEP_2) | instskip(SKIP_1) | instid1(VALU_DEP_3)
	v_lshlrev_b64 v[43:44], 3, v[14:15]
	v_add_nc_u32_e32 v14, -14, v13
	v_add_co_u32 v47, vcc_lo, s10, v19
	s_delay_alu instid0(VALU_DEP_4)
	v_add_co_ci_u32_e32 v48, vcc_lo, s11, v20, vcc_lo
	s_clause 0x1
	global_load_b128 v[19:22], v[39:40], off offset:16
	global_load_b128 v[23:26], v[39:40], off
	s_clause 0x1
	global_load_b128 v[27:30], v[47:48], off
	global_load_b128 v[31:34], v[47:48], off offset:16
	s_clause 0x1
	global_load_b128 v[35:38], v[39:40], off offset:32
	global_load_b128 v[39:42], v[39:40], off offset:48
	v_add_co_u32 v43, vcc_lo, s8, v43
	v_add_co_ci_u32_e32 v44, vcc_lo, s9, v44, vcc_lo
	global_load_b64 v[51:52], v[43:44], off
	v_lshlrev_b64 v[43:44], 3, v[14:15]
	v_add_nc_u32_e32 v14, -13, v13
	s_delay_alu instid0(VALU_DEP_1) | instskip(SKIP_1) | instid1(VALU_DEP_4)
	v_lshlrev_b64 v[45:46], 3, v[14:15]
	v_add_nc_u32_e32 v14, -12, v13
	v_add_co_u32 v43, vcc_lo, s8, v43
	v_add_co_ci_u32_e32 v44, vcc_lo, s9, v44, vcc_lo
	s_delay_alu instid0(VALU_DEP_3) | instskip(SKIP_3) | instid1(VALU_DEP_4)
	v_lshlrev_b64 v[49:50], 3, v[14:15]
	v_add_co_u32 v45, vcc_lo, s8, v45
	v_add_co_ci_u32_e32 v46, vcc_lo, s9, v46, vcc_lo
	v_add_nc_u32_e32 v14, -11, v13
	v_add_co_u32 v49, vcc_lo, s8, v49
	v_add_co_ci_u32_e32 v50, vcc_lo, s9, v50, vcc_lo
	s_clause 0x2
	global_load_b64 v[53:54], v[43:44], off
	global_load_b64 v[55:56], v[45:46], off
	;; [unrolled: 1-line block ×3, first 2 shown]
	v_lshlrev_b64 v[43:44], 3, v[14:15]
	v_add_nc_u32_e32 v14, -10, v13
	s_delay_alu instid0(VALU_DEP_1) | instskip(SKIP_1) | instid1(VALU_DEP_4)
	v_lshlrev_b64 v[45:46], 3, v[14:15]
	v_add_nc_u32_e32 v14, -9, v13
	v_add_co_u32 v43, vcc_lo, s8, v43
	v_add_co_ci_u32_e32 v44, vcc_lo, s9, v44, vcc_lo
	s_delay_alu instid0(VALU_DEP_3)
	v_lshlrev_b64 v[49:50], 3, v[14:15]
	v_add_nc_u32_e32 v14, -8, v13
	global_load_b64 v[59:60], v[43:44], off
	v_add_co_u32 v43, vcc_lo, s8, v45
	v_add_co_ci_u32_e32 v44, vcc_lo, s9, v46, vcc_lo
	v_add_co_u32 v45, vcc_lo, s8, v49
	v_add_co_ci_u32_e32 v46, vcc_lo, s9, v50, vcc_lo
	s_clause 0x1
	global_load_b64 v[61:62], v[43:44], off
	global_load_b64 v[63:64], v[45:46], off
	s_clause 0x1
	global_load_b128 v[43:46], v[47:48], off offset:32
	global_load_b128 v[47:50], v[47:48], off offset:48
	v_lshlrev_b64 v[65:66], 3, v[14:15]
	v_add_nc_u32_e32 v14, -7, v13
	s_delay_alu instid0(VALU_DEP_1) | instskip(SKIP_1) | instid1(VALU_DEP_4)
	v_lshlrev_b64 v[67:68], 3, v[14:15]
	v_add_nc_u32_e32 v14, -6, v13
	v_add_co_u32 v65, vcc_lo, s8, v65
	v_add_co_ci_u32_e32 v66, vcc_lo, s9, v66, vcc_lo
	s_delay_alu instid0(VALU_DEP_3) | instskip(SKIP_3) | instid1(VALU_DEP_4)
	v_lshlrev_b64 v[69:70], 3, v[14:15]
	v_add_co_u32 v67, vcc_lo, s8, v67
	v_add_co_ci_u32_e32 v68, vcc_lo, s9, v68, vcc_lo
	v_add_nc_u32_e32 v14, -5, v13
	v_add_co_u32 v69, vcc_lo, s8, v69
	v_add_co_ci_u32_e32 v70, vcc_lo, s9, v70, vcc_lo
	s_clause 0x2
	global_load_b64 v[65:66], v[65:66], off
	global_load_b64 v[67:68], v[67:68], off
	;; [unrolled: 1-line block ×3, first 2 shown]
	v_lshlrev_b64 v[71:72], 3, v[14:15]
	v_add_nc_u32_e32 v14, -4, v13
	s_delay_alu instid0(VALU_DEP_1) | instskip(SKIP_1) | instid1(VALU_DEP_4)
	v_lshlrev_b64 v[73:74], 3, v[14:15]
	v_add_nc_u32_e32 v14, -3, v13
	v_add_co_u32 v71, vcc_lo, s8, v71
	v_add_co_ci_u32_e32 v72, vcc_lo, s9, v72, vcc_lo
	s_delay_alu instid0(VALU_DEP_3) | instskip(SKIP_3) | instid1(VALU_DEP_4)
	v_lshlrev_b64 v[75:76], 3, v[14:15]
	v_add_co_u32 v73, vcc_lo, s8, v73
	v_add_co_ci_u32_e32 v74, vcc_lo, s9, v74, vcc_lo
	v_mov_b32_e32 v14, v15
	v_add_co_u32 v75, vcc_lo, s8, v75
	v_add_co_ci_u32_e32 v76, vcc_lo, s9, v76, vcc_lo
	s_clause 0x2
	global_load_b64 v[71:72], v[71:72], off
	global_load_b64 v[73:74], v[73:74], off
	;; [unrolled: 1-line block ×3, first 2 shown]
	v_lshlrev_b64 v[77:78], 3, v[13:14]
	v_add_nc_u32_e32 v14, -2, v13
	s_delay_alu instid0(VALU_DEP_1) | instskip(SKIP_4) | instid1(VALU_DEP_4)
	v_lshlrev_b64 v[79:80], 3, v[14:15]
	v_add_nc_u32_e32 v14, -1, v13
	v_add_nc_u32_e32 v13, 0x600, v13
	v_add_co_u32 v77, vcc_lo, s8, v77
	v_add_co_ci_u32_e32 v78, vcc_lo, s9, v78, vcc_lo
	v_lshlrev_b64 v[81:82], 3, v[14:15]
	v_add_co_u32 v79, vcc_lo, s8, v79
	v_add_co_ci_u32_e32 v80, vcc_lo, s9, v80, vcc_lo
	s_delay_alu instid0(VALU_DEP_3) | instskip(NEXT) | instid1(VALU_DEP_4)
	v_add_co_u32 v81, vcc_lo, s8, v81
	v_add_co_ci_u32_e32 v82, vcc_lo, s9, v82, vcc_lo
	s_clause 0x2
	global_load_b64 v[79:80], v[79:80], off
	global_load_b64 v[81:82], v[81:82], off
	;; [unrolled: 1-line block ×3, first 2 shown]
	v_cmp_ge_i32_e32 vcc_lo, v16, v18
	s_or_b32 s4, vcc_lo, s4
	s_waitcnt vmcnt(21)
	v_fma_f64 v[6:7], v[23:24], v[27:28], v[6:7]
	v_fma_f64 v[10:11], v[25:26], v[27:28], v[10:11]
	;; [unrolled: 1-line block ×3, first 2 shown]
	s_delay_alu instid0(VALU_DEP_3) | instskip(SKIP_1) | instid1(VALU_DEP_3)
	v_fma_f64 v[6:7], v[21:22], v[29:30], v[6:7]
	s_waitcnt vmcnt(19)
	v_fma_f64 v[10:11], v[35:36], v[29:30], v[10:11]
	s_delay_alu instid0(VALU_DEP_3) | instskip(SKIP_1) | instid1(VALU_DEP_3)
	v_fma_f64 v[8:9], v[37:38], v[29:30], v[8:9]
	s_waitcnt vmcnt(18)
	v_fma_f64 v[6:7], v[39:40], v[31:32], v[6:7]
	;; [unrolled: 4-line block ×3, first 2 shown]
	s_waitcnt vmcnt(16)
	s_delay_alu instid0(VALU_DEP_3) | instskip(SKIP_1) | instid1(VALU_DEP_3)
	v_fma_f64 v[6:7], v[53:54], v[33:34], v[6:7]
	s_waitcnt vmcnt(15)
	v_fma_f64 v[10:11], v[55:56], v[33:34], v[10:11]
	s_waitcnt vmcnt(14)
	s_delay_alu instid0(VALU_DEP_3) | instskip(SKIP_1) | instid1(VALU_DEP_3)
	v_fma_f64 v[8:9], v[57:58], v[33:34], v[8:9]
	s_waitcnt vmcnt(10)
	v_fma_f64 v[6:7], v[59:60], v[43:44], v[6:7]
	s_delay_alu instid0(VALU_DEP_3) | instskip(NEXT) | instid1(VALU_DEP_3)
	v_fma_f64 v[10:11], v[61:62], v[43:44], v[10:11]
	v_fma_f64 v[8:9], v[63:64], v[43:44], v[8:9]
	s_waitcnt vmcnt(8)
	s_delay_alu instid0(VALU_DEP_3) | instskip(SKIP_1) | instid1(VALU_DEP_3)
	v_fma_f64 v[6:7], v[65:66], v[45:46], v[6:7]
	s_waitcnt vmcnt(7)
	v_fma_f64 v[10:11], v[67:68], v[45:46], v[10:11]
	s_waitcnt vmcnt(6)
	s_delay_alu instid0(VALU_DEP_3) | instskip(SKIP_1) | instid1(VALU_DEP_3)
	v_fma_f64 v[8:9], v[69:70], v[45:46], v[8:9]
	s_waitcnt vmcnt(5)
	;; [unrolled: 5-line block ×4, first 2 shown]
	v_fma_f64 v[10:11], v[81:82], v[49:50], v[10:11]
	s_waitcnt vmcnt(0)
	s_delay_alu instid0(VALU_DEP_3)
	v_fma_f64 v[8:9], v[77:78], v[49:50], v[8:9]
	s_and_not1_b32 exec_lo, exec_lo, s4
	s_cbranch_execnz .LBB71_9
; %bb.10:
	s_or_b32 exec_lo, exec_lo, s4
.LBB71_11:
	s_delay_alu instid0(SALU_CYCLE_1)
	s_or_b32 exec_lo, exec_lo, s3
	s_cbranch_execz .LBB71_13
	s_branch .LBB71_18
.LBB71_12:
                                        ; implicit-def: $vgpr6_vgpr7
                                        ; implicit-def: $vgpr8_vgpr9
                                        ; implicit-def: $vgpr10_vgpr11
.LBB71_13:
	v_mov_b32_e32 v6, 0
	v_mov_b32_e32 v7, 0
	s_delay_alu instid0(VALU_DEP_1)
	v_dual_mov_b32 v9, v7 :: v_dual_mov_b32 v8, v6
	v_dual_mov_b32 v11, v7 :: v_dual_mov_b32 v10, v6
	s_and_saveexec_b32 s3, s2
	s_cbranch_execz .LBB71_17
; %bb.14:
	v_mov_b32_e32 v6, 0
	v_dual_mov_b32 v7, 0 :: v_dual_mov_b32 v16, 0
	v_mad_u64_u32 v[14:15], null, v12, 24, 23
	s_mov_b32 s2, 0
	s_delay_alu instid0(VALU_DEP_2)
	v_dual_mov_b32 v9, v7 :: v_dual_mov_b32 v8, v6
	v_dual_mov_b32 v11, v7 :: v_dual_mov_b32 v10, v6
.LBB71_15:                              ; =>This Inner Loop Header: Depth=1
	v_ashrrev_i32_e32 v13, 31, v12
	s_delay_alu instid0(VALU_DEP_4) | instskip(SKIP_1) | instid1(VALU_DEP_3)
	v_subrev_nc_u32_e32 v15, 23, v14
	v_dual_mov_b32 v28, v16 :: v_dual_add_nc_u32 v21, -7, v14
	v_lshlrev_b64 v[19:20], 2, v[12:13]
	s_delay_alu instid0(VALU_DEP_3) | instskip(SKIP_2) | instid1(VALU_DEP_4)
	v_lshlrev_b64 v[23:24], 3, v[15:16]
	v_add_nc_u32_e32 v15, -14, v14
	v_add_nc_u32_e32 v12, 64, v12
	v_add_co_u32 v19, vcc_lo, s6, v19
	v_add_co_ci_u32_e32 v20, vcc_lo, s7, v20, vcc_lo
	v_add_co_u32 v39, vcc_lo, s8, v23
	v_add_co_ci_u32_e32 v40, vcc_lo, s9, v24, vcc_lo
	global_load_b32 v13, v[19:20], off
	v_dual_mov_b32 v20, v16 :: v_dual_add_nc_u32 v19, -15, v14
	v_lshlrev_b64 v[35:36], 3, v[15:16]
	v_add_nc_u32_e32 v15, -6, v14
	s_delay_alu instid0(VALU_DEP_3) | instskip(NEXT) | instid1(VALU_DEP_2)
	v_lshlrev_b64 v[19:20], 3, v[19:20]
	v_lshlrev_b64 v[37:38], 3, v[15:16]
	v_add_nc_u32_e32 v15, -13, v14
	s_delay_alu instid0(VALU_DEP_3) | instskip(NEXT) | instid1(VALU_DEP_4)
	v_add_co_u32 v29, vcc_lo, s8, v19
	v_add_co_ci_u32_e32 v30, vcc_lo, s9, v20, vcc_lo
	s_waitcnt vmcnt(0)
	v_subrev_nc_u32_e32 v13, s12, v13
	s_delay_alu instid0(VALU_DEP_1) | instskip(NEXT) | instid1(VALU_DEP_1)
	v_dual_mov_b32 v22, v16 :: v_dual_lshlrev_b32 v27, 3, v13
	v_lshlrev_b64 v[21:22], 3, v[21:22]
	s_delay_alu instid0(VALU_DEP_2) | instskip(NEXT) | instid1(VALU_DEP_2)
	v_lshlrev_b64 v[27:28], 3, v[27:28]
	v_add_co_u32 v31, vcc_lo, s8, v21
	s_delay_alu instid0(VALU_DEP_3) | instskip(NEXT) | instid1(VALU_DEP_3)
	v_add_co_ci_u32_e32 v32, vcc_lo, s9, v22, vcc_lo
	v_add_co_u32 v47, vcc_lo, s10, v27
	s_delay_alu instid0(VALU_DEP_4)
	v_add_co_ci_u32_e32 v48, vcc_lo, s11, v28, vcc_lo
	s_clause 0x3
	global_load_b128 v[19:22], v[39:40], off offset:16
	global_load_b128 v[23:26], v[39:40], off
	global_load_b64 v[51:52], v[29:30], off
	global_load_b64 v[53:54], v[31:32], off
	s_clause 0x1
	global_load_b128 v[27:30], v[47:48], off
	global_load_b128 v[31:34], v[47:48], off offset:16
	v_add_co_u32 v35, vcc_lo, s8, v35
	v_add_co_ci_u32_e32 v36, vcc_lo, s9, v36, vcc_lo
	v_add_co_u32 v37, vcc_lo, s8, v37
	v_add_co_ci_u32_e32 v38, vcc_lo, s9, v38, vcc_lo
	s_clause 0x1
	global_load_b64 v[55:56], v[35:36], off
	global_load_b64 v[57:58], v[37:38], off
	v_lshlrev_b64 v[35:36], 3, v[15:16]
	v_add_nc_u32_e32 v15, -5, v14
	s_delay_alu instid0(VALU_DEP_1) | instskip(NEXT) | instid1(VALU_DEP_3)
	v_lshlrev_b64 v[37:38], 3, v[15:16]
	v_add_co_u32 v35, vcc_lo, s8, v35
	s_delay_alu instid0(VALU_DEP_4) | instskip(SKIP_1) | instid1(VALU_DEP_4)
	v_add_co_ci_u32_e32 v36, vcc_lo, s9, v36, vcc_lo
	v_add_nc_u32_e32 v15, -12, v14
	v_add_co_u32 v37, vcc_lo, s8, v37
	v_add_co_ci_u32_e32 v38, vcc_lo, s9, v38, vcc_lo
	s_clause 0x1
	global_load_b64 v[59:60], v[35:36], off
	global_load_b64 v[61:62], v[37:38], off
	v_lshlrev_b64 v[35:36], 3, v[15:16]
	v_add_nc_u32_e32 v15, -4, v14
	s_delay_alu instid0(VALU_DEP_1) | instskip(NEXT) | instid1(VALU_DEP_3)
	v_lshlrev_b64 v[37:38], 3, v[15:16]
	v_add_co_u32 v35, vcc_lo, s8, v35
	s_delay_alu instid0(VALU_DEP_4) | instskip(SKIP_1) | instid1(VALU_DEP_4)
	v_add_co_ci_u32_e32 v36, vcc_lo, s9, v36, vcc_lo
	v_add_nc_u32_e32 v15, -11, v14
	v_add_co_u32 v37, vcc_lo, s8, v37
	v_add_co_ci_u32_e32 v38, vcc_lo, s9, v38, vcc_lo
	s_clause 0x3
	global_load_b64 v[63:64], v[35:36], off
	global_load_b64 v[65:66], v[37:38], off
	global_load_b128 v[35:38], v[39:40], off offset:48
	global_load_b128 v[39:42], v[39:40], off offset:32
	v_lshlrev_b64 v[43:44], 3, v[15:16]
	v_add_nc_u32_e32 v15, -3, v14
	s_delay_alu instid0(VALU_DEP_1) | instskip(NEXT) | instid1(VALU_DEP_3)
	v_lshlrev_b64 v[45:46], 3, v[15:16]
	v_add_co_u32 v43, vcc_lo, s8, v43
	s_delay_alu instid0(VALU_DEP_4) | instskip(SKIP_1) | instid1(VALU_DEP_4)
	v_add_co_ci_u32_e32 v44, vcc_lo, s9, v44, vcc_lo
	v_add_nc_u32_e32 v15, -10, v14
	v_add_co_u32 v45, vcc_lo, s8, v45
	v_add_co_ci_u32_e32 v46, vcc_lo, s9, v46, vcc_lo
	s_clause 0x1
	global_load_b64 v[67:68], v[43:44], off
	global_load_b64 v[69:70], v[45:46], off
	s_clause 0x1
	global_load_b128 v[43:46], v[47:48], off offset:32
	global_load_b128 v[47:50], v[47:48], off offset:48
	v_lshlrev_b64 v[71:72], 3, v[15:16]
	v_add_nc_u32_e32 v15, -2, v14
	s_delay_alu instid0(VALU_DEP_1) | instskip(NEXT) | instid1(VALU_DEP_3)
	v_lshlrev_b64 v[73:74], 3, v[15:16]
	v_add_co_u32 v71, vcc_lo, s8, v71
	s_delay_alu instid0(VALU_DEP_4) | instskip(SKIP_1) | instid1(VALU_DEP_4)
	v_add_co_ci_u32_e32 v72, vcc_lo, s9, v72, vcc_lo
	v_add_nc_u32_e32 v15, -9, v14
	v_add_co_u32 v73, vcc_lo, s8, v73
	v_add_co_ci_u32_e32 v74, vcc_lo, s9, v74, vcc_lo
	s_clause 0x1
	global_load_b64 v[71:72], v[71:72], off
	global_load_b64 v[73:74], v[73:74], off
	v_lshlrev_b64 v[75:76], 3, v[15:16]
	v_add_nc_u32_e32 v15, -1, v14
	s_delay_alu instid0(VALU_DEP_1) | instskip(NEXT) | instid1(VALU_DEP_3)
	v_lshlrev_b64 v[77:78], 3, v[15:16]
	v_add_co_u32 v75, vcc_lo, s8, v75
	s_delay_alu instid0(VALU_DEP_4) | instskip(SKIP_1) | instid1(VALU_DEP_4)
	v_add_co_ci_u32_e32 v76, vcc_lo, s9, v76, vcc_lo
	v_mov_b32_e32 v15, v16
	v_add_co_u32 v77, vcc_lo, s8, v77
	v_add_co_ci_u32_e32 v78, vcc_lo, s9, v78, vcc_lo
	s_clause 0x1
	global_load_b64 v[75:76], v[75:76], off
	global_load_b64 v[77:78], v[77:78], off
	v_lshlrev_b64 v[79:80], 3, v[14:15]
	v_add_nc_u32_e32 v15, -8, v14
	v_add_nc_u32_e32 v14, 0x600, v14
	s_delay_alu instid0(VALU_DEP_2) | instskip(NEXT) | instid1(VALU_DEP_4)
	v_lshlrev_b64 v[81:82], 3, v[15:16]
	v_add_co_u32 v79, vcc_lo, s8, v79
	v_add_co_ci_u32_e32 v80, vcc_lo, s9, v80, vcc_lo
	s_delay_alu instid0(VALU_DEP_3) | instskip(NEXT) | instid1(VALU_DEP_4)
	v_add_co_u32 v81, vcc_lo, s8, v81
	v_add_co_ci_u32_e32 v82, vcc_lo, s9, v82, vcc_lo
	s_clause 0x1
	global_load_b64 v[81:82], v[81:82], off
	global_load_b64 v[79:80], v[79:80], off
	v_cmp_ge_i32_e32 vcc_lo, v12, v18
	s_or_b32 s2, vcc_lo, s2
	s_waitcnt vmcnt(19)
	v_fma_f64 v[6:7], v[23:24], v[27:28], v[6:7]
	v_fma_f64 v[10:11], v[51:52], v[27:28], v[10:11]
	;; [unrolled: 1-line block ×3, first 2 shown]
	s_delay_alu instid0(VALU_DEP_3) | instskip(SKIP_1) | instid1(VALU_DEP_3)
	v_fma_f64 v[6:7], v[25:26], v[29:30], v[6:7]
	s_waitcnt vmcnt(17)
	v_fma_f64 v[10:11], v[55:56], v[29:30], v[10:11]
	s_waitcnt vmcnt(16)
	s_delay_alu instid0(VALU_DEP_3) | instskip(NEXT) | instid1(VALU_DEP_3)
	v_fma_f64 v[8:9], v[57:58], v[29:30], v[8:9]
	v_fma_f64 v[6:7], v[19:20], v[31:32], v[6:7]
	s_waitcnt vmcnt(15)
	s_delay_alu instid0(VALU_DEP_3) | instskip(SKIP_1) | instid1(VALU_DEP_3)
	v_fma_f64 v[10:11], v[59:60], v[31:32], v[10:11]
	s_waitcnt vmcnt(14)
	v_fma_f64 v[8:9], v[61:62], v[31:32], v[8:9]
	s_delay_alu instid0(VALU_DEP_3) | instskip(SKIP_1) | instid1(VALU_DEP_3)
	v_fma_f64 v[6:7], v[21:22], v[33:34], v[6:7]
	s_waitcnt vmcnt(13)
	v_fma_f64 v[10:11], v[63:64], v[33:34], v[10:11]
	s_waitcnt vmcnt(12)
	s_delay_alu instid0(VALU_DEP_3) | instskip(SKIP_1) | instid1(VALU_DEP_3)
	v_fma_f64 v[8:9], v[65:66], v[33:34], v[8:9]
	s_waitcnt vmcnt(7)
	v_fma_f64 v[6:7], v[39:40], v[43:44], v[6:7]
	s_delay_alu instid0(VALU_DEP_3) | instskip(NEXT) | instid1(VALU_DEP_3)
	v_fma_f64 v[10:11], v[67:68], v[43:44], v[10:11]
	v_fma_f64 v[8:9], v[69:70], v[43:44], v[8:9]
	s_delay_alu instid0(VALU_DEP_3) | instskip(SKIP_1) | instid1(VALU_DEP_3)
	v_fma_f64 v[6:7], v[41:42], v[45:46], v[6:7]
	s_waitcnt vmcnt(5)
	v_fma_f64 v[10:11], v[71:72], v[45:46], v[10:11]
	s_waitcnt vmcnt(4)
	s_delay_alu instid0(VALU_DEP_3) | instskip(NEXT) | instid1(VALU_DEP_3)
	v_fma_f64 v[8:9], v[73:74], v[45:46], v[8:9]
	v_fma_f64 v[6:7], v[35:36], v[47:48], v[6:7]
	s_waitcnt vmcnt(3)
	s_delay_alu instid0(VALU_DEP_3) | instskip(SKIP_1) | instid1(VALU_DEP_3)
	v_fma_f64 v[10:11], v[75:76], v[47:48], v[10:11]
	s_waitcnt vmcnt(2)
	v_fma_f64 v[8:9], v[77:78], v[47:48], v[8:9]
	s_delay_alu instid0(VALU_DEP_3) | instskip(SKIP_1) | instid1(VALU_DEP_3)
	v_fma_f64 v[6:7], v[37:38], v[49:50], v[6:7]
	s_waitcnt vmcnt(1)
	v_fma_f64 v[10:11], v[81:82], v[49:50], v[10:11]
	s_waitcnt vmcnt(0)
	s_delay_alu instid0(VALU_DEP_3)
	v_fma_f64 v[8:9], v[79:80], v[49:50], v[8:9]
	s_and_not1_b32 exec_lo, exec_lo, s2
	s_cbranch_execnz .LBB71_15
; %bb.16:
	s_or_b32 exec_lo, exec_lo, s2
.LBB71_17:
	s_delay_alu instid0(SALU_CYCLE_1)
	s_or_b32 exec_lo, exec_lo, s3
.LBB71_18:
	v_mbcnt_lo_u32_b32 v18, -1, 0
	s_delay_alu instid0(VALU_DEP_1) | instskip(NEXT) | instid1(VALU_DEP_1)
	v_or_b32_e32 v12, 32, v18
	v_cmp_gt_i32_e32 vcc_lo, 32, v12
	v_cndmask_b32_e32 v12, v18, v12, vcc_lo
	s_delay_alu instid0(VALU_DEP_1)
	v_lshlrev_b32_e32 v17, 2, v12
	ds_bpermute_b32 v12, v17, v6
	ds_bpermute_b32 v13, v17, v7
	ds_bpermute_b32 v14, v17, v10
	ds_bpermute_b32 v15, v17, v11
	ds_bpermute_b32 v16, v17, v8
	ds_bpermute_b32 v17, v17, v9
	s_waitcnt lgkmcnt(4)
	v_add_f64 v[6:7], v[6:7], v[12:13]
	v_xor_b32_e32 v12, 16, v18
	s_waitcnt lgkmcnt(2)
	v_add_f64 v[10:11], v[10:11], v[14:15]
	s_waitcnt lgkmcnt(0)
	v_add_f64 v[8:9], v[8:9], v[16:17]
	v_cmp_gt_i32_e32 vcc_lo, 32, v12
	v_cndmask_b32_e32 v12, v18, v12, vcc_lo
	s_delay_alu instid0(VALU_DEP_1)
	v_lshlrev_b32_e32 v17, 2, v12
	ds_bpermute_b32 v12, v17, v6
	ds_bpermute_b32 v13, v17, v7
	ds_bpermute_b32 v14, v17, v10
	ds_bpermute_b32 v15, v17, v11
	ds_bpermute_b32 v16, v17, v8
	ds_bpermute_b32 v17, v17, v9
	s_waitcnt lgkmcnt(4)
	v_add_f64 v[6:7], v[6:7], v[12:13]
	v_xor_b32_e32 v12, 8, v18
	s_waitcnt lgkmcnt(2)
	v_add_f64 v[10:11], v[10:11], v[14:15]
	s_waitcnt lgkmcnt(0)
	v_add_f64 v[8:9], v[8:9], v[16:17]
	;; [unrolled: 17-line block ×3, first 2 shown]
	v_cmp_gt_i32_e32 vcc_lo, 32, v12
	v_cndmask_b32_e32 v12, v18, v12, vcc_lo
	s_delay_alu instid0(VALU_DEP_1)
	v_lshlrev_b32_e32 v17, 2, v12
	ds_bpermute_b32 v12, v17, v6
	ds_bpermute_b32 v13, v17, v7
	;; [unrolled: 1-line block ×6, first 2 shown]
	s_waitcnt lgkmcnt(4)
	v_add_f64 v[6:7], v[6:7], v[12:13]
	s_waitcnt lgkmcnt(2)
	v_add_f64 v[10:11], v[10:11], v[14:15]
	s_waitcnt lgkmcnt(0)
	v_add_f64 v[12:13], v[8:9], v[16:17]
	v_xor_b32_e32 v8, 2, v18
	s_delay_alu instid0(VALU_DEP_1) | instskip(SKIP_1) | instid1(VALU_DEP_1)
	v_cmp_gt_i32_e32 vcc_lo, 32, v8
	v_cndmask_b32_e32 v8, v18, v8, vcc_lo
	v_lshlrev_b32_e32 v17, 2, v8
	ds_bpermute_b32 v8, v17, v6
	ds_bpermute_b32 v9, v17, v7
	;; [unrolled: 1-line block ×6, first 2 shown]
	s_waitcnt lgkmcnt(4)
	v_add_f64 v[8:9], v[6:7], v[8:9]
	s_waitcnt lgkmcnt(2)
	v_add_f64 v[6:7], v[10:11], v[14:15]
	v_xor_b32_e32 v10, 1, v18
	s_waitcnt lgkmcnt(0)
	v_add_f64 v[12:13], v[12:13], v[16:17]
	s_delay_alu instid0(VALU_DEP_2) | instskip(SKIP_2) | instid1(VALU_DEP_2)
	v_cmp_gt_i32_e32 vcc_lo, 32, v10
	v_cndmask_b32_e32 v10, v18, v10, vcc_lo
	v_cmp_eq_u32_e32 vcc_lo, 63, v0
	v_lshlrev_b32_e32 v15, 2, v10
	ds_bpermute_b32 v10, v15, v8
	ds_bpermute_b32 v11, v15, v9
	ds_bpermute_b32 v16, v15, v6
	ds_bpermute_b32 v17, v15, v7
	ds_bpermute_b32 v14, v15, v12
	ds_bpermute_b32 v15, v15, v13
	s_and_b32 exec_lo, exec_lo, vcc_lo
	s_cbranch_execz .LBB71_23
; %bb.19:
	s_waitcnt lgkmcnt(4)
	v_add_f64 v[10:11], v[8:9], v[10:11]
	s_waitcnt lgkmcnt(2)
	v_add_f64 v[8:9], v[6:7], v[16:17]
	;; [unrolled: 2-line block ×3, first 2 shown]
	s_load_b64 s[0:1], s[0:1], 0x38
	s_mov_b32 s2, exec_lo
	v_cmpx_eq_f64_e32 0, v[3:4]
	s_xor_b32 s2, exec_lo, s2
	s_cbranch_execz .LBB71_21
; %bb.20:
	s_delay_alu instid0(VALU_DEP_4) | instskip(NEXT) | instid1(VALU_DEP_4)
	v_mul_f64 v[10:11], v[1:2], v[10:11]
	v_mul_f64 v[12:13], v[1:2], v[8:9]
	s_delay_alu instid0(VALU_DEP_4) | instskip(SKIP_1) | instid1(VALU_DEP_1)
	v_mul_f64 v[0:1], v[1:2], v[6:7]
	v_lshl_add_u32 v2, v5, 1, v5
                                        ; implicit-def: $vgpr5
                                        ; implicit-def: $vgpr8_vgpr9
                                        ; implicit-def: $vgpr6_vgpr7
	v_ashrrev_i32_e32 v3, 31, v2
	s_delay_alu instid0(VALU_DEP_1) | instskip(SKIP_1) | instid1(VALU_DEP_1)
	v_lshlrev_b64 v[2:3], 3, v[2:3]
	s_waitcnt lgkmcnt(0)
	v_add_co_u32 v2, vcc_lo, s0, v2
	s_delay_alu instid0(VALU_DEP_2)
	v_add_co_ci_u32_e32 v3, vcc_lo, s1, v3, vcc_lo
	s_clause 0x1
	global_store_b128 v[2:3], v[10:13], off
	global_store_b64 v[2:3], v[0:1], off offset:16
                                        ; implicit-def: $vgpr1_vgpr2
                                        ; implicit-def: $vgpr10_vgpr11
                                        ; implicit-def: $vgpr3_vgpr4
.LBB71_21:
	s_and_not1_saveexec_b32 s2, s2
	s_cbranch_execz .LBB71_23
; %bb.22:
	v_lshl_add_u32 v12, v5, 1, v5
	v_mul_f64 v[10:11], v[1:2], v[10:11]
	v_mul_f64 v[8:9], v[1:2], v[8:9]
	;; [unrolled: 1-line block ×3, first 2 shown]
	s_delay_alu instid0(VALU_DEP_4) | instskip(NEXT) | instid1(VALU_DEP_1)
	v_ashrrev_i32_e32 v13, 31, v12
	v_lshlrev_b64 v[12:13], 3, v[12:13]
	s_waitcnt lgkmcnt(0)
	s_delay_alu instid0(VALU_DEP_1) | instskip(NEXT) | instid1(VALU_DEP_2)
	v_add_co_u32 v16, vcc_lo, s0, v12
	v_add_co_ci_u32_e32 v17, vcc_lo, s1, v13, vcc_lo
	s_clause 0x1
	global_load_b128 v[12:15], v[16:17], off
	global_load_b64 v[18:19], v[16:17], off offset:16
	s_waitcnt vmcnt(1)
	v_fma_f64 v[5:6], v[3:4], v[12:13], v[10:11]
	v_fma_f64 v[7:8], v[3:4], v[14:15], v[8:9]
	s_waitcnt vmcnt(0)
	v_fma_f64 v[0:1], v[3:4], v[18:19], v[0:1]
	s_clause 0x1
	global_store_b128 v[16:17], v[5:8], off
	global_store_b64 v[16:17], v[0:1], off offset:16
.LBB71_23:
	s_nop 0
	s_sendmsg sendmsg(MSG_DEALLOC_VGPRS)
	s_endpgm
	.section	.rodata,"a",@progbits
	.p2align	6, 0x0
	.amdhsa_kernel _ZN9rocsparseL19gebsrmvn_3xn_kernelILj128ELj8ELj64EdEEvi20rocsparse_direction_NS_24const_host_device_scalarIT2_EEPKiS6_PKS3_S8_S4_PS3_21rocsparse_index_base_b
		.amdhsa_group_segment_fixed_size 0
		.amdhsa_private_segment_fixed_size 0
		.amdhsa_kernarg_size 72
		.amdhsa_user_sgpr_count 15
		.amdhsa_user_sgpr_dispatch_ptr 0
		.amdhsa_user_sgpr_queue_ptr 0
		.amdhsa_user_sgpr_kernarg_segment_ptr 1
		.amdhsa_user_sgpr_dispatch_id 0
		.amdhsa_user_sgpr_private_segment_size 0
		.amdhsa_wavefront_size32 1
		.amdhsa_uses_dynamic_stack 0
		.amdhsa_enable_private_segment 0
		.amdhsa_system_sgpr_workgroup_id_x 1
		.amdhsa_system_sgpr_workgroup_id_y 0
		.amdhsa_system_sgpr_workgroup_id_z 0
		.amdhsa_system_sgpr_workgroup_info 0
		.amdhsa_system_vgpr_workitem_id 0
		.amdhsa_next_free_vgpr 83
		.amdhsa_next_free_sgpr 16
		.amdhsa_reserve_vcc 1
		.amdhsa_float_round_mode_32 0
		.amdhsa_float_round_mode_16_64 0
		.amdhsa_float_denorm_mode_32 3
		.amdhsa_float_denorm_mode_16_64 3
		.amdhsa_dx10_clamp 1
		.amdhsa_ieee_mode 1
		.amdhsa_fp16_overflow 0
		.amdhsa_workgroup_processor_mode 1
		.amdhsa_memory_ordered 1
		.amdhsa_forward_progress 0
		.amdhsa_shared_vgpr_count 0
		.amdhsa_exception_fp_ieee_invalid_op 0
		.amdhsa_exception_fp_denorm_src 0
		.amdhsa_exception_fp_ieee_div_zero 0
		.amdhsa_exception_fp_ieee_overflow 0
		.amdhsa_exception_fp_ieee_underflow 0
		.amdhsa_exception_fp_ieee_inexact 0
		.amdhsa_exception_int_div_zero 0
	.end_amdhsa_kernel
	.section	.text._ZN9rocsparseL19gebsrmvn_3xn_kernelILj128ELj8ELj64EdEEvi20rocsparse_direction_NS_24const_host_device_scalarIT2_EEPKiS6_PKS3_S8_S4_PS3_21rocsparse_index_base_b,"axG",@progbits,_ZN9rocsparseL19gebsrmvn_3xn_kernelILj128ELj8ELj64EdEEvi20rocsparse_direction_NS_24const_host_device_scalarIT2_EEPKiS6_PKS3_S8_S4_PS3_21rocsparse_index_base_b,comdat
.Lfunc_end71:
	.size	_ZN9rocsparseL19gebsrmvn_3xn_kernelILj128ELj8ELj64EdEEvi20rocsparse_direction_NS_24const_host_device_scalarIT2_EEPKiS6_PKS3_S8_S4_PS3_21rocsparse_index_base_b, .Lfunc_end71-_ZN9rocsparseL19gebsrmvn_3xn_kernelILj128ELj8ELj64EdEEvi20rocsparse_direction_NS_24const_host_device_scalarIT2_EEPKiS6_PKS3_S8_S4_PS3_21rocsparse_index_base_b
                                        ; -- End function
	.section	.AMDGPU.csdata,"",@progbits
; Kernel info:
; codeLenInByte = 3616
; NumSgprs: 18
; NumVgprs: 83
; ScratchSize: 0
; MemoryBound: 1
; FloatMode: 240
; IeeeMode: 1
; LDSByteSize: 0 bytes/workgroup (compile time only)
; SGPRBlocks: 2
; VGPRBlocks: 10
; NumSGPRsForWavesPerEU: 18
; NumVGPRsForWavesPerEU: 83
; Occupancy: 16
; WaveLimiterHint : 1
; COMPUTE_PGM_RSRC2:SCRATCH_EN: 0
; COMPUTE_PGM_RSRC2:USER_SGPR: 15
; COMPUTE_PGM_RSRC2:TRAP_HANDLER: 0
; COMPUTE_PGM_RSRC2:TGID_X_EN: 1
; COMPUTE_PGM_RSRC2:TGID_Y_EN: 0
; COMPUTE_PGM_RSRC2:TGID_Z_EN: 0
; COMPUTE_PGM_RSRC2:TIDIG_COMP_CNT: 0
	.section	.text._ZN9rocsparseL23gebsrmvn_general_kernelILj48ELj16EdEEvi20rocsparse_direction_NS_24const_host_device_scalarIT1_EEPKiS6_PKS3_iiS8_S4_PS3_21rocsparse_index_base_b,"axG",@progbits,_ZN9rocsparseL23gebsrmvn_general_kernelILj48ELj16EdEEvi20rocsparse_direction_NS_24const_host_device_scalarIT1_EEPKiS6_PKS3_iiS8_S4_PS3_21rocsparse_index_base_b,comdat
	.globl	_ZN9rocsparseL23gebsrmvn_general_kernelILj48ELj16EdEEvi20rocsparse_direction_NS_24const_host_device_scalarIT1_EEPKiS6_PKS3_iiS8_S4_PS3_21rocsparse_index_base_b ; -- Begin function _ZN9rocsparseL23gebsrmvn_general_kernelILj48ELj16EdEEvi20rocsparse_direction_NS_24const_host_device_scalarIT1_EEPKiS6_PKS3_iiS8_S4_PS3_21rocsparse_index_base_b
	.p2align	8
	.type	_ZN9rocsparseL23gebsrmvn_general_kernelILj48ELj16EdEEvi20rocsparse_direction_NS_24const_host_device_scalarIT1_EEPKiS6_PKS3_iiS8_S4_PS3_21rocsparse_index_base_b,@function
_ZN9rocsparseL23gebsrmvn_general_kernelILj48ELj16EdEEvi20rocsparse_direction_NS_24const_host_device_scalarIT1_EEPKiS6_PKS3_iiS8_S4_PS3_21rocsparse_index_base_b: ; @_ZN9rocsparseL23gebsrmvn_general_kernelILj48ELj16EdEEvi20rocsparse_direction_NS_24const_host_device_scalarIT1_EEPKiS6_PKS3_iiS8_S4_PS3_21rocsparse_index_base_b
; %bb.0:
	s_clause 0x2
	s_load_b64 s[8:9], s[0:1], 0x48
	s_load_b64 s[4:5], s[0:1], 0x8
	;; [unrolled: 1-line block ×3, first 2 shown]
	s_mov_b32 s16, s15
	s_waitcnt lgkmcnt(0)
	s_bitcmp1_b32 s9, 0
	v_dual_mov_b32 v1, s4 :: v_dual_mov_b32 v2, s5
	s_cselect_b32 s6, -1, 0
	s_delay_alu instid0(SALU_CYCLE_1)
	s_and_b32 vcc_lo, exec_lo, s6
	s_xor_b32 s6, s6, -1
	s_cbranch_vccnz .LBB72_2
; %bb.1:
	v_dual_mov_b32 v1, s4 :: v_dual_mov_b32 v2, s5
	flat_load_b64 v[1:2], v[1:2]
.LBB72_2:
	v_dual_mov_b32 v4, s3 :: v_dual_mov_b32 v3, s2
	s_and_not1_b32 vcc_lo, exec_lo, s6
	s_cbranch_vccnz .LBB72_4
; %bb.3:
	v_dual_mov_b32 v4, s3 :: v_dual_mov_b32 v3, s2
	flat_load_b64 v[3:4], v[3:4]
.LBB72_4:
	s_waitcnt vmcnt(0) lgkmcnt(0)
	v_cmp_neq_f64_e32 vcc_lo, 0, v[1:2]
	v_cmp_neq_f64_e64 s2, 1.0, v[3:4]
	s_delay_alu instid0(VALU_DEP_1) | instskip(NEXT) | instid1(SALU_CYCLE_1)
	s_or_b32 s2, vcc_lo, s2
	s_and_saveexec_b32 s3, s2
	s_cbranch_execz .LBB72_24
; %bb.5:
	s_load_b64 s[10:11], s[0:1], 0x28
	v_lshrrev_b32_e32 v5, 4, v0
	s_waitcnt lgkmcnt(0)
	s_delay_alu instid0(VALU_DEP_1)
	v_cmp_gt_i32_e32 vcc_lo, s10, v5
	s_and_b32 exec_lo, exec_lo, vcc_lo
	s_cbranch_execz .LBB72_24
; %bb.6:
	s_load_b128 s[4:7], s[0:1], 0x10
	s_ashr_i32 s17, s16, 31
	v_mbcnt_lo_u32_b32 v8, -1, 0
	s_lshl_b64 s[2:3], s[16:17], 2
	s_load_b32 s17, s[0:1], 0x4
	s_mul_i32 s22, s11, 3
	s_mul_i32 s23, s11, s10
	v_xor_b32_e32 v6, 8, v8
	v_xor_b32_e32 v7, 4, v8
	;; [unrolled: 1-line block ×4, first 2 shown]
	s_delay_alu instid0(VALU_DEP_4)
	v_cmp_gt_i32_e32 vcc_lo, 32, v6
	v_dual_cndmask_b32 v11, v8, v6 :: v_dual_and_b32 v0, 15, v0
	v_cmp_gt_i32_e32 vcc_lo, 32, v7
	s_waitcnt lgkmcnt(0)
	s_add_u32 s2, s4, s2
	s_addc_u32 s3, s5, s3
	v_cndmask_b32_e32 v12, v8, v7, vcc_lo
	s_load_b64 s[20:21], s[2:3], 0x0
	v_cmp_eq_f64_e64 s2, 0, v[3:4]
	s_clause 0x2
	s_load_b64 s[4:5], s[0:1], 0x20
	s_load_b64 s[12:13], s[0:1], 0x30
	;; [unrolled: 1-line block ×3, first 2 shown]
	v_cmp_gt_i32_e32 vcc_lo, 32, v9
	v_cmp_gt_i32_e64 s0, s11, v0
	v_cmp_eq_u32_e64 s1, 15, v0
	s_mov_b32 s3, 0
	s_waitcnt lgkmcnt(0)
	s_sub_i32 s9, s20, s8
	s_sub_i32 s18, s21, s8
	v_mad_u64_u32 v[6:7], null, s10, s9, v[5:6]
	v_cndmask_b32_e32 v7, v8, v9, vcc_lo
	v_cmp_gt_i32_e32 vcc_lo, 32, v10
	s_cmp_lt_i32 s20, s21
	s_mul_i32 s21, s16, s10
	s_cselect_b32 s19, -1, 0
	s_cmp_lg_u32 s17, 0
	v_cndmask_b32_e32 v8, v8, v10, vcc_lo
	v_mul_lo_u32 v13, s11, v6
	v_lshlrev_b32_e32 v10, 2, v11
	v_lshlrev_b32_e32 v11, 2, v12
	;; [unrolled: 1-line block ×4, first 2 shown]
	s_cselect_b32 s20, -1, 0
	s_branch .LBB72_8
.LBB72_7:                               ;   in Loop: Header=BB72_8 Depth=1
	s_or_b32 exec_lo, exec_lo, s16
	v_add_nc_u32_e32 v5, 3, v5
	v_add_nc_u32_e32 v13, s22, v13
	s_delay_alu instid0(VALU_DEP_2) | instskip(SKIP_1) | instid1(SALU_CYCLE_1)
	v_cmp_le_i32_e32 vcc_lo, s10, v5
	s_or_b32 s3, vcc_lo, s3
	s_and_not1_b32 exec_lo, exec_lo, s3
	s_cbranch_execz .LBB72_24
.LBB72_8:                               ; =>This Loop Header: Depth=1
                                        ;     Child Loop BB72_12 Depth 2
                                        ;       Child Loop BB72_15 Depth 3
	v_mov_b32_e32 v6, 0
	v_mov_b32_e32 v7, 0
	s_and_not1_b32 vcc_lo, exec_lo, s19
	s_cbranch_vccnz .LBB72_19
; %bb.9:                                ;   in Loop: Header=BB72_8 Depth=1
	v_dual_mov_b32 v6, 0 :: v_dual_mov_b32 v15, v13
	v_mov_b32_e32 v7, 0
	s_mov_b32 s16, s9
	s_branch .LBB72_12
.LBB72_10:                              ;   in Loop: Header=BB72_12 Depth=2
	s_set_inst_prefetch_distance 0x2
	s_or_b32 exec_lo, exec_lo, s25
.LBB72_11:                              ;   in Loop: Header=BB72_12 Depth=2
	s_delay_alu instid0(SALU_CYCLE_1) | instskip(SKIP_2) | instid1(SALU_CYCLE_1)
	s_or_b32 exec_lo, exec_lo, s24
	v_add_nc_u32_e32 v15, s23, v15
	s_add_i32 s16, s16, 1
	s_cmp_ge_i32 s16, s18
	s_cbranch_scc1 .LBB72_19
.LBB72_12:                              ;   Parent Loop BB72_8 Depth=1
                                        ; =>  This Loop Header: Depth=2
                                        ;       Child Loop BB72_15 Depth 3
	s_and_saveexec_b32 s24, s0
	s_cbranch_execz .LBB72_11
; %bb.13:                               ;   in Loop: Header=BB72_12 Depth=2
	s_ashr_i32 s17, s16, 31
	v_mov_b32_e32 v16, v0
	s_lshl_b64 s[26:27], s[16:17], 2
	s_mov_b32 s25, 0
	s_add_u32 s26, s6, s26
	s_addc_u32 s27, s7, s27
	s_load_b32 s17, s[26:27], 0x0
	s_waitcnt lgkmcnt(0)
	s_sub_i32 s26, s17, s8
	s_mul_i32 s17, s16, s11
	s_mul_i32 s26, s26, s11
	s_set_inst_prefetch_distance 0x1
	s_branch .LBB72_15
	.p2align	6
.LBB72_14:                              ;   in Loop: Header=BB72_15 Depth=3
	v_add_nc_u32_e32 v17, s26, v16
	s_delay_alu instid0(VALU_DEP_2) | instskip(SKIP_1) | instid1(VALU_DEP_3)
	v_ashrrev_i32_e32 v9, 31, v8
	v_add_nc_u32_e32 v16, 16, v16
	v_ashrrev_i32_e32 v18, 31, v17
	s_delay_alu instid0(VALU_DEP_3) | instskip(NEXT) | instid1(VALU_DEP_2)
	v_lshlrev_b64 v[8:9], 3, v[8:9]
	v_lshlrev_b64 v[17:18], 3, v[17:18]
	s_delay_alu instid0(VALU_DEP_2) | instskip(NEXT) | instid1(VALU_DEP_3)
	v_add_co_u32 v8, vcc_lo, s4, v8
	v_add_co_ci_u32_e32 v9, vcc_lo, s5, v9, vcc_lo
	s_delay_alu instid0(VALU_DEP_3) | instskip(NEXT) | instid1(VALU_DEP_4)
	v_add_co_u32 v17, vcc_lo, s12, v17
	v_add_co_ci_u32_e32 v18, vcc_lo, s13, v18, vcc_lo
	v_cmp_le_i32_e32 vcc_lo, s11, v16
	global_load_b64 v[8:9], v[8:9], off
	global_load_b64 v[17:18], v[17:18], off
	s_or_b32 s25, vcc_lo, s25
	s_waitcnt vmcnt(0)
	v_fma_f64 v[6:7], v[8:9], v[17:18], v[6:7]
	s_and_not1_b32 exec_lo, exec_lo, s25
	s_cbranch_execz .LBB72_10
.LBB72_15:                              ;   Parent Loop BB72_8 Depth=1
                                        ;     Parent Loop BB72_12 Depth=2
                                        ; =>    This Inner Loop Header: Depth=3
	s_and_b32 vcc_lo, exec_lo, s20
	s_cbranch_vccz .LBB72_17
; %bb.16:                               ;   in Loop: Header=BB72_15 Depth=3
	v_add_nc_u32_e32 v17, s17, v16
	s_delay_alu instid0(VALU_DEP_1)
	v_mad_u64_u32 v[8:9], null, v17, s10, v[5:6]
	s_cbranch_execnz .LBB72_14
	s_branch .LBB72_18
	.p2align	6
.LBB72_17:                              ;   in Loop: Header=BB72_15 Depth=3
                                        ; implicit-def: $vgpr8
.LBB72_18:                              ;   in Loop: Header=BB72_15 Depth=3
	v_add_nc_u32_e32 v8, v15, v16
	s_branch .LBB72_14
.LBB72_19:                              ;   in Loop: Header=BB72_8 Depth=1
	s_waitcnt lgkmcnt(1)
	ds_bpermute_b32 v8, v10, v6
	s_waitcnt lgkmcnt(1)
	ds_bpermute_b32 v9, v10, v7
	s_waitcnt lgkmcnt(0)
	v_add_f64 v[6:7], v[6:7], v[8:9]
	ds_bpermute_b32 v8, v11, v6
	ds_bpermute_b32 v9, v11, v7
	s_waitcnt lgkmcnt(0)
	v_add_f64 v[6:7], v[6:7], v[8:9]
	ds_bpermute_b32 v8, v12, v6
	;; [unrolled: 4-line block ×3, first 2 shown]
	ds_bpermute_b32 v9, v14, v7
	s_and_saveexec_b32 s16, s1
	s_cbranch_execz .LBB72_7
; %bb.20:                               ;   in Loop: Header=BB72_8 Depth=1
	s_waitcnt lgkmcnt(0)
	v_add_f64 v[6:7], v[6:7], v[8:9]
	v_add_nc_u32_e32 v8, s21, v5
	s_delay_alu instid0(VALU_DEP_1) | instskip(NEXT) | instid1(VALU_DEP_3)
	v_ashrrev_i32_e32 v9, 31, v8
	v_mul_f64 v[6:7], v[1:2], v[6:7]
	s_and_saveexec_b32 s17, s2
	s_delay_alu instid0(SALU_CYCLE_1)
	s_xor_b32 s17, exec_lo, s17
	s_cbranch_execz .LBB72_22
; %bb.21:                               ;   in Loop: Header=BB72_8 Depth=1
	v_lshlrev_b64 v[8:9], 3, v[8:9]
	s_delay_alu instid0(VALU_DEP_1) | instskip(NEXT) | instid1(VALU_DEP_2)
	v_add_co_u32 v8, vcc_lo, s14, v8
	v_add_co_ci_u32_e32 v9, vcc_lo, s15, v9, vcc_lo
	global_store_b64 v[8:9], v[6:7], off
                                        ; implicit-def: $vgpr8
                                        ; implicit-def: $vgpr6_vgpr7
.LBB72_22:                              ;   in Loop: Header=BB72_8 Depth=1
	s_and_not1_saveexec_b32 s17, s17
	s_cbranch_execz .LBB72_7
; %bb.23:                               ;   in Loop: Header=BB72_8 Depth=1
	v_lshlrev_b64 v[8:9], 3, v[8:9]
	s_delay_alu instid0(VALU_DEP_1) | instskip(NEXT) | instid1(VALU_DEP_2)
	v_add_co_u32 v8, vcc_lo, s14, v8
	v_add_co_ci_u32_e32 v9, vcc_lo, s15, v9, vcc_lo
	global_load_b64 v[15:16], v[8:9], off
	s_waitcnt vmcnt(0)
	v_fma_f64 v[6:7], v[3:4], v[15:16], v[6:7]
	global_store_b64 v[8:9], v[6:7], off
	s_branch .LBB72_7
.LBB72_24:
	s_nop 0
	s_sendmsg sendmsg(MSG_DEALLOC_VGPRS)
	s_endpgm
	.section	.rodata,"a",@progbits
	.p2align	6, 0x0
	.amdhsa_kernel _ZN9rocsparseL23gebsrmvn_general_kernelILj48ELj16EdEEvi20rocsparse_direction_NS_24const_host_device_scalarIT1_EEPKiS6_PKS3_iiS8_S4_PS3_21rocsparse_index_base_b
		.amdhsa_group_segment_fixed_size 0
		.amdhsa_private_segment_fixed_size 0
		.amdhsa_kernarg_size 80
		.amdhsa_user_sgpr_count 15
		.amdhsa_user_sgpr_dispatch_ptr 0
		.amdhsa_user_sgpr_queue_ptr 0
		.amdhsa_user_sgpr_kernarg_segment_ptr 1
		.amdhsa_user_sgpr_dispatch_id 0
		.amdhsa_user_sgpr_private_segment_size 0
		.amdhsa_wavefront_size32 1
		.amdhsa_uses_dynamic_stack 0
		.amdhsa_enable_private_segment 0
		.amdhsa_system_sgpr_workgroup_id_x 1
		.amdhsa_system_sgpr_workgroup_id_y 0
		.amdhsa_system_sgpr_workgroup_id_z 0
		.amdhsa_system_sgpr_workgroup_info 0
		.amdhsa_system_vgpr_workitem_id 0
		.amdhsa_next_free_vgpr 19
		.amdhsa_next_free_sgpr 28
		.amdhsa_reserve_vcc 1
		.amdhsa_float_round_mode_32 0
		.amdhsa_float_round_mode_16_64 0
		.amdhsa_float_denorm_mode_32 3
		.amdhsa_float_denorm_mode_16_64 3
		.amdhsa_dx10_clamp 1
		.amdhsa_ieee_mode 1
		.amdhsa_fp16_overflow 0
		.amdhsa_workgroup_processor_mode 1
		.amdhsa_memory_ordered 1
		.amdhsa_forward_progress 0
		.amdhsa_shared_vgpr_count 0
		.amdhsa_exception_fp_ieee_invalid_op 0
		.amdhsa_exception_fp_denorm_src 0
		.amdhsa_exception_fp_ieee_div_zero 0
		.amdhsa_exception_fp_ieee_overflow 0
		.amdhsa_exception_fp_ieee_underflow 0
		.amdhsa_exception_fp_ieee_inexact 0
		.amdhsa_exception_int_div_zero 0
	.end_amdhsa_kernel
	.section	.text._ZN9rocsparseL23gebsrmvn_general_kernelILj48ELj16EdEEvi20rocsparse_direction_NS_24const_host_device_scalarIT1_EEPKiS6_PKS3_iiS8_S4_PS3_21rocsparse_index_base_b,"axG",@progbits,_ZN9rocsparseL23gebsrmvn_general_kernelILj48ELj16EdEEvi20rocsparse_direction_NS_24const_host_device_scalarIT1_EEPKiS6_PKS3_iiS8_S4_PS3_21rocsparse_index_base_b,comdat
.Lfunc_end72:
	.size	_ZN9rocsparseL23gebsrmvn_general_kernelILj48ELj16EdEEvi20rocsparse_direction_NS_24const_host_device_scalarIT1_EEPKiS6_PKS3_iiS8_S4_PS3_21rocsparse_index_base_b, .Lfunc_end72-_ZN9rocsparseL23gebsrmvn_general_kernelILj48ELj16EdEEvi20rocsparse_direction_NS_24const_host_device_scalarIT1_EEPKiS6_PKS3_iiS8_S4_PS3_21rocsparse_index_base_b
                                        ; -- End function
	.section	.AMDGPU.csdata,"",@progbits
; Kernel info:
; codeLenInByte = 1012
; NumSgprs: 30
; NumVgprs: 19
; ScratchSize: 0
; MemoryBound: 0
; FloatMode: 240
; IeeeMode: 1
; LDSByteSize: 0 bytes/workgroup (compile time only)
; SGPRBlocks: 3
; VGPRBlocks: 2
; NumSGPRsForWavesPerEU: 30
; NumVGPRsForWavesPerEU: 19
; Occupancy: 16
; WaveLimiterHint : 1
; COMPUTE_PGM_RSRC2:SCRATCH_EN: 0
; COMPUTE_PGM_RSRC2:USER_SGPR: 15
; COMPUTE_PGM_RSRC2:TRAP_HANDLER: 0
; COMPUTE_PGM_RSRC2:TGID_X_EN: 1
; COMPUTE_PGM_RSRC2:TGID_Y_EN: 0
; COMPUTE_PGM_RSRC2:TGID_Z_EN: 0
; COMPUTE_PGM_RSRC2:TIDIG_COMP_CNT: 0
	.section	.text._ZN9rocsparseL23gebsrmvn_general_kernelILj96ELj32EdEEvi20rocsparse_direction_NS_24const_host_device_scalarIT1_EEPKiS6_PKS3_iiS8_S4_PS3_21rocsparse_index_base_b,"axG",@progbits,_ZN9rocsparseL23gebsrmvn_general_kernelILj96ELj32EdEEvi20rocsparse_direction_NS_24const_host_device_scalarIT1_EEPKiS6_PKS3_iiS8_S4_PS3_21rocsparse_index_base_b,comdat
	.globl	_ZN9rocsparseL23gebsrmvn_general_kernelILj96ELj32EdEEvi20rocsparse_direction_NS_24const_host_device_scalarIT1_EEPKiS6_PKS3_iiS8_S4_PS3_21rocsparse_index_base_b ; -- Begin function _ZN9rocsparseL23gebsrmvn_general_kernelILj96ELj32EdEEvi20rocsparse_direction_NS_24const_host_device_scalarIT1_EEPKiS6_PKS3_iiS8_S4_PS3_21rocsparse_index_base_b
	.p2align	8
	.type	_ZN9rocsparseL23gebsrmvn_general_kernelILj96ELj32EdEEvi20rocsparse_direction_NS_24const_host_device_scalarIT1_EEPKiS6_PKS3_iiS8_S4_PS3_21rocsparse_index_base_b,@function
_ZN9rocsparseL23gebsrmvn_general_kernelILj96ELj32EdEEvi20rocsparse_direction_NS_24const_host_device_scalarIT1_EEPKiS6_PKS3_iiS8_S4_PS3_21rocsparse_index_base_b: ; @_ZN9rocsparseL23gebsrmvn_general_kernelILj96ELj32EdEEvi20rocsparse_direction_NS_24const_host_device_scalarIT1_EEPKiS6_PKS3_iiS8_S4_PS3_21rocsparse_index_base_b
; %bb.0:
	s_clause 0x2
	s_load_b64 s[8:9], s[0:1], 0x48
	s_load_b64 s[4:5], s[0:1], 0x8
	;; [unrolled: 1-line block ×3, first 2 shown]
	s_mov_b32 s16, s15
	s_waitcnt lgkmcnt(0)
	s_bitcmp1_b32 s9, 0
	v_dual_mov_b32 v1, s4 :: v_dual_mov_b32 v2, s5
	s_cselect_b32 s6, -1, 0
	s_delay_alu instid0(SALU_CYCLE_1)
	s_and_b32 vcc_lo, exec_lo, s6
	s_xor_b32 s6, s6, -1
	s_cbranch_vccnz .LBB73_2
; %bb.1:
	v_dual_mov_b32 v1, s4 :: v_dual_mov_b32 v2, s5
	flat_load_b64 v[1:2], v[1:2]
.LBB73_2:
	v_dual_mov_b32 v4, s3 :: v_dual_mov_b32 v3, s2
	s_and_not1_b32 vcc_lo, exec_lo, s6
	s_cbranch_vccnz .LBB73_4
; %bb.3:
	v_dual_mov_b32 v4, s3 :: v_dual_mov_b32 v3, s2
	flat_load_b64 v[3:4], v[3:4]
.LBB73_4:
	s_waitcnt vmcnt(0) lgkmcnt(0)
	v_cmp_neq_f64_e32 vcc_lo, 0, v[1:2]
	v_cmp_neq_f64_e64 s2, 1.0, v[3:4]
	s_delay_alu instid0(VALU_DEP_1) | instskip(NEXT) | instid1(SALU_CYCLE_1)
	s_or_b32 s2, vcc_lo, s2
	s_and_saveexec_b32 s3, s2
	s_cbranch_execz .LBB73_24
; %bb.5:
	s_load_b64 s[10:11], s[0:1], 0x28
	v_lshrrev_b32_e32 v5, 5, v0
	s_waitcnt lgkmcnt(0)
	s_delay_alu instid0(VALU_DEP_1)
	v_cmp_gt_i32_e32 vcc_lo, s10, v5
	s_and_b32 exec_lo, exec_lo, vcc_lo
	s_cbranch_execz .LBB73_24
; %bb.6:
	s_load_b128 s[4:7], s[0:1], 0x10
	v_mbcnt_lo_u32_b32 v8, -1, 0
	s_ashr_i32 s17, s16, 31
	s_mul_i32 s22, s11, 3
	s_lshl_b64 s[2:3], s[16:17], 2
	s_load_b32 s17, s[0:1], 0x4
	v_xor_b32_e32 v6, 16, v8
	v_xor_b32_e32 v7, 8, v8
	;; [unrolled: 1-line block ×5, first 2 shown]
	v_cmp_gt_i32_e32 vcc_lo, 32, v6
	s_mul_i32 s23, s11, s10
	v_cndmask_b32_e32 v12, v8, v6, vcc_lo
	v_cmp_gt_i32_e32 vcc_lo, 32, v7
	v_and_b32_e32 v0, 31, v0
	s_waitcnt lgkmcnt(0)
	s_add_u32 s2, s4, s2
	s_addc_u32 s3, s5, s3
	v_cndmask_b32_e32 v13, v8, v7, vcc_lo
	s_load_b64 s[20:21], s[2:3], 0x0
	s_clause 0x2
	s_load_b64 s[4:5], s[0:1], 0x20
	s_load_b64 s[12:13], s[0:1], 0x30
	;; [unrolled: 1-line block ×3, first 2 shown]
	v_cmp_eq_f64_e64 s0, 0, v[3:4]
	v_cmp_gt_i32_e32 vcc_lo, 32, v9
	v_cmp_gt_i32_e64 s1, s11, v0
	v_cmp_eq_u32_e64 s2, 31, v0
	s_mov_b32 s3, 0
	v_cndmask_b32_e32 v9, v8, v9, vcc_lo
	v_cmp_gt_i32_e32 vcc_lo, 32, v10
	v_cndmask_b32_e32 v14, v8, v10, vcc_lo
	v_cmp_gt_i32_e32 vcc_lo, 32, v11
	s_waitcnt lgkmcnt(0)
	s_sub_i32 s9, s20, s8
	s_sub_i32 s18, s21, s8
	v_mad_u64_u32 v[6:7], null, s10, s9, v[5:6]
	v_cndmask_b32_e32 v7, v8, v11, vcc_lo
	v_lshlrev_b32_e32 v11, 2, v13
	v_lshlrev_b32_e32 v10, 2, v12
	;; [unrolled: 1-line block ×3, first 2 shown]
	s_cmp_lt_i32 s20, s21
	v_lshlrev_b32_e32 v15, 2, v7
	v_lshlrev_b32_e32 v13, 2, v14
	v_mul_lo_u32 v14, s11, v6
	s_cselect_b32 s19, -1, 0
	s_cmp_lg_u32 s17, 0
	s_mul_i32 s21, s16, s10
	s_cselect_b32 s20, -1, 0
	s_branch .LBB73_8
.LBB73_7:                               ;   in Loop: Header=BB73_8 Depth=1
	s_or_b32 exec_lo, exec_lo, s16
	v_add_nc_u32_e32 v5, 3, v5
	v_add_nc_u32_e32 v14, s22, v14
	s_delay_alu instid0(VALU_DEP_2) | instskip(SKIP_1) | instid1(SALU_CYCLE_1)
	v_cmp_le_i32_e32 vcc_lo, s10, v5
	s_or_b32 s3, vcc_lo, s3
	s_and_not1_b32 exec_lo, exec_lo, s3
	s_cbranch_execz .LBB73_24
.LBB73_8:                               ; =>This Loop Header: Depth=1
                                        ;     Child Loop BB73_12 Depth 2
                                        ;       Child Loop BB73_15 Depth 3
	v_mov_b32_e32 v6, 0
	v_mov_b32_e32 v7, 0
	s_and_not1_b32 vcc_lo, exec_lo, s19
	s_cbranch_vccnz .LBB73_19
; %bb.9:                                ;   in Loop: Header=BB73_8 Depth=1
	v_mov_b32_e32 v6, 0
	v_dual_mov_b32 v7, 0 :: v_dual_mov_b32 v16, v14
	s_mov_b32 s16, s9
	s_branch .LBB73_12
.LBB73_10:                              ;   in Loop: Header=BB73_12 Depth=2
	s_set_inst_prefetch_distance 0x2
	s_or_b32 exec_lo, exec_lo, s25
.LBB73_11:                              ;   in Loop: Header=BB73_12 Depth=2
	s_delay_alu instid0(SALU_CYCLE_1) | instskip(SKIP_2) | instid1(SALU_CYCLE_1)
	s_or_b32 exec_lo, exec_lo, s24
	v_add_nc_u32_e32 v16, s23, v16
	s_add_i32 s16, s16, 1
	s_cmp_ge_i32 s16, s18
	s_cbranch_scc1 .LBB73_19
.LBB73_12:                              ;   Parent Loop BB73_8 Depth=1
                                        ; =>  This Loop Header: Depth=2
                                        ;       Child Loop BB73_15 Depth 3
	s_and_saveexec_b32 s24, s1
	s_cbranch_execz .LBB73_11
; %bb.13:                               ;   in Loop: Header=BB73_12 Depth=2
	s_ashr_i32 s17, s16, 31
	v_mov_b32_e32 v17, v0
	s_lshl_b64 s[26:27], s[16:17], 2
	s_mov_b32 s25, 0
	s_add_u32 s26, s6, s26
	s_addc_u32 s27, s7, s27
	s_load_b32 s17, s[26:27], 0x0
	s_waitcnt lgkmcnt(0)
	s_sub_i32 s26, s17, s8
	s_mul_i32 s17, s16, s11
	s_mul_i32 s26, s26, s11
	s_set_inst_prefetch_distance 0x1
	s_branch .LBB73_15
	.p2align	6
.LBB73_14:                              ;   in Loop: Header=BB73_15 Depth=3
	v_add_nc_u32_e32 v18, s26, v17
	s_delay_alu instid0(VALU_DEP_2) | instskip(SKIP_1) | instid1(VALU_DEP_3)
	v_ashrrev_i32_e32 v9, 31, v8
	v_add_nc_u32_e32 v17, 32, v17
	v_ashrrev_i32_e32 v19, 31, v18
	s_delay_alu instid0(VALU_DEP_3) | instskip(NEXT) | instid1(VALU_DEP_2)
	v_lshlrev_b64 v[8:9], 3, v[8:9]
	v_lshlrev_b64 v[18:19], 3, v[18:19]
	s_delay_alu instid0(VALU_DEP_2) | instskip(NEXT) | instid1(VALU_DEP_3)
	v_add_co_u32 v8, vcc_lo, s4, v8
	v_add_co_ci_u32_e32 v9, vcc_lo, s5, v9, vcc_lo
	s_delay_alu instid0(VALU_DEP_3) | instskip(NEXT) | instid1(VALU_DEP_4)
	v_add_co_u32 v18, vcc_lo, s12, v18
	v_add_co_ci_u32_e32 v19, vcc_lo, s13, v19, vcc_lo
	v_cmp_le_i32_e32 vcc_lo, s11, v17
	global_load_b64 v[8:9], v[8:9], off
	global_load_b64 v[18:19], v[18:19], off
	s_or_b32 s25, vcc_lo, s25
	s_waitcnt vmcnt(0)
	v_fma_f64 v[6:7], v[8:9], v[18:19], v[6:7]
	s_and_not1_b32 exec_lo, exec_lo, s25
	s_cbranch_execz .LBB73_10
.LBB73_15:                              ;   Parent Loop BB73_8 Depth=1
                                        ;     Parent Loop BB73_12 Depth=2
                                        ; =>    This Inner Loop Header: Depth=3
	s_and_b32 vcc_lo, exec_lo, s20
	s_cbranch_vccz .LBB73_17
; %bb.16:                               ;   in Loop: Header=BB73_15 Depth=3
	v_add_nc_u32_e32 v18, s17, v17
	s_delay_alu instid0(VALU_DEP_1)
	v_mad_u64_u32 v[8:9], null, v18, s10, v[5:6]
	s_cbranch_execnz .LBB73_14
	s_branch .LBB73_18
	.p2align	6
.LBB73_17:                              ;   in Loop: Header=BB73_15 Depth=3
                                        ; implicit-def: $vgpr8
.LBB73_18:                              ;   in Loop: Header=BB73_15 Depth=3
	v_add_nc_u32_e32 v8, v16, v17
	s_branch .LBB73_14
.LBB73_19:                              ;   in Loop: Header=BB73_8 Depth=1
	s_waitcnt lgkmcnt(1)
	ds_bpermute_b32 v8, v10, v6
	s_waitcnt lgkmcnt(1)
	ds_bpermute_b32 v9, v10, v7
	s_waitcnt lgkmcnt(0)
	v_add_f64 v[6:7], v[6:7], v[8:9]
	ds_bpermute_b32 v8, v11, v6
	ds_bpermute_b32 v9, v11, v7
	s_waitcnt lgkmcnt(0)
	v_add_f64 v[6:7], v[6:7], v[8:9]
	ds_bpermute_b32 v8, v12, v6
	;; [unrolled: 4-line block ×4, first 2 shown]
	ds_bpermute_b32 v9, v15, v7
	s_and_saveexec_b32 s16, s2
	s_cbranch_execz .LBB73_7
; %bb.20:                               ;   in Loop: Header=BB73_8 Depth=1
	s_waitcnt lgkmcnt(0)
	v_add_f64 v[6:7], v[6:7], v[8:9]
	v_add_nc_u32_e32 v8, s21, v5
	s_delay_alu instid0(VALU_DEP_1) | instskip(NEXT) | instid1(VALU_DEP_3)
	v_ashrrev_i32_e32 v9, 31, v8
	v_mul_f64 v[6:7], v[1:2], v[6:7]
	s_and_saveexec_b32 s17, s0
	s_delay_alu instid0(SALU_CYCLE_1)
	s_xor_b32 s17, exec_lo, s17
	s_cbranch_execz .LBB73_22
; %bb.21:                               ;   in Loop: Header=BB73_8 Depth=1
	v_lshlrev_b64 v[8:9], 3, v[8:9]
	s_delay_alu instid0(VALU_DEP_1) | instskip(NEXT) | instid1(VALU_DEP_2)
	v_add_co_u32 v8, vcc_lo, s14, v8
	v_add_co_ci_u32_e32 v9, vcc_lo, s15, v9, vcc_lo
	global_store_b64 v[8:9], v[6:7], off
                                        ; implicit-def: $vgpr8
                                        ; implicit-def: $vgpr6_vgpr7
.LBB73_22:                              ;   in Loop: Header=BB73_8 Depth=1
	s_and_not1_saveexec_b32 s17, s17
	s_cbranch_execz .LBB73_7
; %bb.23:                               ;   in Loop: Header=BB73_8 Depth=1
	v_lshlrev_b64 v[8:9], 3, v[8:9]
	s_delay_alu instid0(VALU_DEP_1) | instskip(NEXT) | instid1(VALU_DEP_2)
	v_add_co_u32 v8, vcc_lo, s14, v8
	v_add_co_ci_u32_e32 v9, vcc_lo, s15, v9, vcc_lo
	global_load_b64 v[16:17], v[8:9], off
	s_waitcnt vmcnt(0)
	v_fma_f64 v[6:7], v[3:4], v[16:17], v[6:7]
	global_store_b64 v[8:9], v[6:7], off
	s_branch .LBB73_7
.LBB73_24:
	s_nop 0
	s_sendmsg sendmsg(MSG_DEALLOC_VGPRS)
	s_endpgm
	.section	.rodata,"a",@progbits
	.p2align	6, 0x0
	.amdhsa_kernel _ZN9rocsparseL23gebsrmvn_general_kernelILj96ELj32EdEEvi20rocsparse_direction_NS_24const_host_device_scalarIT1_EEPKiS6_PKS3_iiS8_S4_PS3_21rocsparse_index_base_b
		.amdhsa_group_segment_fixed_size 0
		.amdhsa_private_segment_fixed_size 0
		.amdhsa_kernarg_size 80
		.amdhsa_user_sgpr_count 15
		.amdhsa_user_sgpr_dispatch_ptr 0
		.amdhsa_user_sgpr_queue_ptr 0
		.amdhsa_user_sgpr_kernarg_segment_ptr 1
		.amdhsa_user_sgpr_dispatch_id 0
		.amdhsa_user_sgpr_private_segment_size 0
		.amdhsa_wavefront_size32 1
		.amdhsa_uses_dynamic_stack 0
		.amdhsa_enable_private_segment 0
		.amdhsa_system_sgpr_workgroup_id_x 1
		.amdhsa_system_sgpr_workgroup_id_y 0
		.amdhsa_system_sgpr_workgroup_id_z 0
		.amdhsa_system_sgpr_workgroup_info 0
		.amdhsa_system_vgpr_workitem_id 0
		.amdhsa_next_free_vgpr 20
		.amdhsa_next_free_sgpr 28
		.amdhsa_reserve_vcc 1
		.amdhsa_float_round_mode_32 0
		.amdhsa_float_round_mode_16_64 0
		.amdhsa_float_denorm_mode_32 3
		.amdhsa_float_denorm_mode_16_64 3
		.amdhsa_dx10_clamp 1
		.amdhsa_ieee_mode 1
		.amdhsa_fp16_overflow 0
		.amdhsa_workgroup_processor_mode 1
		.amdhsa_memory_ordered 1
		.amdhsa_forward_progress 0
		.amdhsa_shared_vgpr_count 0
		.amdhsa_exception_fp_ieee_invalid_op 0
		.amdhsa_exception_fp_denorm_src 0
		.amdhsa_exception_fp_ieee_div_zero 0
		.amdhsa_exception_fp_ieee_overflow 0
		.amdhsa_exception_fp_ieee_underflow 0
		.amdhsa_exception_fp_ieee_inexact 0
		.amdhsa_exception_int_div_zero 0
	.end_amdhsa_kernel
	.section	.text._ZN9rocsparseL23gebsrmvn_general_kernelILj96ELj32EdEEvi20rocsparse_direction_NS_24const_host_device_scalarIT1_EEPKiS6_PKS3_iiS8_S4_PS3_21rocsparse_index_base_b,"axG",@progbits,_ZN9rocsparseL23gebsrmvn_general_kernelILj96ELj32EdEEvi20rocsparse_direction_NS_24const_host_device_scalarIT1_EEPKiS6_PKS3_iiS8_S4_PS3_21rocsparse_index_base_b,comdat
.Lfunc_end73:
	.size	_ZN9rocsparseL23gebsrmvn_general_kernelILj96ELj32EdEEvi20rocsparse_direction_NS_24const_host_device_scalarIT1_EEPKiS6_PKS3_iiS8_S4_PS3_21rocsparse_index_base_b, .Lfunc_end73-_ZN9rocsparseL23gebsrmvn_general_kernelILj96ELj32EdEEvi20rocsparse_direction_NS_24const_host_device_scalarIT1_EEPKiS6_PKS3_iiS8_S4_PS3_21rocsparse_index_base_b
                                        ; -- End function
	.section	.AMDGPU.csdata,"",@progbits
; Kernel info:
; codeLenInByte = 1052
; NumSgprs: 30
; NumVgprs: 20
; ScratchSize: 0
; MemoryBound: 0
; FloatMode: 240
; IeeeMode: 1
; LDSByteSize: 0 bytes/workgroup (compile time only)
; SGPRBlocks: 3
; VGPRBlocks: 2
; NumSGPRsForWavesPerEU: 30
; NumVGPRsForWavesPerEU: 20
; Occupancy: 16
; WaveLimiterHint : 1
; COMPUTE_PGM_RSRC2:SCRATCH_EN: 0
; COMPUTE_PGM_RSRC2:USER_SGPR: 15
; COMPUTE_PGM_RSRC2:TRAP_HANDLER: 0
; COMPUTE_PGM_RSRC2:TGID_X_EN: 1
; COMPUTE_PGM_RSRC2:TGID_Y_EN: 0
; COMPUTE_PGM_RSRC2:TGID_Z_EN: 0
; COMPUTE_PGM_RSRC2:TIDIG_COMP_CNT: 0
	.section	.text._ZN9rocsparseL19gebsrmvn_3xn_kernelILj128ELj1ELj4E21rocsparse_complex_numIfEEEvi20rocsparse_direction_NS_24const_host_device_scalarIT2_EEPKiS8_PKS5_SA_S6_PS5_21rocsparse_index_base_b,"axG",@progbits,_ZN9rocsparseL19gebsrmvn_3xn_kernelILj128ELj1ELj4E21rocsparse_complex_numIfEEEvi20rocsparse_direction_NS_24const_host_device_scalarIT2_EEPKiS8_PKS5_SA_S6_PS5_21rocsparse_index_base_b,comdat
	.globl	_ZN9rocsparseL19gebsrmvn_3xn_kernelILj128ELj1ELj4E21rocsparse_complex_numIfEEEvi20rocsparse_direction_NS_24const_host_device_scalarIT2_EEPKiS8_PKS5_SA_S6_PS5_21rocsparse_index_base_b ; -- Begin function _ZN9rocsparseL19gebsrmvn_3xn_kernelILj128ELj1ELj4E21rocsparse_complex_numIfEEEvi20rocsparse_direction_NS_24const_host_device_scalarIT2_EEPKiS8_PKS5_SA_S6_PS5_21rocsparse_index_base_b
	.p2align	8
	.type	_ZN9rocsparseL19gebsrmvn_3xn_kernelILj128ELj1ELj4E21rocsparse_complex_numIfEEEvi20rocsparse_direction_NS_24const_host_device_scalarIT2_EEPKiS8_PKS5_SA_S6_PS5_21rocsparse_index_base_b,@function
_ZN9rocsparseL19gebsrmvn_3xn_kernelILj128ELj1ELj4E21rocsparse_complex_numIfEEEvi20rocsparse_direction_NS_24const_host_device_scalarIT2_EEPKiS8_PKS5_SA_S6_PS5_21rocsparse_index_base_b: ; @_ZN9rocsparseL19gebsrmvn_3xn_kernelILj128ELj1ELj4E21rocsparse_complex_numIfEEEvi20rocsparse_direction_NS_24const_host_device_scalarIT2_EEPKiS8_PKS5_SA_S6_PS5_21rocsparse_index_base_b
; %bb.0:
	s_clause 0x2
	s_load_b64 s[12:13], s[0:1], 0x40
	s_load_b64 s[4:5], s[0:1], 0x8
	;; [unrolled: 1-line block ×3, first 2 shown]
	s_waitcnt lgkmcnt(0)
	s_bitcmp1_b32 s13, 0
	v_mov_b32_e32 v7, s4
	s_cselect_b32 s6, -1, 0
	s_delay_alu instid0(SALU_CYCLE_1)
	s_and_b32 vcc_lo, exec_lo, s6
	s_xor_b32 s6, s6, -1
	s_cbranch_vccz .LBB74_15
; %bb.1:
	v_cndmask_b32_e64 v1, 0, 1, s6
	v_mov_b32_e32 v8, s5
	s_and_not1_b32 vcc_lo, exec_lo, s6
	s_cbranch_vccz .LBB74_16
.LBB74_2:
	s_delay_alu instid0(VALU_DEP_2)
	v_cmp_ne_u32_e32 vcc_lo, 1, v1
	v_mov_b32_e32 v9, s2
	s_cbranch_vccz .LBB74_17
.LBB74_3:
	v_cmp_ne_u32_e32 vcc_lo, 1, v1
	v_mov_b32_e32 v10, s3
	s_cbranch_vccnz .LBB74_5
.LBB74_4:
	v_dual_mov_b32 v1, s2 :: v_dual_mov_b32 v2, s3
	flat_load_b32 v10, v[1:2] offset:4
.LBB74_5:
	s_waitcnt vmcnt(0) lgkmcnt(0)
	v_cmp_eq_f32_e32 vcc_lo, 0, v7
	v_cmp_eq_f32_e64 s2, 0, v8
	s_delay_alu instid0(VALU_DEP_1)
	s_and_b32 s4, vcc_lo, s2
	s_mov_b32 s2, -1
	s_and_saveexec_b32 s3, s4
; %bb.6:
	v_cmp_neq_f32_e32 vcc_lo, 1.0, v9
	v_cmp_neq_f32_e64 s2, 0, v10
	s_delay_alu instid0(VALU_DEP_1) | instskip(NEXT) | instid1(SALU_CYCLE_1)
	s_or_b32 s2, vcc_lo, s2
	s_or_not1_b32 s2, s2, exec_lo
; %bb.7:
	s_or_b32 exec_lo, exec_lo, s3
	s_and_saveexec_b32 s3, s2
	s_cbranch_execz .LBB74_29
; %bb.8:
	s_load_b64 s[2:3], s[0:1], 0x0
	v_lshrrev_b32_e32 v1, 2, v0
	s_delay_alu instid0(VALU_DEP_1) | instskip(SKIP_1) | instid1(VALU_DEP_1)
	v_lshl_or_b32 v1, s15, 5, v1
	s_waitcnt lgkmcnt(0)
	v_cmp_gt_i32_e32 vcc_lo, s2, v1
	s_and_b32 exec_lo, exec_lo, vcc_lo
	s_cbranch_execz .LBB74_29
; %bb.9:
	s_load_b256 s[4:11], s[0:1], 0x10
	v_ashrrev_i32_e32 v2, 31, v1
	v_and_b32_e32 v0, 3, v0
	s_cmp_lg_u32 s3, 0
	s_delay_alu instid0(VALU_DEP_2) | instskip(SKIP_1) | instid1(VALU_DEP_1)
	v_lshlrev_b64 v[2:3], 2, v[1:2]
	s_waitcnt lgkmcnt(0)
	v_add_co_u32 v2, vcc_lo, s4, v2
	s_delay_alu instid0(VALU_DEP_2) | instskip(SKIP_4) | instid1(VALU_DEP_2)
	v_add_co_ci_u32_e32 v3, vcc_lo, s5, v3, vcc_lo
	global_load_b64 v[2:3], v[2:3], off
	s_waitcnt vmcnt(0)
	v_subrev_nc_u32_e32 v2, s12, v2
	v_subrev_nc_u32_e32 v17, s12, v3
	v_add_nc_u32_e32 v2, v2, v0
	s_delay_alu instid0(VALU_DEP_1)
	v_cmp_lt_i32_e64 s2, v2, v17
	s_cbranch_scc0 .LBB74_18
; %bb.10:
	v_dual_mov_b32 v11, 0 :: v_dual_mov_b32 v12, 0
	v_dual_mov_b32 v13, 0 :: v_dual_mov_b32 v14, 0
	;; [unrolled: 1-line block ×3, first 2 shown]
	s_mov_b32 s3, 0
	s_and_saveexec_b32 s4, s2
	s_cbranch_execz .LBB74_14
; %bb.11:
	v_dual_mov_b32 v4, 0 :: v_dual_mov_b32 v5, v2
	v_lshl_add_u32 v3, v2, 1, v2
	s_mov_b32 s5, 0
	s_delay_alu instid0(VALU_DEP_2)
	v_mov_b32_e32 v11, v4
	v_mov_b32_e32 v12, v4
	;; [unrolled: 1-line block ×6, first 2 shown]
.LBB74_12:                              ; =>This Inner Loop Header: Depth=1
	v_ashrrev_i32_e32 v6, 31, v5
	v_lshlrev_b64 v[22:23], 3, v[3:4]
	v_dual_mov_b32 v21, v4 :: v_dual_add_nc_u32 v20, 2, v3
	v_mov_b32_e32 v24, v4
	s_delay_alu instid0(VALU_DEP_4) | instskip(NEXT) | instid1(VALU_DEP_3)
	v_lshlrev_b64 v[18:19], 2, v[5:6]
	v_lshlrev_b64 v[20:21], 3, v[20:21]
	s_delay_alu instid0(VALU_DEP_2) | instskip(NEXT) | instid1(VALU_DEP_3)
	v_add_co_u32 v18, vcc_lo, s6, v18
	v_add_co_ci_u32_e32 v19, vcc_lo, s7, v19, vcc_lo
	v_add_co_u32 v22, vcc_lo, s8, v22
	v_add_co_ci_u32_e32 v23, vcc_lo, s9, v23, vcc_lo
	global_load_b32 v6, v[18:19], off
	v_dual_mov_b32 v19, v4 :: v_dual_add_nc_u32 v18, 1, v3
	v_add_nc_u32_e32 v3, 12, v3
	s_delay_alu instid0(VALU_DEP_2) | instskip(NEXT) | instid1(VALU_DEP_1)
	v_lshlrev_b64 v[18:19], 3, v[18:19]
	v_add_co_u32 v18, vcc_lo, s8, v18
	s_delay_alu instid0(VALU_DEP_2)
	v_add_co_ci_u32_e32 v19, vcc_lo, s9, v19, vcc_lo
	v_add_co_u32 v20, vcc_lo, s8, v20
	v_add_co_ci_u32_e32 v21, vcc_lo, s9, v21, vcc_lo
	s_clause 0x2
	global_load_b64 v[25:26], v[22:23], off
	global_load_b64 v[18:19], v[18:19], off
	;; [unrolled: 1-line block ×3, first 2 shown]
	s_waitcnt vmcnt(3)
	v_subrev_nc_u32_e32 v23, s12, v6
	s_delay_alu instid0(VALU_DEP_1) | instskip(NEXT) | instid1(VALU_DEP_1)
	v_lshlrev_b64 v[22:23], 3, v[23:24]
	v_add_co_u32 v22, vcc_lo, s10, v22
	s_delay_alu instid0(VALU_DEP_2)
	v_add_co_ci_u32_e32 v23, vcc_lo, s11, v23, vcc_lo
	global_load_b64 v[22:23], v[22:23], off
	s_waitcnt vmcnt(0)
	v_dual_fmac_f32 v12, v25, v22 :: v_dual_add_nc_u32 v5, 4, v5
	v_fmac_f32_e32 v14, v21, v22
	v_fmac_f32_e32 v11, v26, v22
	;; [unrolled: 1-line block ×3, first 2 shown]
	s_delay_alu instid0(VALU_DEP_4)
	v_cmp_ge_i32_e32 vcc_lo, v5, v17
	v_fma_f32 v12, -v26, v23, v12
	v_fmac_f32_e32 v14, v20, v23
	v_dual_fmac_f32 v16, v19, v22 :: v_dual_fmac_f32 v11, v25, v23
	v_fmac_f32_e32 v13, v20, v22
	v_fma_f32 v15, -v19, v23, v15
	s_or_b32 s5, vcc_lo, s5
	s_delay_alu instid0(VALU_DEP_3) | instskip(NEXT) | instid1(VALU_DEP_3)
	v_fmac_f32_e32 v16, v18, v23
	v_fma_f32 v13, -v21, v23, v13
	s_and_not1_b32 exec_lo, exec_lo, s5
	s_cbranch_execnz .LBB74_12
; %bb.13:
	s_or_b32 exec_lo, exec_lo, s5
.LBB74_14:
	s_delay_alu instid0(SALU_CYCLE_1) | instskip(NEXT) | instid1(SALU_CYCLE_1)
	s_or_b32 exec_lo, exec_lo, s4
	s_and_not1_b32 vcc_lo, exec_lo, s3
	s_cbranch_vccz .LBB74_19
	s_branch .LBB74_24
.LBB74_15:
	v_dual_mov_b32 v1, s4 :: v_dual_mov_b32 v2, s5
	flat_load_b32 v7, v[1:2]
	v_cndmask_b32_e64 v1, 0, 1, s6
	v_mov_b32_e32 v8, s5
	s_and_not1_b32 vcc_lo, exec_lo, s6
	s_cbranch_vccnz .LBB74_2
.LBB74_16:
	v_dual_mov_b32 v2, s4 :: v_dual_mov_b32 v3, s5
	flat_load_b32 v8, v[2:3] offset:4
	v_cmp_ne_u32_e32 vcc_lo, 1, v1
	v_mov_b32_e32 v9, s2
	s_cbranch_vccnz .LBB74_3
.LBB74_17:
	v_dual_mov_b32 v2, s2 :: v_dual_mov_b32 v3, s3
	flat_load_b32 v9, v[2:3]
	v_cmp_ne_u32_e32 vcc_lo, 1, v1
	v_mov_b32_e32 v10, s3
	s_cbranch_vccz .LBB74_4
	s_branch .LBB74_5
.LBB74_18:
                                        ; implicit-def: $vgpr11
                                        ; implicit-def: $vgpr12
                                        ; implicit-def: $vgpr13
                                        ; implicit-def: $vgpr14
                                        ; implicit-def: $vgpr15
                                        ; implicit-def: $vgpr16
.LBB74_19:
	v_dual_mov_b32 v11, 0 :: v_dual_mov_b32 v12, 0
	v_dual_mov_b32 v13, 0 :: v_dual_mov_b32 v14, 0
	;; [unrolled: 1-line block ×3, first 2 shown]
	s_and_saveexec_b32 s3, s2
	s_cbranch_execz .LBB74_23
; %bb.20:
	v_mov_b32_e32 v5, 0
	v_lshl_add_u32 v4, v2, 1, v2
	s_mov_b32 s2, 0
	s_delay_alu instid0(VALU_DEP_2)
	v_mov_b32_e32 v11, v5
	v_mov_b32_e32 v12, v5
	;; [unrolled: 1-line block ×6, first 2 shown]
.LBB74_21:                              ; =>This Inner Loop Header: Depth=1
	v_ashrrev_i32_e32 v3, 31, v2
	v_lshlrev_b64 v[22:23], 3, v[4:5]
	v_dual_mov_b32 v21, v5 :: v_dual_add_nc_u32 v20, 2, v4
	s_delay_alu instid0(VALU_DEP_3) | instskip(NEXT) | instid1(VALU_DEP_2)
	v_lshlrev_b64 v[18:19], 2, v[2:3]
	v_lshlrev_b64 v[20:21], 3, v[20:21]
	s_delay_alu instid0(VALU_DEP_2) | instskip(NEXT) | instid1(VALU_DEP_3)
	v_add_co_u32 v18, vcc_lo, s6, v18
	v_add_co_ci_u32_e32 v19, vcc_lo, s7, v19, vcc_lo
	v_add_co_u32 v22, vcc_lo, s8, v22
	v_add_co_ci_u32_e32 v23, vcc_lo, s9, v23, vcc_lo
	global_load_b32 v3, v[18:19], off
	v_dual_mov_b32 v19, v5 :: v_dual_add_nc_u32 v18, 1, v4
	s_delay_alu instid0(VALU_DEP_1) | instskip(NEXT) | instid1(VALU_DEP_1)
	v_lshlrev_b64 v[18:19], 3, v[18:19]
	v_add_co_u32 v18, vcc_lo, s8, v18
	s_delay_alu instid0(VALU_DEP_2)
	v_add_co_ci_u32_e32 v19, vcc_lo, s9, v19, vcc_lo
	v_add_co_u32 v20, vcc_lo, s8, v20
	v_add_co_ci_u32_e32 v21, vcc_lo, s9, v21, vcc_lo
	s_clause 0x2
	global_load_b64 v[25:26], v[22:23], off
	global_load_b64 v[18:19], v[18:19], off
	;; [unrolled: 1-line block ×3, first 2 shown]
	v_mov_b32_e32 v24, v5
	s_waitcnt vmcnt(3)
	v_subrev_nc_u32_e32 v23, s12, v3
	s_delay_alu instid0(VALU_DEP_1) | instskip(NEXT) | instid1(VALU_DEP_1)
	v_lshlrev_b64 v[22:23], 3, v[23:24]
	v_add_co_u32 v22, vcc_lo, s10, v22
	s_delay_alu instid0(VALU_DEP_2)
	v_add_co_ci_u32_e32 v23, vcc_lo, s11, v23, vcc_lo
	global_load_b64 v[22:23], v[22:23], off
	s_waitcnt vmcnt(0)
	v_dual_fmac_f32 v15, v18, v22 :: v_dual_add_nc_u32 v4, 12, v4
	v_fmac_f32_e32 v11, v26, v22
	v_add_nc_u32_e32 v2, 4, v2
	v_fmac_f32_e32 v12, v25, v22
	v_fmac_f32_e32 v16, v19, v22
	v_fmac_f32_e32 v13, v20, v22
	v_fmac_f32_e32 v14, v21, v22
	v_fmac_f32_e32 v11, v25, v23
	v_cmp_ge_i32_e32 vcc_lo, v2, v17
	v_fmac_f32_e32 v16, v18, v23
	v_fma_f32 v12, -v26, v23, v12
	v_fma_f32 v15, -v19, v23, v15
	v_fma_f32 v13, -v21, v23, v13
	v_fmac_f32_e32 v14, v20, v23
	s_or_b32 s2, vcc_lo, s2
	s_delay_alu instid0(SALU_CYCLE_1)
	s_and_not1_b32 exec_lo, exec_lo, s2
	s_cbranch_execnz .LBB74_21
; %bb.22:
	s_or_b32 exec_lo, exec_lo, s2
.LBB74_23:
	s_delay_alu instid0(SALU_CYCLE_1)
	s_or_b32 exec_lo, exec_lo, s3
.LBB74_24:
	v_mbcnt_lo_u32_b32 v2, -1, 0
	s_delay_alu instid0(VALU_DEP_1) | instskip(NEXT) | instid1(VALU_DEP_1)
	v_xor_b32_e32 v3, 2, v2
	v_cmp_gt_i32_e32 vcc_lo, 32, v3
	v_cndmask_b32_e32 v3, v2, v3, vcc_lo
	s_delay_alu instid0(VALU_DEP_1)
	v_lshlrev_b32_e32 v3, 2, v3
	ds_bpermute_b32 v4, v3, v12
	ds_bpermute_b32 v5, v3, v11
	;; [unrolled: 1-line block ×6, first 2 shown]
	v_xor_b32_e32 v3, 1, v2
	s_delay_alu instid0(VALU_DEP_1) | instskip(SKIP_3) | instid1(VALU_DEP_2)
	v_cmp_gt_i32_e32 vcc_lo, 32, v3
	v_cndmask_b32_e32 v2, v2, v3, vcc_lo
	v_cmp_eq_u32_e32 vcc_lo, 3, v0
	s_waitcnt lgkmcnt(4)
	v_dual_add_f32 v5, v11, v5 :: v_dual_lshlrev_b32 v20, 2, v2
	s_waitcnt lgkmcnt(3)
	v_dual_add_f32 v2, v12, v4 :: v_dual_add_f32 v11, v15, v6
	s_waitcnt lgkmcnt(1)
	v_dual_add_f32 v12, v16, v17 :: v_dual_add_f32 v3, v13, v18
	s_waitcnt lgkmcnt(0)
	v_add_f32_e32 v4, v14, v19
	ds_bpermute_b32 v6, v20, v2
	ds_bpermute_b32 v15, v20, v5
	;; [unrolled: 1-line block ×6, first 2 shown]
	s_and_b32 exec_lo, exec_lo, vcc_lo
	s_cbranch_execz .LBB74_29
; %bb.25:
	s_load_b64 s[2:3], s[0:1], 0x38
	v_cmp_eq_f32_e32 vcc_lo, 0, v9
	v_cmp_eq_f32_e64 s0, 0, v10
	s_waitcnt lgkmcnt(0)
	v_add_f32_e32 v0, v2, v6
	v_dual_add_f32 v6, v5, v15 :: v_dual_add_f32 v3, v3, v13
	v_dual_add_f32 v2, v11, v16 :: v_dual_add_f32 v5, v12, v17
	v_add_f32_e32 v4, v4, v14
	s_and_b32 s0, vcc_lo, s0
	s_delay_alu instid0(SALU_CYCLE_1) | instskip(NEXT) | instid1(SALU_CYCLE_1)
	s_and_saveexec_b32 s1, s0
	s_xor_b32 s0, exec_lo, s1
	s_cbranch_execz .LBB74_27
; %bb.26:
	v_lshl_add_u32 v13, v1, 1, v1
	v_mul_f32_e64 v9, v6, -v8
	v_mul_f32_e32 v10, v6, v7
	v_mul_f32_e64 v11, v5, -v8
	v_mul_f32_e32 v12, v5, v7
	v_ashrrev_i32_e32 v14, 31, v13
	v_mul_f32_e64 v5, v4, -v8
	s_delay_alu instid0(VALU_DEP_4) | instskip(SKIP_1) | instid1(VALU_DEP_4)
	v_dual_mul_f32 v6, v4, v7 :: v_dual_fmac_f32 v11, v7, v2
	v_fmac_f32_e32 v9, v7, v0
	v_lshlrev_b64 v[13:14], 3, v[13:14]
	s_delay_alu instid0(VALU_DEP_4) | instskip(SKIP_2) | instid1(VALU_DEP_4)
	v_dual_fmac_f32 v10, v8, v0 :: v_dual_fmac_f32 v5, v7, v3
	v_fmac_f32_e32 v12, v8, v2
	v_fmac_f32_e32 v6, v8, v3
                                        ; implicit-def: $vgpr7
                                        ; implicit-def: $vgpr8
                                        ; implicit-def: $vgpr2
                                        ; implicit-def: $vgpr3
                                        ; implicit-def: $vgpr4
	v_add_co_u32 v0, vcc_lo, s2, v13
	v_add_co_ci_u32_e32 v1, vcc_lo, s3, v14, vcc_lo
	s_clause 0x1
	global_store_b128 v[0:1], v[9:12], off
	global_store_b64 v[0:1], v[5:6], off offset:16
                                        ; implicit-def: $vgpr9
                                        ; implicit-def: $vgpr10
                                        ; implicit-def: $vgpr1
                                        ; implicit-def: $vgpr0
                                        ; implicit-def: $vgpr6
                                        ; implicit-def: $vgpr5
.LBB74_27:
	s_and_not1_saveexec_b32 s0, s0
	s_cbranch_execz .LBB74_29
; %bb.28:
	v_lshl_add_u32 v11, v1, 1, v1
	v_mul_f32_e64 v15, v6, -v8
	v_mul_f32_e32 v16, v6, v7
	v_mul_f32_e64 v6, v5, -v8
	v_mul_f32_e32 v1, v4, v7
	v_ashrrev_i32_e32 v12, 31, v11
	v_fmac_f32_e32 v15, v7, v0
	s_delay_alu instid0(VALU_DEP_4) | instskip(NEXT) | instid1(VALU_DEP_3)
	v_fmac_f32_e32 v6, v7, v2
	v_lshlrev_b64 v[11:12], 3, v[11:12]
	s_delay_alu instid0(VALU_DEP_1) | instskip(NEXT) | instid1(VALU_DEP_2)
	v_add_co_u32 v19, vcc_lo, s2, v11
	v_add_co_ci_u32_e32 v20, vcc_lo, s3, v12, vcc_lo
	s_clause 0x1
	global_load_b128 v[11:14], v[19:20], off
	global_load_b64 v[21:22], v[19:20], off offset:16
	s_waitcnt vmcnt(1)
	v_dual_fmac_f32 v1, v8, v3 :: v_dual_fmac_f32 v6, v9, v13
	s_waitcnt vmcnt(0)
	s_delay_alu instid0(VALU_DEP_1) | instskip(SKIP_2) | instid1(VALU_DEP_3)
	v_dual_mul_f32 v18, v5, v7 :: v_dual_fmac_f32 v1, v10, v21
	v_mul_f32_e64 v5, v4, -v8
	v_dual_fmac_f32 v16, v8, v0 :: v_dual_fmac_f32 v15, v9, v11
	v_fmac_f32_e32 v18, v8, v2
	v_fma_f32 v17, -v10, v14, v6
	s_delay_alu instid0(VALU_DEP_4) | instskip(NEXT) | instid1(VALU_DEP_4)
	v_fmac_f32_e32 v5, v7, v3
	v_fmac_f32_e32 v16, v10, v11
	v_fma_f32 v15, -v10, v12, v15
	v_dual_fmac_f32 v18, v10, v13 :: v_dual_fmac_f32 v1, v9, v22
	s_delay_alu instid0(VALU_DEP_4) | instskip(NEXT) | instid1(VALU_DEP_4)
	v_fmac_f32_e32 v5, v9, v21
	v_fmac_f32_e32 v16, v9, v12
	s_delay_alu instid0(VALU_DEP_3) | instskip(NEXT) | instid1(VALU_DEP_3)
	v_fmac_f32_e32 v18, v9, v14
	v_fma_f32 v0, -v10, v22, v5
	s_clause 0x1
	global_store_b128 v[19:20], v[15:18], off
	global_store_b64 v[19:20], v[0:1], off offset:16
.LBB74_29:
	s_nop 0
	s_sendmsg sendmsg(MSG_DEALLOC_VGPRS)
	s_endpgm
	.section	.rodata,"a",@progbits
	.p2align	6, 0x0
	.amdhsa_kernel _ZN9rocsparseL19gebsrmvn_3xn_kernelILj128ELj1ELj4E21rocsparse_complex_numIfEEEvi20rocsparse_direction_NS_24const_host_device_scalarIT2_EEPKiS8_PKS5_SA_S6_PS5_21rocsparse_index_base_b
		.amdhsa_group_segment_fixed_size 0
		.amdhsa_private_segment_fixed_size 0
		.amdhsa_kernarg_size 72
		.amdhsa_user_sgpr_count 15
		.amdhsa_user_sgpr_dispatch_ptr 0
		.amdhsa_user_sgpr_queue_ptr 0
		.amdhsa_user_sgpr_kernarg_segment_ptr 1
		.amdhsa_user_sgpr_dispatch_id 0
		.amdhsa_user_sgpr_private_segment_size 0
		.amdhsa_wavefront_size32 1
		.amdhsa_uses_dynamic_stack 0
		.amdhsa_enable_private_segment 0
		.amdhsa_system_sgpr_workgroup_id_x 1
		.amdhsa_system_sgpr_workgroup_id_y 0
		.amdhsa_system_sgpr_workgroup_id_z 0
		.amdhsa_system_sgpr_workgroup_info 0
		.amdhsa_system_vgpr_workitem_id 0
		.amdhsa_next_free_vgpr 27
		.amdhsa_next_free_sgpr 16
		.amdhsa_reserve_vcc 1
		.amdhsa_float_round_mode_32 0
		.amdhsa_float_round_mode_16_64 0
		.amdhsa_float_denorm_mode_32 3
		.amdhsa_float_denorm_mode_16_64 3
		.amdhsa_dx10_clamp 1
		.amdhsa_ieee_mode 1
		.amdhsa_fp16_overflow 0
		.amdhsa_workgroup_processor_mode 1
		.amdhsa_memory_ordered 1
		.amdhsa_forward_progress 0
		.amdhsa_shared_vgpr_count 0
		.amdhsa_exception_fp_ieee_invalid_op 0
		.amdhsa_exception_fp_denorm_src 0
		.amdhsa_exception_fp_ieee_div_zero 0
		.amdhsa_exception_fp_ieee_overflow 0
		.amdhsa_exception_fp_ieee_underflow 0
		.amdhsa_exception_fp_ieee_inexact 0
		.amdhsa_exception_int_div_zero 0
	.end_amdhsa_kernel
	.section	.text._ZN9rocsparseL19gebsrmvn_3xn_kernelILj128ELj1ELj4E21rocsparse_complex_numIfEEEvi20rocsparse_direction_NS_24const_host_device_scalarIT2_EEPKiS8_PKS5_SA_S6_PS5_21rocsparse_index_base_b,"axG",@progbits,_ZN9rocsparseL19gebsrmvn_3xn_kernelILj128ELj1ELj4E21rocsparse_complex_numIfEEEvi20rocsparse_direction_NS_24const_host_device_scalarIT2_EEPKiS8_PKS5_SA_S6_PS5_21rocsparse_index_base_b,comdat
.Lfunc_end74:
	.size	_ZN9rocsparseL19gebsrmvn_3xn_kernelILj128ELj1ELj4E21rocsparse_complex_numIfEEEvi20rocsparse_direction_NS_24const_host_device_scalarIT2_EEPKiS8_PKS5_SA_S6_PS5_21rocsparse_index_base_b, .Lfunc_end74-_ZN9rocsparseL19gebsrmvn_3xn_kernelILj128ELj1ELj4E21rocsparse_complex_numIfEEEvi20rocsparse_direction_NS_24const_host_device_scalarIT2_EEPKiS8_PKS5_SA_S6_PS5_21rocsparse_index_base_b
                                        ; -- End function
	.section	.AMDGPU.csdata,"",@progbits
; Kernel info:
; codeLenInByte = 1836
; NumSgprs: 18
; NumVgprs: 27
; ScratchSize: 0
; MemoryBound: 0
; FloatMode: 240
; IeeeMode: 1
; LDSByteSize: 0 bytes/workgroup (compile time only)
; SGPRBlocks: 2
; VGPRBlocks: 3
; NumSGPRsForWavesPerEU: 18
; NumVGPRsForWavesPerEU: 27
; Occupancy: 16
; WaveLimiterHint : 1
; COMPUTE_PGM_RSRC2:SCRATCH_EN: 0
; COMPUTE_PGM_RSRC2:USER_SGPR: 15
; COMPUTE_PGM_RSRC2:TRAP_HANDLER: 0
; COMPUTE_PGM_RSRC2:TGID_X_EN: 1
; COMPUTE_PGM_RSRC2:TGID_Y_EN: 0
; COMPUTE_PGM_RSRC2:TGID_Z_EN: 0
; COMPUTE_PGM_RSRC2:TIDIG_COMP_CNT: 0
	.section	.text._ZN9rocsparseL19gebsrmvn_3xn_kernelILj128ELj1ELj8E21rocsparse_complex_numIfEEEvi20rocsparse_direction_NS_24const_host_device_scalarIT2_EEPKiS8_PKS5_SA_S6_PS5_21rocsparse_index_base_b,"axG",@progbits,_ZN9rocsparseL19gebsrmvn_3xn_kernelILj128ELj1ELj8E21rocsparse_complex_numIfEEEvi20rocsparse_direction_NS_24const_host_device_scalarIT2_EEPKiS8_PKS5_SA_S6_PS5_21rocsparse_index_base_b,comdat
	.globl	_ZN9rocsparseL19gebsrmvn_3xn_kernelILj128ELj1ELj8E21rocsparse_complex_numIfEEEvi20rocsparse_direction_NS_24const_host_device_scalarIT2_EEPKiS8_PKS5_SA_S6_PS5_21rocsparse_index_base_b ; -- Begin function _ZN9rocsparseL19gebsrmvn_3xn_kernelILj128ELj1ELj8E21rocsparse_complex_numIfEEEvi20rocsparse_direction_NS_24const_host_device_scalarIT2_EEPKiS8_PKS5_SA_S6_PS5_21rocsparse_index_base_b
	.p2align	8
	.type	_ZN9rocsparseL19gebsrmvn_3xn_kernelILj128ELj1ELj8E21rocsparse_complex_numIfEEEvi20rocsparse_direction_NS_24const_host_device_scalarIT2_EEPKiS8_PKS5_SA_S6_PS5_21rocsparse_index_base_b,@function
_ZN9rocsparseL19gebsrmvn_3xn_kernelILj128ELj1ELj8E21rocsparse_complex_numIfEEEvi20rocsparse_direction_NS_24const_host_device_scalarIT2_EEPKiS8_PKS5_SA_S6_PS5_21rocsparse_index_base_b: ; @_ZN9rocsparseL19gebsrmvn_3xn_kernelILj128ELj1ELj8E21rocsparse_complex_numIfEEEvi20rocsparse_direction_NS_24const_host_device_scalarIT2_EEPKiS8_PKS5_SA_S6_PS5_21rocsparse_index_base_b
; %bb.0:
	s_clause 0x2
	s_load_b64 s[12:13], s[0:1], 0x40
	s_load_b64 s[4:5], s[0:1], 0x8
	;; [unrolled: 1-line block ×3, first 2 shown]
	s_waitcnt lgkmcnt(0)
	s_bitcmp1_b32 s13, 0
	v_mov_b32_e32 v7, s4
	s_cselect_b32 s6, -1, 0
	s_delay_alu instid0(SALU_CYCLE_1)
	s_and_b32 vcc_lo, exec_lo, s6
	s_xor_b32 s6, s6, -1
	s_cbranch_vccz .LBB75_15
; %bb.1:
	v_cndmask_b32_e64 v1, 0, 1, s6
	v_mov_b32_e32 v8, s5
	s_and_not1_b32 vcc_lo, exec_lo, s6
	s_cbranch_vccz .LBB75_16
.LBB75_2:
	s_delay_alu instid0(VALU_DEP_2)
	v_cmp_ne_u32_e32 vcc_lo, 1, v1
	v_mov_b32_e32 v9, s2
	s_cbranch_vccz .LBB75_17
.LBB75_3:
	v_cmp_ne_u32_e32 vcc_lo, 1, v1
	v_mov_b32_e32 v10, s3
	s_cbranch_vccnz .LBB75_5
.LBB75_4:
	v_dual_mov_b32 v1, s2 :: v_dual_mov_b32 v2, s3
	flat_load_b32 v10, v[1:2] offset:4
.LBB75_5:
	s_waitcnt vmcnt(0) lgkmcnt(0)
	v_cmp_eq_f32_e32 vcc_lo, 0, v7
	v_cmp_eq_f32_e64 s2, 0, v8
	s_delay_alu instid0(VALU_DEP_1)
	s_and_b32 s4, vcc_lo, s2
	s_mov_b32 s2, -1
	s_and_saveexec_b32 s3, s4
; %bb.6:
	v_cmp_neq_f32_e32 vcc_lo, 1.0, v9
	v_cmp_neq_f32_e64 s2, 0, v10
	s_delay_alu instid0(VALU_DEP_1) | instskip(NEXT) | instid1(SALU_CYCLE_1)
	s_or_b32 s2, vcc_lo, s2
	s_or_not1_b32 s2, s2, exec_lo
; %bb.7:
	s_or_b32 exec_lo, exec_lo, s3
	s_and_saveexec_b32 s3, s2
	s_cbranch_execz .LBB75_29
; %bb.8:
	s_load_b64 s[2:3], s[0:1], 0x0
	v_lshrrev_b32_e32 v1, 3, v0
	s_delay_alu instid0(VALU_DEP_1) | instskip(SKIP_1) | instid1(VALU_DEP_1)
	v_lshl_or_b32 v1, s15, 4, v1
	s_waitcnt lgkmcnt(0)
	v_cmp_gt_i32_e32 vcc_lo, s2, v1
	s_and_b32 exec_lo, exec_lo, vcc_lo
	s_cbranch_execz .LBB75_29
; %bb.9:
	s_load_b256 s[4:11], s[0:1], 0x10
	v_ashrrev_i32_e32 v2, 31, v1
	v_and_b32_e32 v0, 7, v0
	s_cmp_lg_u32 s3, 0
	s_delay_alu instid0(VALU_DEP_2) | instskip(SKIP_1) | instid1(VALU_DEP_1)
	v_lshlrev_b64 v[2:3], 2, v[1:2]
	s_waitcnt lgkmcnt(0)
	v_add_co_u32 v2, vcc_lo, s4, v2
	s_delay_alu instid0(VALU_DEP_2) | instskip(SKIP_4) | instid1(VALU_DEP_2)
	v_add_co_ci_u32_e32 v3, vcc_lo, s5, v3, vcc_lo
	global_load_b64 v[2:3], v[2:3], off
	s_waitcnt vmcnt(0)
	v_subrev_nc_u32_e32 v2, s12, v2
	v_subrev_nc_u32_e32 v17, s12, v3
	v_add_nc_u32_e32 v2, v2, v0
	s_delay_alu instid0(VALU_DEP_1)
	v_cmp_lt_i32_e64 s2, v2, v17
	s_cbranch_scc0 .LBB75_18
; %bb.10:
	v_dual_mov_b32 v11, 0 :: v_dual_mov_b32 v12, 0
	v_dual_mov_b32 v13, 0 :: v_dual_mov_b32 v14, 0
	;; [unrolled: 1-line block ×3, first 2 shown]
	s_mov_b32 s3, 0
	s_and_saveexec_b32 s4, s2
	s_cbranch_execz .LBB75_14
; %bb.11:
	v_dual_mov_b32 v4, 0 :: v_dual_mov_b32 v5, v2
	v_lshl_add_u32 v3, v2, 1, v2
	s_mov_b32 s5, 0
	s_delay_alu instid0(VALU_DEP_2)
	v_mov_b32_e32 v11, v4
	v_mov_b32_e32 v12, v4
	;; [unrolled: 1-line block ×6, first 2 shown]
.LBB75_12:                              ; =>This Inner Loop Header: Depth=1
	v_ashrrev_i32_e32 v6, 31, v5
	v_lshlrev_b64 v[22:23], 3, v[3:4]
	v_dual_mov_b32 v21, v4 :: v_dual_add_nc_u32 v20, 2, v3
	v_mov_b32_e32 v24, v4
	s_delay_alu instid0(VALU_DEP_4) | instskip(NEXT) | instid1(VALU_DEP_3)
	v_lshlrev_b64 v[18:19], 2, v[5:6]
	v_lshlrev_b64 v[20:21], 3, v[20:21]
	s_delay_alu instid0(VALU_DEP_2) | instskip(NEXT) | instid1(VALU_DEP_3)
	v_add_co_u32 v18, vcc_lo, s6, v18
	v_add_co_ci_u32_e32 v19, vcc_lo, s7, v19, vcc_lo
	v_add_co_u32 v22, vcc_lo, s8, v22
	v_add_co_ci_u32_e32 v23, vcc_lo, s9, v23, vcc_lo
	global_load_b32 v6, v[18:19], off
	v_dual_mov_b32 v19, v4 :: v_dual_add_nc_u32 v18, 1, v3
	v_add_nc_u32_e32 v3, 24, v3
	s_delay_alu instid0(VALU_DEP_2) | instskip(NEXT) | instid1(VALU_DEP_1)
	v_lshlrev_b64 v[18:19], 3, v[18:19]
	v_add_co_u32 v18, vcc_lo, s8, v18
	s_delay_alu instid0(VALU_DEP_2)
	v_add_co_ci_u32_e32 v19, vcc_lo, s9, v19, vcc_lo
	v_add_co_u32 v20, vcc_lo, s8, v20
	v_add_co_ci_u32_e32 v21, vcc_lo, s9, v21, vcc_lo
	s_clause 0x2
	global_load_b64 v[25:26], v[22:23], off
	global_load_b64 v[18:19], v[18:19], off
	;; [unrolled: 1-line block ×3, first 2 shown]
	s_waitcnt vmcnt(3)
	v_subrev_nc_u32_e32 v23, s12, v6
	s_delay_alu instid0(VALU_DEP_1) | instskip(NEXT) | instid1(VALU_DEP_1)
	v_lshlrev_b64 v[22:23], 3, v[23:24]
	v_add_co_u32 v22, vcc_lo, s10, v22
	s_delay_alu instid0(VALU_DEP_2)
	v_add_co_ci_u32_e32 v23, vcc_lo, s11, v23, vcc_lo
	global_load_b64 v[22:23], v[22:23], off
	s_waitcnt vmcnt(0)
	v_dual_fmac_f32 v12, v25, v22 :: v_dual_add_nc_u32 v5, 8, v5
	v_fmac_f32_e32 v14, v21, v22
	v_fmac_f32_e32 v11, v26, v22
	;; [unrolled: 1-line block ×3, first 2 shown]
	s_delay_alu instid0(VALU_DEP_4)
	v_cmp_ge_i32_e32 vcc_lo, v5, v17
	v_fma_f32 v12, -v26, v23, v12
	v_fmac_f32_e32 v14, v20, v23
	v_dual_fmac_f32 v16, v19, v22 :: v_dual_fmac_f32 v11, v25, v23
	v_fmac_f32_e32 v13, v20, v22
	v_fma_f32 v15, -v19, v23, v15
	s_or_b32 s5, vcc_lo, s5
	s_delay_alu instid0(VALU_DEP_3) | instskip(NEXT) | instid1(VALU_DEP_3)
	v_fmac_f32_e32 v16, v18, v23
	v_fma_f32 v13, -v21, v23, v13
	s_and_not1_b32 exec_lo, exec_lo, s5
	s_cbranch_execnz .LBB75_12
; %bb.13:
	s_or_b32 exec_lo, exec_lo, s5
.LBB75_14:
	s_delay_alu instid0(SALU_CYCLE_1) | instskip(NEXT) | instid1(SALU_CYCLE_1)
	s_or_b32 exec_lo, exec_lo, s4
	s_and_not1_b32 vcc_lo, exec_lo, s3
	s_cbranch_vccz .LBB75_19
	s_branch .LBB75_24
.LBB75_15:
	v_dual_mov_b32 v1, s4 :: v_dual_mov_b32 v2, s5
	flat_load_b32 v7, v[1:2]
	v_cndmask_b32_e64 v1, 0, 1, s6
	v_mov_b32_e32 v8, s5
	s_and_not1_b32 vcc_lo, exec_lo, s6
	s_cbranch_vccnz .LBB75_2
.LBB75_16:
	v_dual_mov_b32 v2, s4 :: v_dual_mov_b32 v3, s5
	flat_load_b32 v8, v[2:3] offset:4
	v_cmp_ne_u32_e32 vcc_lo, 1, v1
	v_mov_b32_e32 v9, s2
	s_cbranch_vccnz .LBB75_3
.LBB75_17:
	v_dual_mov_b32 v2, s2 :: v_dual_mov_b32 v3, s3
	flat_load_b32 v9, v[2:3]
	v_cmp_ne_u32_e32 vcc_lo, 1, v1
	v_mov_b32_e32 v10, s3
	s_cbranch_vccz .LBB75_4
	s_branch .LBB75_5
.LBB75_18:
                                        ; implicit-def: $vgpr11
                                        ; implicit-def: $vgpr12
                                        ; implicit-def: $vgpr13
                                        ; implicit-def: $vgpr14
                                        ; implicit-def: $vgpr15
                                        ; implicit-def: $vgpr16
.LBB75_19:
	v_dual_mov_b32 v11, 0 :: v_dual_mov_b32 v12, 0
	v_dual_mov_b32 v13, 0 :: v_dual_mov_b32 v14, 0
	;; [unrolled: 1-line block ×3, first 2 shown]
	s_and_saveexec_b32 s3, s2
	s_cbranch_execz .LBB75_23
; %bb.20:
	v_mov_b32_e32 v5, 0
	v_lshl_add_u32 v4, v2, 1, v2
	s_mov_b32 s2, 0
	s_delay_alu instid0(VALU_DEP_2)
	v_mov_b32_e32 v11, v5
	v_mov_b32_e32 v12, v5
	;; [unrolled: 1-line block ×6, first 2 shown]
.LBB75_21:                              ; =>This Inner Loop Header: Depth=1
	v_ashrrev_i32_e32 v3, 31, v2
	v_lshlrev_b64 v[22:23], 3, v[4:5]
	v_dual_mov_b32 v21, v5 :: v_dual_add_nc_u32 v20, 2, v4
	s_delay_alu instid0(VALU_DEP_3) | instskip(NEXT) | instid1(VALU_DEP_2)
	v_lshlrev_b64 v[18:19], 2, v[2:3]
	v_lshlrev_b64 v[20:21], 3, v[20:21]
	s_delay_alu instid0(VALU_DEP_2) | instskip(NEXT) | instid1(VALU_DEP_3)
	v_add_co_u32 v18, vcc_lo, s6, v18
	v_add_co_ci_u32_e32 v19, vcc_lo, s7, v19, vcc_lo
	v_add_co_u32 v22, vcc_lo, s8, v22
	v_add_co_ci_u32_e32 v23, vcc_lo, s9, v23, vcc_lo
	global_load_b32 v3, v[18:19], off
	v_dual_mov_b32 v19, v5 :: v_dual_add_nc_u32 v18, 1, v4
	s_delay_alu instid0(VALU_DEP_1) | instskip(NEXT) | instid1(VALU_DEP_1)
	v_lshlrev_b64 v[18:19], 3, v[18:19]
	v_add_co_u32 v18, vcc_lo, s8, v18
	s_delay_alu instid0(VALU_DEP_2)
	v_add_co_ci_u32_e32 v19, vcc_lo, s9, v19, vcc_lo
	v_add_co_u32 v20, vcc_lo, s8, v20
	v_add_co_ci_u32_e32 v21, vcc_lo, s9, v21, vcc_lo
	s_clause 0x2
	global_load_b64 v[25:26], v[22:23], off
	global_load_b64 v[18:19], v[18:19], off
	;; [unrolled: 1-line block ×3, first 2 shown]
	v_mov_b32_e32 v24, v5
	s_waitcnt vmcnt(3)
	v_subrev_nc_u32_e32 v23, s12, v3
	s_delay_alu instid0(VALU_DEP_1) | instskip(NEXT) | instid1(VALU_DEP_1)
	v_lshlrev_b64 v[22:23], 3, v[23:24]
	v_add_co_u32 v22, vcc_lo, s10, v22
	s_delay_alu instid0(VALU_DEP_2)
	v_add_co_ci_u32_e32 v23, vcc_lo, s11, v23, vcc_lo
	global_load_b64 v[22:23], v[22:23], off
	s_waitcnt vmcnt(0)
	v_dual_fmac_f32 v15, v18, v22 :: v_dual_add_nc_u32 v4, 24, v4
	v_fmac_f32_e32 v11, v26, v22
	v_add_nc_u32_e32 v2, 8, v2
	v_fmac_f32_e32 v12, v25, v22
	v_fmac_f32_e32 v16, v19, v22
	;; [unrolled: 1-line block ×5, first 2 shown]
	v_cmp_ge_i32_e32 vcc_lo, v2, v17
	v_fmac_f32_e32 v16, v18, v23
	v_fma_f32 v12, -v26, v23, v12
	v_fma_f32 v15, -v19, v23, v15
	;; [unrolled: 1-line block ×3, first 2 shown]
	v_fmac_f32_e32 v14, v20, v23
	s_or_b32 s2, vcc_lo, s2
	s_delay_alu instid0(SALU_CYCLE_1)
	s_and_not1_b32 exec_lo, exec_lo, s2
	s_cbranch_execnz .LBB75_21
; %bb.22:
	s_or_b32 exec_lo, exec_lo, s2
.LBB75_23:
	s_delay_alu instid0(SALU_CYCLE_1)
	s_or_b32 exec_lo, exec_lo, s3
.LBB75_24:
	v_mbcnt_lo_u32_b32 v2, -1, 0
	s_delay_alu instid0(VALU_DEP_1) | instskip(SKIP_1) | instid1(VALU_DEP_2)
	v_xor_b32_e32 v3, 4, v2
	v_xor_b32_e32 v19, 2, v2
	v_cmp_gt_i32_e32 vcc_lo, 32, v3
	v_cndmask_b32_e32 v3, v2, v3, vcc_lo
	s_delay_alu instid0(VALU_DEP_3) | instskip(NEXT) | instid1(VALU_DEP_2)
	v_cmp_gt_i32_e32 vcc_lo, 32, v19
	v_lshlrev_b32_e32 v3, 2, v3
	ds_bpermute_b32 v6, v3, v15
	s_waitcnt lgkmcnt(0)
	v_add_f32_e32 v6, v15, v6
	ds_bpermute_b32 v4, v3, v12
	ds_bpermute_b32 v17, v3, v16
	v_cndmask_b32_e32 v19, v2, v19, vcc_lo
	ds_bpermute_b32 v5, v3, v11
	ds_bpermute_b32 v18, v3, v13
	;; [unrolled: 1-line block ×3, first 2 shown]
	s_waitcnt lgkmcnt(4)
	v_add_f32_e32 v4, v12, v4
	s_waitcnt lgkmcnt(3)
	v_dual_add_f32 v12, v16, v17 :: v_dual_lshlrev_b32 v19, 2, v19
	s_waitcnt lgkmcnt(2)
	v_add_f32_e32 v5, v11, v5
	s_waitcnt lgkmcnt(0)
	v_dual_add_f32 v13, v13, v18 :: v_dual_add_f32 v14, v14, v3
	ds_bpermute_b32 v16, v19, v12
	s_waitcnt lgkmcnt(0)
	v_add_f32_e32 v12, v12, v16
	ds_bpermute_b32 v3, v19, v4
	ds_bpermute_b32 v11, v19, v5
	;; [unrolled: 1-line block ×5, first 2 shown]
	v_xor_b32_e32 v19, 1, v2
	s_delay_alu instid0(VALU_DEP_1) | instskip(SKIP_3) | instid1(VALU_DEP_2)
	v_cmp_gt_i32_e32 vcc_lo, 32, v19
	v_cndmask_b32_e32 v2, v2, v19, vcc_lo
	v_cmp_eq_u32_e32 vcc_lo, 7, v0
	s_waitcnt lgkmcnt(4)
	v_dual_add_f32 v2, v4, v3 :: v_dual_lshlrev_b32 v19, 2, v2
	s_waitcnt lgkmcnt(3)
	v_add_f32_e32 v5, v5, v11
	s_waitcnt lgkmcnt(2)
	v_add_f32_e32 v11, v6, v15
	s_waitcnt lgkmcnt(0)
	v_dual_add_f32 v4, v14, v18 :: v_dual_add_f32 v3, v13, v17
	ds_bpermute_b32 v6, v19, v2
	ds_bpermute_b32 v15, v19, v5
	;; [unrolled: 1-line block ×6, first 2 shown]
	s_and_b32 exec_lo, exec_lo, vcc_lo
	s_cbranch_execz .LBB75_29
; %bb.25:
	s_load_b64 s[2:3], s[0:1], 0x38
	v_cmp_eq_f32_e32 vcc_lo, 0, v9
	v_cmp_eq_f32_e64 s0, 0, v10
	s_waitcnt lgkmcnt(0)
	v_add_f32_e32 v0, v2, v6
	v_dual_add_f32 v6, v5, v15 :: v_dual_add_f32 v3, v3, v13
	v_dual_add_f32 v2, v11, v16 :: v_dual_add_f32 v5, v12, v17
	v_add_f32_e32 v4, v4, v14
	s_and_b32 s0, vcc_lo, s0
	s_delay_alu instid0(SALU_CYCLE_1) | instskip(NEXT) | instid1(SALU_CYCLE_1)
	s_and_saveexec_b32 s1, s0
	s_xor_b32 s0, exec_lo, s1
	s_cbranch_execz .LBB75_27
; %bb.26:
	v_lshl_add_u32 v13, v1, 1, v1
	v_mul_f32_e64 v9, v6, -v8
	v_mul_f32_e32 v10, v6, v7
	v_mul_f32_e64 v11, v5, -v8
	v_mul_f32_e32 v12, v5, v7
	v_ashrrev_i32_e32 v14, 31, v13
	v_mul_f32_e64 v5, v4, -v8
	s_delay_alu instid0(VALU_DEP_4) | instskip(SKIP_1) | instid1(VALU_DEP_4)
	v_dual_mul_f32 v6, v4, v7 :: v_dual_fmac_f32 v11, v7, v2
	v_fmac_f32_e32 v9, v7, v0
	v_lshlrev_b64 v[13:14], 3, v[13:14]
	s_delay_alu instid0(VALU_DEP_4) | instskip(SKIP_2) | instid1(VALU_DEP_4)
	v_dual_fmac_f32 v10, v8, v0 :: v_dual_fmac_f32 v5, v7, v3
	v_fmac_f32_e32 v12, v8, v2
	v_fmac_f32_e32 v6, v8, v3
                                        ; implicit-def: $vgpr7
                                        ; implicit-def: $vgpr8
                                        ; implicit-def: $vgpr2
                                        ; implicit-def: $vgpr3
                                        ; implicit-def: $vgpr4
	v_add_co_u32 v0, vcc_lo, s2, v13
	v_add_co_ci_u32_e32 v1, vcc_lo, s3, v14, vcc_lo
	s_clause 0x1
	global_store_b128 v[0:1], v[9:12], off
	global_store_b64 v[0:1], v[5:6], off offset:16
                                        ; implicit-def: $vgpr9
                                        ; implicit-def: $vgpr10
                                        ; implicit-def: $vgpr1
                                        ; implicit-def: $vgpr0
                                        ; implicit-def: $vgpr6
                                        ; implicit-def: $vgpr5
.LBB75_27:
	s_and_not1_saveexec_b32 s0, s0
	s_cbranch_execz .LBB75_29
; %bb.28:
	v_lshl_add_u32 v11, v1, 1, v1
	v_mul_f32_e64 v15, v6, -v8
	v_mul_f32_e32 v16, v6, v7
	v_mul_f32_e64 v6, v5, -v8
	v_mul_f32_e32 v1, v4, v7
	v_ashrrev_i32_e32 v12, 31, v11
	v_fmac_f32_e32 v15, v7, v0
	s_delay_alu instid0(VALU_DEP_4) | instskip(NEXT) | instid1(VALU_DEP_3)
	v_fmac_f32_e32 v6, v7, v2
	v_lshlrev_b64 v[11:12], 3, v[11:12]
	s_delay_alu instid0(VALU_DEP_1) | instskip(NEXT) | instid1(VALU_DEP_2)
	v_add_co_u32 v19, vcc_lo, s2, v11
	v_add_co_ci_u32_e32 v20, vcc_lo, s3, v12, vcc_lo
	s_clause 0x1
	global_load_b128 v[11:14], v[19:20], off
	global_load_b64 v[21:22], v[19:20], off offset:16
	s_waitcnt vmcnt(1)
	v_dual_fmac_f32 v1, v8, v3 :: v_dual_fmac_f32 v6, v9, v13
	s_waitcnt vmcnt(0)
	s_delay_alu instid0(VALU_DEP_1) | instskip(SKIP_2) | instid1(VALU_DEP_3)
	v_dual_mul_f32 v18, v5, v7 :: v_dual_fmac_f32 v1, v10, v21
	v_mul_f32_e64 v5, v4, -v8
	v_dual_fmac_f32 v16, v8, v0 :: v_dual_fmac_f32 v15, v9, v11
	v_fmac_f32_e32 v18, v8, v2
	v_fma_f32 v17, -v10, v14, v6
	s_delay_alu instid0(VALU_DEP_4) | instskip(NEXT) | instid1(VALU_DEP_4)
	v_fmac_f32_e32 v5, v7, v3
	v_fmac_f32_e32 v16, v10, v11
	v_fma_f32 v15, -v10, v12, v15
	v_dual_fmac_f32 v18, v10, v13 :: v_dual_fmac_f32 v1, v9, v22
	s_delay_alu instid0(VALU_DEP_4) | instskip(NEXT) | instid1(VALU_DEP_4)
	v_fmac_f32_e32 v5, v9, v21
	v_fmac_f32_e32 v16, v9, v12
	s_delay_alu instid0(VALU_DEP_3) | instskip(NEXT) | instid1(VALU_DEP_3)
	v_fmac_f32_e32 v18, v9, v14
	v_fma_f32 v0, -v10, v22, v5
	s_clause 0x1
	global_store_b128 v[19:20], v[15:18], off
	global_store_b64 v[19:20], v[0:1], off offset:16
.LBB75_29:
	s_nop 0
	s_sendmsg sendmsg(MSG_DEALLOC_VGPRS)
	s_endpgm
	.section	.rodata,"a",@progbits
	.p2align	6, 0x0
	.amdhsa_kernel _ZN9rocsparseL19gebsrmvn_3xn_kernelILj128ELj1ELj8E21rocsparse_complex_numIfEEEvi20rocsparse_direction_NS_24const_host_device_scalarIT2_EEPKiS8_PKS5_SA_S6_PS5_21rocsparse_index_base_b
		.amdhsa_group_segment_fixed_size 0
		.amdhsa_private_segment_fixed_size 0
		.amdhsa_kernarg_size 72
		.amdhsa_user_sgpr_count 15
		.amdhsa_user_sgpr_dispatch_ptr 0
		.amdhsa_user_sgpr_queue_ptr 0
		.amdhsa_user_sgpr_kernarg_segment_ptr 1
		.amdhsa_user_sgpr_dispatch_id 0
		.amdhsa_user_sgpr_private_segment_size 0
		.amdhsa_wavefront_size32 1
		.amdhsa_uses_dynamic_stack 0
		.amdhsa_enable_private_segment 0
		.amdhsa_system_sgpr_workgroup_id_x 1
		.amdhsa_system_sgpr_workgroup_id_y 0
		.amdhsa_system_sgpr_workgroup_id_z 0
		.amdhsa_system_sgpr_workgroup_info 0
		.amdhsa_system_vgpr_workitem_id 0
		.amdhsa_next_free_vgpr 27
		.amdhsa_next_free_sgpr 16
		.amdhsa_reserve_vcc 1
		.amdhsa_float_round_mode_32 0
		.amdhsa_float_round_mode_16_64 0
		.amdhsa_float_denorm_mode_32 3
		.amdhsa_float_denorm_mode_16_64 3
		.amdhsa_dx10_clamp 1
		.amdhsa_ieee_mode 1
		.amdhsa_fp16_overflow 0
		.amdhsa_workgroup_processor_mode 1
		.amdhsa_memory_ordered 1
		.amdhsa_forward_progress 0
		.amdhsa_shared_vgpr_count 0
		.amdhsa_exception_fp_ieee_invalid_op 0
		.amdhsa_exception_fp_denorm_src 0
		.amdhsa_exception_fp_ieee_div_zero 0
		.amdhsa_exception_fp_ieee_overflow 0
		.amdhsa_exception_fp_ieee_underflow 0
		.amdhsa_exception_fp_ieee_inexact 0
		.amdhsa_exception_int_div_zero 0
	.end_amdhsa_kernel
	.section	.text._ZN9rocsparseL19gebsrmvn_3xn_kernelILj128ELj1ELj8E21rocsparse_complex_numIfEEEvi20rocsparse_direction_NS_24const_host_device_scalarIT2_EEPKiS8_PKS5_SA_S6_PS5_21rocsparse_index_base_b,"axG",@progbits,_ZN9rocsparseL19gebsrmvn_3xn_kernelILj128ELj1ELj8E21rocsparse_complex_numIfEEEvi20rocsparse_direction_NS_24const_host_device_scalarIT2_EEPKiS8_PKS5_SA_S6_PS5_21rocsparse_index_base_b,comdat
.Lfunc_end75:
	.size	_ZN9rocsparseL19gebsrmvn_3xn_kernelILj128ELj1ELj8E21rocsparse_complex_numIfEEEvi20rocsparse_direction_NS_24const_host_device_scalarIT2_EEPKiS8_PKS5_SA_S6_PS5_21rocsparse_index_base_b, .Lfunc_end75-_ZN9rocsparseL19gebsrmvn_3xn_kernelILj128ELj1ELj8E21rocsparse_complex_numIfEEEvi20rocsparse_direction_NS_24const_host_device_scalarIT2_EEPKiS8_PKS5_SA_S6_PS5_21rocsparse_index_base_b
                                        ; -- End function
	.section	.AMDGPU.csdata,"",@progbits
; Kernel info:
; codeLenInByte = 1948
; NumSgprs: 18
; NumVgprs: 27
; ScratchSize: 0
; MemoryBound: 0
; FloatMode: 240
; IeeeMode: 1
; LDSByteSize: 0 bytes/workgroup (compile time only)
; SGPRBlocks: 2
; VGPRBlocks: 3
; NumSGPRsForWavesPerEU: 18
; NumVGPRsForWavesPerEU: 27
; Occupancy: 16
; WaveLimiterHint : 1
; COMPUTE_PGM_RSRC2:SCRATCH_EN: 0
; COMPUTE_PGM_RSRC2:USER_SGPR: 15
; COMPUTE_PGM_RSRC2:TRAP_HANDLER: 0
; COMPUTE_PGM_RSRC2:TGID_X_EN: 1
; COMPUTE_PGM_RSRC2:TGID_Y_EN: 0
; COMPUTE_PGM_RSRC2:TGID_Z_EN: 0
; COMPUTE_PGM_RSRC2:TIDIG_COMP_CNT: 0
	.section	.text._ZN9rocsparseL19gebsrmvn_3xn_kernelILj128ELj1ELj16E21rocsparse_complex_numIfEEEvi20rocsparse_direction_NS_24const_host_device_scalarIT2_EEPKiS8_PKS5_SA_S6_PS5_21rocsparse_index_base_b,"axG",@progbits,_ZN9rocsparseL19gebsrmvn_3xn_kernelILj128ELj1ELj16E21rocsparse_complex_numIfEEEvi20rocsparse_direction_NS_24const_host_device_scalarIT2_EEPKiS8_PKS5_SA_S6_PS5_21rocsparse_index_base_b,comdat
	.globl	_ZN9rocsparseL19gebsrmvn_3xn_kernelILj128ELj1ELj16E21rocsparse_complex_numIfEEEvi20rocsparse_direction_NS_24const_host_device_scalarIT2_EEPKiS8_PKS5_SA_S6_PS5_21rocsparse_index_base_b ; -- Begin function _ZN9rocsparseL19gebsrmvn_3xn_kernelILj128ELj1ELj16E21rocsparse_complex_numIfEEEvi20rocsparse_direction_NS_24const_host_device_scalarIT2_EEPKiS8_PKS5_SA_S6_PS5_21rocsparse_index_base_b
	.p2align	8
	.type	_ZN9rocsparseL19gebsrmvn_3xn_kernelILj128ELj1ELj16E21rocsparse_complex_numIfEEEvi20rocsparse_direction_NS_24const_host_device_scalarIT2_EEPKiS8_PKS5_SA_S6_PS5_21rocsparse_index_base_b,@function
_ZN9rocsparseL19gebsrmvn_3xn_kernelILj128ELj1ELj16E21rocsparse_complex_numIfEEEvi20rocsparse_direction_NS_24const_host_device_scalarIT2_EEPKiS8_PKS5_SA_S6_PS5_21rocsparse_index_base_b: ; @_ZN9rocsparseL19gebsrmvn_3xn_kernelILj128ELj1ELj16E21rocsparse_complex_numIfEEEvi20rocsparse_direction_NS_24const_host_device_scalarIT2_EEPKiS8_PKS5_SA_S6_PS5_21rocsparse_index_base_b
; %bb.0:
	s_clause 0x2
	s_load_b64 s[12:13], s[0:1], 0x40
	s_load_b64 s[4:5], s[0:1], 0x8
	;; [unrolled: 1-line block ×3, first 2 shown]
	s_waitcnt lgkmcnt(0)
	s_bitcmp1_b32 s13, 0
	v_mov_b32_e32 v7, s4
	s_cselect_b32 s6, -1, 0
	s_delay_alu instid0(SALU_CYCLE_1)
	s_and_b32 vcc_lo, exec_lo, s6
	s_xor_b32 s6, s6, -1
	s_cbranch_vccz .LBB76_15
; %bb.1:
	v_cndmask_b32_e64 v1, 0, 1, s6
	v_mov_b32_e32 v8, s5
	s_and_not1_b32 vcc_lo, exec_lo, s6
	s_cbranch_vccz .LBB76_16
.LBB76_2:
	s_delay_alu instid0(VALU_DEP_2)
	v_cmp_ne_u32_e32 vcc_lo, 1, v1
	v_mov_b32_e32 v9, s2
	s_cbranch_vccz .LBB76_17
.LBB76_3:
	v_cmp_ne_u32_e32 vcc_lo, 1, v1
	v_mov_b32_e32 v10, s3
	s_cbranch_vccnz .LBB76_5
.LBB76_4:
	v_dual_mov_b32 v1, s2 :: v_dual_mov_b32 v2, s3
	flat_load_b32 v10, v[1:2] offset:4
.LBB76_5:
	s_waitcnt vmcnt(0) lgkmcnt(0)
	v_cmp_eq_f32_e32 vcc_lo, 0, v7
	v_cmp_eq_f32_e64 s2, 0, v8
	s_delay_alu instid0(VALU_DEP_1)
	s_and_b32 s4, vcc_lo, s2
	s_mov_b32 s2, -1
	s_and_saveexec_b32 s3, s4
; %bb.6:
	v_cmp_neq_f32_e32 vcc_lo, 1.0, v9
	v_cmp_neq_f32_e64 s2, 0, v10
	s_delay_alu instid0(VALU_DEP_1) | instskip(NEXT) | instid1(SALU_CYCLE_1)
	s_or_b32 s2, vcc_lo, s2
	s_or_not1_b32 s2, s2, exec_lo
; %bb.7:
	s_or_b32 exec_lo, exec_lo, s3
	s_and_saveexec_b32 s3, s2
	s_cbranch_execz .LBB76_29
; %bb.8:
	s_load_b64 s[2:3], s[0:1], 0x0
	v_lshrrev_b32_e32 v1, 4, v0
	s_delay_alu instid0(VALU_DEP_1) | instskip(SKIP_1) | instid1(VALU_DEP_1)
	v_lshl_or_b32 v1, s15, 3, v1
	s_waitcnt lgkmcnt(0)
	v_cmp_gt_i32_e32 vcc_lo, s2, v1
	s_and_b32 exec_lo, exec_lo, vcc_lo
	s_cbranch_execz .LBB76_29
; %bb.9:
	s_load_b256 s[4:11], s[0:1], 0x10
	v_ashrrev_i32_e32 v2, 31, v1
	v_and_b32_e32 v0, 15, v0
	s_cmp_lg_u32 s3, 0
	s_delay_alu instid0(VALU_DEP_2) | instskip(SKIP_1) | instid1(VALU_DEP_1)
	v_lshlrev_b64 v[2:3], 2, v[1:2]
	s_waitcnt lgkmcnt(0)
	v_add_co_u32 v2, vcc_lo, s4, v2
	s_delay_alu instid0(VALU_DEP_2) | instskip(SKIP_4) | instid1(VALU_DEP_2)
	v_add_co_ci_u32_e32 v3, vcc_lo, s5, v3, vcc_lo
	global_load_b64 v[2:3], v[2:3], off
	s_waitcnt vmcnt(0)
	v_subrev_nc_u32_e32 v2, s12, v2
	v_subrev_nc_u32_e32 v17, s12, v3
	v_add_nc_u32_e32 v2, v2, v0
	s_delay_alu instid0(VALU_DEP_1)
	v_cmp_lt_i32_e64 s2, v2, v17
	s_cbranch_scc0 .LBB76_18
; %bb.10:
	v_dual_mov_b32 v11, 0 :: v_dual_mov_b32 v12, 0
	v_dual_mov_b32 v13, 0 :: v_dual_mov_b32 v14, 0
	;; [unrolled: 1-line block ×3, first 2 shown]
	s_mov_b32 s3, 0
	s_and_saveexec_b32 s4, s2
	s_cbranch_execz .LBB76_14
; %bb.11:
	v_dual_mov_b32 v4, 0 :: v_dual_mov_b32 v5, v2
	v_lshl_add_u32 v3, v2, 1, v2
	s_mov_b32 s5, 0
	s_delay_alu instid0(VALU_DEP_2)
	v_mov_b32_e32 v11, v4
	v_mov_b32_e32 v12, v4
	;; [unrolled: 1-line block ×6, first 2 shown]
.LBB76_12:                              ; =>This Inner Loop Header: Depth=1
	v_ashrrev_i32_e32 v6, 31, v5
	v_lshlrev_b64 v[22:23], 3, v[3:4]
	v_dual_mov_b32 v21, v4 :: v_dual_add_nc_u32 v20, 2, v3
	v_mov_b32_e32 v24, v4
	s_delay_alu instid0(VALU_DEP_4) | instskip(NEXT) | instid1(VALU_DEP_3)
	v_lshlrev_b64 v[18:19], 2, v[5:6]
	v_lshlrev_b64 v[20:21], 3, v[20:21]
	s_delay_alu instid0(VALU_DEP_2) | instskip(NEXT) | instid1(VALU_DEP_3)
	v_add_co_u32 v18, vcc_lo, s6, v18
	v_add_co_ci_u32_e32 v19, vcc_lo, s7, v19, vcc_lo
	v_add_co_u32 v22, vcc_lo, s8, v22
	v_add_co_ci_u32_e32 v23, vcc_lo, s9, v23, vcc_lo
	global_load_b32 v6, v[18:19], off
	v_dual_mov_b32 v19, v4 :: v_dual_add_nc_u32 v18, 1, v3
	v_add_nc_u32_e32 v3, 48, v3
	s_delay_alu instid0(VALU_DEP_2) | instskip(NEXT) | instid1(VALU_DEP_1)
	v_lshlrev_b64 v[18:19], 3, v[18:19]
	v_add_co_u32 v18, vcc_lo, s8, v18
	s_delay_alu instid0(VALU_DEP_2)
	v_add_co_ci_u32_e32 v19, vcc_lo, s9, v19, vcc_lo
	v_add_co_u32 v20, vcc_lo, s8, v20
	v_add_co_ci_u32_e32 v21, vcc_lo, s9, v21, vcc_lo
	s_clause 0x2
	global_load_b64 v[25:26], v[22:23], off
	global_load_b64 v[18:19], v[18:19], off
	;; [unrolled: 1-line block ×3, first 2 shown]
	s_waitcnt vmcnt(3)
	v_subrev_nc_u32_e32 v23, s12, v6
	s_delay_alu instid0(VALU_DEP_1) | instskip(NEXT) | instid1(VALU_DEP_1)
	v_lshlrev_b64 v[22:23], 3, v[23:24]
	v_add_co_u32 v22, vcc_lo, s10, v22
	s_delay_alu instid0(VALU_DEP_2)
	v_add_co_ci_u32_e32 v23, vcc_lo, s11, v23, vcc_lo
	global_load_b64 v[22:23], v[22:23], off
	s_waitcnt vmcnt(0)
	v_dual_fmac_f32 v12, v25, v22 :: v_dual_add_nc_u32 v5, 16, v5
	v_fmac_f32_e32 v14, v21, v22
	v_fmac_f32_e32 v11, v26, v22
	;; [unrolled: 1-line block ×3, first 2 shown]
	s_delay_alu instid0(VALU_DEP_4)
	v_cmp_ge_i32_e32 vcc_lo, v5, v17
	v_fma_f32 v12, -v26, v23, v12
	v_fmac_f32_e32 v14, v20, v23
	v_dual_fmac_f32 v16, v19, v22 :: v_dual_fmac_f32 v11, v25, v23
	v_fmac_f32_e32 v13, v20, v22
	v_fma_f32 v15, -v19, v23, v15
	s_or_b32 s5, vcc_lo, s5
	s_delay_alu instid0(VALU_DEP_3) | instskip(NEXT) | instid1(VALU_DEP_3)
	v_fmac_f32_e32 v16, v18, v23
	v_fma_f32 v13, -v21, v23, v13
	s_and_not1_b32 exec_lo, exec_lo, s5
	s_cbranch_execnz .LBB76_12
; %bb.13:
	s_or_b32 exec_lo, exec_lo, s5
.LBB76_14:
	s_delay_alu instid0(SALU_CYCLE_1) | instskip(NEXT) | instid1(SALU_CYCLE_1)
	s_or_b32 exec_lo, exec_lo, s4
	s_and_not1_b32 vcc_lo, exec_lo, s3
	s_cbranch_vccz .LBB76_19
	s_branch .LBB76_24
.LBB76_15:
	v_dual_mov_b32 v1, s4 :: v_dual_mov_b32 v2, s5
	flat_load_b32 v7, v[1:2]
	v_cndmask_b32_e64 v1, 0, 1, s6
	v_mov_b32_e32 v8, s5
	s_and_not1_b32 vcc_lo, exec_lo, s6
	s_cbranch_vccnz .LBB76_2
.LBB76_16:
	v_dual_mov_b32 v2, s4 :: v_dual_mov_b32 v3, s5
	flat_load_b32 v8, v[2:3] offset:4
	v_cmp_ne_u32_e32 vcc_lo, 1, v1
	v_mov_b32_e32 v9, s2
	s_cbranch_vccnz .LBB76_3
.LBB76_17:
	v_dual_mov_b32 v2, s2 :: v_dual_mov_b32 v3, s3
	flat_load_b32 v9, v[2:3]
	v_cmp_ne_u32_e32 vcc_lo, 1, v1
	v_mov_b32_e32 v10, s3
	s_cbranch_vccz .LBB76_4
	s_branch .LBB76_5
.LBB76_18:
                                        ; implicit-def: $vgpr11
                                        ; implicit-def: $vgpr12
                                        ; implicit-def: $vgpr13
                                        ; implicit-def: $vgpr14
                                        ; implicit-def: $vgpr15
                                        ; implicit-def: $vgpr16
.LBB76_19:
	v_dual_mov_b32 v11, 0 :: v_dual_mov_b32 v12, 0
	v_dual_mov_b32 v13, 0 :: v_dual_mov_b32 v14, 0
	;; [unrolled: 1-line block ×3, first 2 shown]
	s_and_saveexec_b32 s3, s2
	s_cbranch_execz .LBB76_23
; %bb.20:
	v_mov_b32_e32 v5, 0
	v_lshl_add_u32 v4, v2, 1, v2
	s_mov_b32 s2, 0
	s_delay_alu instid0(VALU_DEP_2)
	v_mov_b32_e32 v11, v5
	v_mov_b32_e32 v12, v5
	;; [unrolled: 1-line block ×6, first 2 shown]
.LBB76_21:                              ; =>This Inner Loop Header: Depth=1
	v_ashrrev_i32_e32 v3, 31, v2
	v_lshlrev_b64 v[22:23], 3, v[4:5]
	v_dual_mov_b32 v21, v5 :: v_dual_add_nc_u32 v20, 2, v4
	s_delay_alu instid0(VALU_DEP_3) | instskip(NEXT) | instid1(VALU_DEP_2)
	v_lshlrev_b64 v[18:19], 2, v[2:3]
	v_lshlrev_b64 v[20:21], 3, v[20:21]
	s_delay_alu instid0(VALU_DEP_2) | instskip(NEXT) | instid1(VALU_DEP_3)
	v_add_co_u32 v18, vcc_lo, s6, v18
	v_add_co_ci_u32_e32 v19, vcc_lo, s7, v19, vcc_lo
	v_add_co_u32 v22, vcc_lo, s8, v22
	v_add_co_ci_u32_e32 v23, vcc_lo, s9, v23, vcc_lo
	global_load_b32 v3, v[18:19], off
	v_dual_mov_b32 v19, v5 :: v_dual_add_nc_u32 v18, 1, v4
	s_delay_alu instid0(VALU_DEP_1) | instskip(NEXT) | instid1(VALU_DEP_1)
	v_lshlrev_b64 v[18:19], 3, v[18:19]
	v_add_co_u32 v18, vcc_lo, s8, v18
	s_delay_alu instid0(VALU_DEP_2)
	v_add_co_ci_u32_e32 v19, vcc_lo, s9, v19, vcc_lo
	v_add_co_u32 v20, vcc_lo, s8, v20
	v_add_co_ci_u32_e32 v21, vcc_lo, s9, v21, vcc_lo
	s_clause 0x2
	global_load_b64 v[25:26], v[22:23], off
	global_load_b64 v[18:19], v[18:19], off
	;; [unrolled: 1-line block ×3, first 2 shown]
	v_mov_b32_e32 v24, v5
	s_waitcnt vmcnt(3)
	v_subrev_nc_u32_e32 v23, s12, v3
	s_delay_alu instid0(VALU_DEP_1) | instskip(NEXT) | instid1(VALU_DEP_1)
	v_lshlrev_b64 v[22:23], 3, v[23:24]
	v_add_co_u32 v22, vcc_lo, s10, v22
	s_delay_alu instid0(VALU_DEP_2)
	v_add_co_ci_u32_e32 v23, vcc_lo, s11, v23, vcc_lo
	global_load_b64 v[22:23], v[22:23], off
	s_waitcnt vmcnt(0)
	v_dual_fmac_f32 v15, v18, v22 :: v_dual_add_nc_u32 v4, 48, v4
	v_fmac_f32_e32 v11, v26, v22
	v_add_nc_u32_e32 v2, 16, v2
	v_fmac_f32_e32 v12, v25, v22
	v_fmac_f32_e32 v16, v19, v22
	;; [unrolled: 1-line block ×5, first 2 shown]
	v_cmp_ge_i32_e32 vcc_lo, v2, v17
	v_fmac_f32_e32 v16, v18, v23
	v_fma_f32 v12, -v26, v23, v12
	v_fma_f32 v15, -v19, v23, v15
	;; [unrolled: 1-line block ×3, first 2 shown]
	v_fmac_f32_e32 v14, v20, v23
	s_or_b32 s2, vcc_lo, s2
	s_delay_alu instid0(SALU_CYCLE_1)
	s_and_not1_b32 exec_lo, exec_lo, s2
	s_cbranch_execnz .LBB76_21
; %bb.22:
	s_or_b32 exec_lo, exec_lo, s2
.LBB76_23:
	s_delay_alu instid0(SALU_CYCLE_1)
	s_or_b32 exec_lo, exec_lo, s3
.LBB76_24:
	v_mbcnt_lo_u32_b32 v2, -1, 0
	s_delay_alu instid0(VALU_DEP_1) | instskip(SKIP_1) | instid1(VALU_DEP_2)
	v_xor_b32_e32 v3, 8, v2
	v_xor_b32_e32 v19, 4, v2
	v_cmp_gt_i32_e32 vcc_lo, 32, v3
	v_cndmask_b32_e32 v3, v2, v3, vcc_lo
	s_delay_alu instid0(VALU_DEP_3) | instskip(NEXT) | instid1(VALU_DEP_2)
	v_cmp_gt_i32_e32 vcc_lo, 32, v19
	v_lshlrev_b32_e32 v3, 2, v3
	ds_bpermute_b32 v6, v3, v15
	s_waitcnt lgkmcnt(0)
	v_add_f32_e32 v6, v15, v6
	ds_bpermute_b32 v4, v3, v12
	ds_bpermute_b32 v18, v3, v13
	v_cndmask_b32_e32 v19, v2, v19, vcc_lo
	ds_bpermute_b32 v5, v3, v11
	ds_bpermute_b32 v17, v3, v16
	;; [unrolled: 1-line block ×3, first 2 shown]
	s_waitcnt lgkmcnt(4)
	v_add_f32_e32 v4, v12, v4
	s_waitcnt lgkmcnt(3)
	v_dual_add_f32 v12, v13, v18 :: v_dual_lshlrev_b32 v19, 2, v19
	ds_bpermute_b32 v13, v19, v4
	s_waitcnt lgkmcnt(0)
	v_add_f32_e32 v4, v4, v13
	ds_bpermute_b32 v15, v19, v6
	v_add_f32_e32 v5, v11, v5
	v_add_f32_e32 v11, v16, v17
	ds_bpermute_b32 v17, v19, v12
	v_add_f32_e32 v3, v14, v3
	ds_bpermute_b32 v16, v19, v11
	s_waitcnt lgkmcnt(2)
	v_add_f32_e32 v6, v6, v15
	ds_bpermute_b32 v14, v19, v5
	s_waitcnt lgkmcnt(1)
	v_add_f32_e32 v13, v11, v16
	s_waitcnt lgkmcnt(0)
	v_dual_add_f32 v5, v5, v14 :: v_dual_add_f32 v14, v12, v17
	ds_bpermute_b32 v18, v19, v3
	v_xor_b32_e32 v19, 2, v2
	s_delay_alu instid0(VALU_DEP_1) | instskip(SKIP_3) | instid1(VALU_DEP_2)
	v_cmp_gt_i32_e32 vcc_lo, 32, v19
	v_cndmask_b32_e32 v19, v2, v19, vcc_lo
	s_waitcnt lgkmcnt(0)
	v_add_f32_e32 v15, v3, v18
	v_lshlrev_b32_e32 v19, 2, v19
	ds_bpermute_b32 v3, v19, v4
	ds_bpermute_b32 v11, v19, v5
	ds_bpermute_b32 v12, v19, v6
	ds_bpermute_b32 v16, v19, v13
	ds_bpermute_b32 v17, v19, v14
	ds_bpermute_b32 v18, v19, v15
	v_xor_b32_e32 v19, 1, v2
	s_delay_alu instid0(VALU_DEP_1) | instskip(SKIP_3) | instid1(VALU_DEP_2)
	v_cmp_gt_i32_e32 vcc_lo, 32, v19
	v_cndmask_b32_e32 v2, v2, v19, vcc_lo
	v_cmp_eq_u32_e32 vcc_lo, 15, v0
	s_waitcnt lgkmcnt(5)
	v_dual_add_f32 v2, v4, v3 :: v_dual_lshlrev_b32 v19, 2, v2
	s_waitcnt lgkmcnt(4)
	v_add_f32_e32 v5, v5, v11
	s_waitcnt lgkmcnt(0)
	v_dual_add_f32 v11, v6, v12 :: v_dual_add_f32 v4, v15, v18
	v_dual_add_f32 v12, v13, v16 :: v_dual_add_f32 v3, v14, v17
	ds_bpermute_b32 v6, v19, v2
	ds_bpermute_b32 v15, v19, v5
	;; [unrolled: 1-line block ×6, first 2 shown]
	s_and_b32 exec_lo, exec_lo, vcc_lo
	s_cbranch_execz .LBB76_29
; %bb.25:
	s_load_b64 s[2:3], s[0:1], 0x38
	v_cmp_eq_f32_e32 vcc_lo, 0, v9
	v_cmp_eq_f32_e64 s0, 0, v10
	s_waitcnt lgkmcnt(0)
	v_add_f32_e32 v0, v2, v6
	v_dual_add_f32 v6, v5, v15 :: v_dual_add_f32 v3, v3, v13
	v_dual_add_f32 v2, v11, v16 :: v_dual_add_f32 v5, v12, v17
	v_add_f32_e32 v4, v4, v14
	s_and_b32 s0, vcc_lo, s0
	s_delay_alu instid0(SALU_CYCLE_1) | instskip(NEXT) | instid1(SALU_CYCLE_1)
	s_and_saveexec_b32 s1, s0
	s_xor_b32 s0, exec_lo, s1
	s_cbranch_execz .LBB76_27
; %bb.26:
	v_lshl_add_u32 v13, v1, 1, v1
	v_mul_f32_e64 v9, v6, -v8
	v_mul_f32_e32 v10, v6, v7
	v_mul_f32_e64 v11, v5, -v8
	v_mul_f32_e32 v12, v5, v7
	v_ashrrev_i32_e32 v14, 31, v13
	v_mul_f32_e64 v5, v4, -v8
	s_delay_alu instid0(VALU_DEP_4) | instskip(SKIP_1) | instid1(VALU_DEP_4)
	v_dual_mul_f32 v6, v4, v7 :: v_dual_fmac_f32 v11, v7, v2
	v_fmac_f32_e32 v9, v7, v0
	v_lshlrev_b64 v[13:14], 3, v[13:14]
	s_delay_alu instid0(VALU_DEP_4) | instskip(SKIP_2) | instid1(VALU_DEP_4)
	v_dual_fmac_f32 v10, v8, v0 :: v_dual_fmac_f32 v5, v7, v3
	v_fmac_f32_e32 v12, v8, v2
	v_fmac_f32_e32 v6, v8, v3
                                        ; implicit-def: $vgpr7
                                        ; implicit-def: $vgpr8
                                        ; implicit-def: $vgpr2
                                        ; implicit-def: $vgpr3
                                        ; implicit-def: $vgpr4
	v_add_co_u32 v0, vcc_lo, s2, v13
	v_add_co_ci_u32_e32 v1, vcc_lo, s3, v14, vcc_lo
	s_clause 0x1
	global_store_b128 v[0:1], v[9:12], off
	global_store_b64 v[0:1], v[5:6], off offset:16
                                        ; implicit-def: $vgpr9
                                        ; implicit-def: $vgpr10
                                        ; implicit-def: $vgpr1
                                        ; implicit-def: $vgpr0
                                        ; implicit-def: $vgpr6
                                        ; implicit-def: $vgpr5
.LBB76_27:
	s_and_not1_saveexec_b32 s0, s0
	s_cbranch_execz .LBB76_29
; %bb.28:
	v_lshl_add_u32 v11, v1, 1, v1
	v_mul_f32_e64 v15, v6, -v8
	v_mul_f32_e32 v16, v6, v7
	v_mul_f32_e64 v6, v5, -v8
	v_mul_f32_e32 v1, v4, v7
	v_ashrrev_i32_e32 v12, 31, v11
	v_fmac_f32_e32 v15, v7, v0
	s_delay_alu instid0(VALU_DEP_4) | instskip(NEXT) | instid1(VALU_DEP_3)
	v_fmac_f32_e32 v6, v7, v2
	v_lshlrev_b64 v[11:12], 3, v[11:12]
	s_delay_alu instid0(VALU_DEP_1) | instskip(NEXT) | instid1(VALU_DEP_2)
	v_add_co_u32 v19, vcc_lo, s2, v11
	v_add_co_ci_u32_e32 v20, vcc_lo, s3, v12, vcc_lo
	s_clause 0x1
	global_load_b128 v[11:14], v[19:20], off
	global_load_b64 v[21:22], v[19:20], off offset:16
	s_waitcnt vmcnt(1)
	v_dual_fmac_f32 v1, v8, v3 :: v_dual_fmac_f32 v6, v9, v13
	s_waitcnt vmcnt(0)
	s_delay_alu instid0(VALU_DEP_1) | instskip(SKIP_2) | instid1(VALU_DEP_3)
	v_dual_mul_f32 v18, v5, v7 :: v_dual_fmac_f32 v1, v10, v21
	v_mul_f32_e64 v5, v4, -v8
	v_dual_fmac_f32 v16, v8, v0 :: v_dual_fmac_f32 v15, v9, v11
	v_fmac_f32_e32 v18, v8, v2
	v_fma_f32 v17, -v10, v14, v6
	s_delay_alu instid0(VALU_DEP_4) | instskip(NEXT) | instid1(VALU_DEP_4)
	v_fmac_f32_e32 v5, v7, v3
	v_fmac_f32_e32 v16, v10, v11
	v_fma_f32 v15, -v10, v12, v15
	v_dual_fmac_f32 v18, v10, v13 :: v_dual_fmac_f32 v1, v9, v22
	s_delay_alu instid0(VALU_DEP_4) | instskip(NEXT) | instid1(VALU_DEP_4)
	v_fmac_f32_e32 v5, v9, v21
	v_fmac_f32_e32 v16, v9, v12
	s_delay_alu instid0(VALU_DEP_3) | instskip(NEXT) | instid1(VALU_DEP_3)
	v_fmac_f32_e32 v18, v9, v14
	v_fma_f32 v0, -v10, v22, v5
	s_clause 0x1
	global_store_b128 v[19:20], v[15:18], off
	global_store_b64 v[19:20], v[0:1], off offset:16
.LBB76_29:
	s_nop 0
	s_sendmsg sendmsg(MSG_DEALLOC_VGPRS)
	s_endpgm
	.section	.rodata,"a",@progbits
	.p2align	6, 0x0
	.amdhsa_kernel _ZN9rocsparseL19gebsrmvn_3xn_kernelILj128ELj1ELj16E21rocsparse_complex_numIfEEEvi20rocsparse_direction_NS_24const_host_device_scalarIT2_EEPKiS8_PKS5_SA_S6_PS5_21rocsparse_index_base_b
		.amdhsa_group_segment_fixed_size 0
		.amdhsa_private_segment_fixed_size 0
		.amdhsa_kernarg_size 72
		.amdhsa_user_sgpr_count 15
		.amdhsa_user_sgpr_dispatch_ptr 0
		.amdhsa_user_sgpr_queue_ptr 0
		.amdhsa_user_sgpr_kernarg_segment_ptr 1
		.amdhsa_user_sgpr_dispatch_id 0
		.amdhsa_user_sgpr_private_segment_size 0
		.amdhsa_wavefront_size32 1
		.amdhsa_uses_dynamic_stack 0
		.amdhsa_enable_private_segment 0
		.amdhsa_system_sgpr_workgroup_id_x 1
		.amdhsa_system_sgpr_workgroup_id_y 0
		.amdhsa_system_sgpr_workgroup_id_z 0
		.amdhsa_system_sgpr_workgroup_info 0
		.amdhsa_system_vgpr_workitem_id 0
		.amdhsa_next_free_vgpr 27
		.amdhsa_next_free_sgpr 16
		.amdhsa_reserve_vcc 1
		.amdhsa_float_round_mode_32 0
		.amdhsa_float_round_mode_16_64 0
		.amdhsa_float_denorm_mode_32 3
		.amdhsa_float_denorm_mode_16_64 3
		.amdhsa_dx10_clamp 1
		.amdhsa_ieee_mode 1
		.amdhsa_fp16_overflow 0
		.amdhsa_workgroup_processor_mode 1
		.amdhsa_memory_ordered 1
		.amdhsa_forward_progress 0
		.amdhsa_shared_vgpr_count 0
		.amdhsa_exception_fp_ieee_invalid_op 0
		.amdhsa_exception_fp_denorm_src 0
		.amdhsa_exception_fp_ieee_div_zero 0
		.amdhsa_exception_fp_ieee_overflow 0
		.amdhsa_exception_fp_ieee_underflow 0
		.amdhsa_exception_fp_ieee_inexact 0
		.amdhsa_exception_int_div_zero 0
	.end_amdhsa_kernel
	.section	.text._ZN9rocsparseL19gebsrmvn_3xn_kernelILj128ELj1ELj16E21rocsparse_complex_numIfEEEvi20rocsparse_direction_NS_24const_host_device_scalarIT2_EEPKiS8_PKS5_SA_S6_PS5_21rocsparse_index_base_b,"axG",@progbits,_ZN9rocsparseL19gebsrmvn_3xn_kernelILj128ELj1ELj16E21rocsparse_complex_numIfEEEvi20rocsparse_direction_NS_24const_host_device_scalarIT2_EEPKiS8_PKS5_SA_S6_PS5_21rocsparse_index_base_b,comdat
.Lfunc_end76:
	.size	_ZN9rocsparseL19gebsrmvn_3xn_kernelILj128ELj1ELj16E21rocsparse_complex_numIfEEEvi20rocsparse_direction_NS_24const_host_device_scalarIT2_EEPKiS8_PKS5_SA_S6_PS5_21rocsparse_index_base_b, .Lfunc_end76-_ZN9rocsparseL19gebsrmvn_3xn_kernelILj128ELj1ELj16E21rocsparse_complex_numIfEEEvi20rocsparse_direction_NS_24const_host_device_scalarIT2_EEPKiS8_PKS5_SA_S6_PS5_21rocsparse_index_base_b
                                        ; -- End function
	.section	.AMDGPU.csdata,"",@progbits
; Kernel info:
; codeLenInByte = 2044
; NumSgprs: 18
; NumVgprs: 27
; ScratchSize: 0
; MemoryBound: 0
; FloatMode: 240
; IeeeMode: 1
; LDSByteSize: 0 bytes/workgroup (compile time only)
; SGPRBlocks: 2
; VGPRBlocks: 3
; NumSGPRsForWavesPerEU: 18
; NumVGPRsForWavesPerEU: 27
; Occupancy: 16
; WaveLimiterHint : 1
; COMPUTE_PGM_RSRC2:SCRATCH_EN: 0
; COMPUTE_PGM_RSRC2:USER_SGPR: 15
; COMPUTE_PGM_RSRC2:TRAP_HANDLER: 0
; COMPUTE_PGM_RSRC2:TGID_X_EN: 1
; COMPUTE_PGM_RSRC2:TGID_Y_EN: 0
; COMPUTE_PGM_RSRC2:TGID_Z_EN: 0
; COMPUTE_PGM_RSRC2:TIDIG_COMP_CNT: 0
	.section	.text._ZN9rocsparseL19gebsrmvn_3xn_kernelILj128ELj1ELj32E21rocsparse_complex_numIfEEEvi20rocsparse_direction_NS_24const_host_device_scalarIT2_EEPKiS8_PKS5_SA_S6_PS5_21rocsparse_index_base_b,"axG",@progbits,_ZN9rocsparseL19gebsrmvn_3xn_kernelILj128ELj1ELj32E21rocsparse_complex_numIfEEEvi20rocsparse_direction_NS_24const_host_device_scalarIT2_EEPKiS8_PKS5_SA_S6_PS5_21rocsparse_index_base_b,comdat
	.globl	_ZN9rocsparseL19gebsrmvn_3xn_kernelILj128ELj1ELj32E21rocsparse_complex_numIfEEEvi20rocsparse_direction_NS_24const_host_device_scalarIT2_EEPKiS8_PKS5_SA_S6_PS5_21rocsparse_index_base_b ; -- Begin function _ZN9rocsparseL19gebsrmvn_3xn_kernelILj128ELj1ELj32E21rocsparse_complex_numIfEEEvi20rocsparse_direction_NS_24const_host_device_scalarIT2_EEPKiS8_PKS5_SA_S6_PS5_21rocsparse_index_base_b
	.p2align	8
	.type	_ZN9rocsparseL19gebsrmvn_3xn_kernelILj128ELj1ELj32E21rocsparse_complex_numIfEEEvi20rocsparse_direction_NS_24const_host_device_scalarIT2_EEPKiS8_PKS5_SA_S6_PS5_21rocsparse_index_base_b,@function
_ZN9rocsparseL19gebsrmvn_3xn_kernelILj128ELj1ELj32E21rocsparse_complex_numIfEEEvi20rocsparse_direction_NS_24const_host_device_scalarIT2_EEPKiS8_PKS5_SA_S6_PS5_21rocsparse_index_base_b: ; @_ZN9rocsparseL19gebsrmvn_3xn_kernelILj128ELj1ELj32E21rocsparse_complex_numIfEEEvi20rocsparse_direction_NS_24const_host_device_scalarIT2_EEPKiS8_PKS5_SA_S6_PS5_21rocsparse_index_base_b
; %bb.0:
	s_clause 0x2
	s_load_b64 s[12:13], s[0:1], 0x40
	s_load_b64 s[4:5], s[0:1], 0x8
	;; [unrolled: 1-line block ×3, first 2 shown]
	s_waitcnt lgkmcnt(0)
	s_bitcmp1_b32 s13, 0
	v_mov_b32_e32 v7, s4
	s_cselect_b32 s6, -1, 0
	s_delay_alu instid0(SALU_CYCLE_1)
	s_and_b32 vcc_lo, exec_lo, s6
	s_xor_b32 s6, s6, -1
	s_cbranch_vccz .LBB77_15
; %bb.1:
	v_cndmask_b32_e64 v1, 0, 1, s6
	v_mov_b32_e32 v8, s5
	s_and_not1_b32 vcc_lo, exec_lo, s6
	s_cbranch_vccz .LBB77_16
.LBB77_2:
	s_delay_alu instid0(VALU_DEP_2)
	v_cmp_ne_u32_e32 vcc_lo, 1, v1
	v_mov_b32_e32 v9, s2
	s_cbranch_vccz .LBB77_17
.LBB77_3:
	v_cmp_ne_u32_e32 vcc_lo, 1, v1
	v_mov_b32_e32 v10, s3
	s_cbranch_vccnz .LBB77_5
.LBB77_4:
	v_dual_mov_b32 v1, s2 :: v_dual_mov_b32 v2, s3
	flat_load_b32 v10, v[1:2] offset:4
.LBB77_5:
	s_waitcnt vmcnt(0) lgkmcnt(0)
	v_cmp_eq_f32_e32 vcc_lo, 0, v7
	v_cmp_eq_f32_e64 s2, 0, v8
	s_delay_alu instid0(VALU_DEP_1)
	s_and_b32 s4, vcc_lo, s2
	s_mov_b32 s2, -1
	s_and_saveexec_b32 s3, s4
; %bb.6:
	v_cmp_neq_f32_e32 vcc_lo, 1.0, v9
	v_cmp_neq_f32_e64 s2, 0, v10
	s_delay_alu instid0(VALU_DEP_1) | instskip(NEXT) | instid1(SALU_CYCLE_1)
	s_or_b32 s2, vcc_lo, s2
	s_or_not1_b32 s2, s2, exec_lo
; %bb.7:
	s_or_b32 exec_lo, exec_lo, s3
	s_and_saveexec_b32 s3, s2
	s_cbranch_execz .LBB77_29
; %bb.8:
	s_load_b64 s[2:3], s[0:1], 0x0
	v_lshrrev_b32_e32 v1, 5, v0
	s_delay_alu instid0(VALU_DEP_1) | instskip(SKIP_1) | instid1(VALU_DEP_1)
	v_lshl_or_b32 v1, s15, 2, v1
	s_waitcnt lgkmcnt(0)
	v_cmp_gt_i32_e32 vcc_lo, s2, v1
	s_and_b32 exec_lo, exec_lo, vcc_lo
	s_cbranch_execz .LBB77_29
; %bb.9:
	s_load_b256 s[4:11], s[0:1], 0x10
	v_ashrrev_i32_e32 v2, 31, v1
	v_and_b32_e32 v0, 31, v0
	s_cmp_lg_u32 s3, 0
	s_delay_alu instid0(VALU_DEP_2) | instskip(SKIP_1) | instid1(VALU_DEP_1)
	v_lshlrev_b64 v[2:3], 2, v[1:2]
	s_waitcnt lgkmcnt(0)
	v_add_co_u32 v2, vcc_lo, s4, v2
	s_delay_alu instid0(VALU_DEP_2) | instskip(SKIP_4) | instid1(VALU_DEP_2)
	v_add_co_ci_u32_e32 v3, vcc_lo, s5, v3, vcc_lo
	global_load_b64 v[2:3], v[2:3], off
	s_waitcnt vmcnt(0)
	v_subrev_nc_u32_e32 v2, s12, v2
	v_subrev_nc_u32_e32 v17, s12, v3
	v_add_nc_u32_e32 v2, v2, v0
	s_delay_alu instid0(VALU_DEP_1)
	v_cmp_lt_i32_e64 s2, v2, v17
	s_cbranch_scc0 .LBB77_18
; %bb.10:
	v_dual_mov_b32 v11, 0 :: v_dual_mov_b32 v12, 0
	v_dual_mov_b32 v13, 0 :: v_dual_mov_b32 v14, 0
	;; [unrolled: 1-line block ×3, first 2 shown]
	s_mov_b32 s3, 0
	s_and_saveexec_b32 s4, s2
	s_cbranch_execz .LBB77_14
; %bb.11:
	v_dual_mov_b32 v4, 0 :: v_dual_mov_b32 v5, v2
	v_lshl_add_u32 v3, v2, 1, v2
	s_mov_b32 s5, 0
	s_delay_alu instid0(VALU_DEP_2)
	v_mov_b32_e32 v11, v4
	v_mov_b32_e32 v12, v4
	;; [unrolled: 1-line block ×6, first 2 shown]
.LBB77_12:                              ; =>This Inner Loop Header: Depth=1
	v_ashrrev_i32_e32 v6, 31, v5
	v_lshlrev_b64 v[22:23], 3, v[3:4]
	v_dual_mov_b32 v21, v4 :: v_dual_add_nc_u32 v20, 2, v3
	v_mov_b32_e32 v24, v4
	s_delay_alu instid0(VALU_DEP_4) | instskip(NEXT) | instid1(VALU_DEP_3)
	v_lshlrev_b64 v[18:19], 2, v[5:6]
	v_lshlrev_b64 v[20:21], 3, v[20:21]
	s_delay_alu instid0(VALU_DEP_2) | instskip(NEXT) | instid1(VALU_DEP_3)
	v_add_co_u32 v18, vcc_lo, s6, v18
	v_add_co_ci_u32_e32 v19, vcc_lo, s7, v19, vcc_lo
	v_add_co_u32 v22, vcc_lo, s8, v22
	v_add_co_ci_u32_e32 v23, vcc_lo, s9, v23, vcc_lo
	global_load_b32 v6, v[18:19], off
	v_dual_mov_b32 v19, v4 :: v_dual_add_nc_u32 v18, 1, v3
	v_add_nc_u32_e32 v3, 0x60, v3
	s_delay_alu instid0(VALU_DEP_2) | instskip(NEXT) | instid1(VALU_DEP_1)
	v_lshlrev_b64 v[18:19], 3, v[18:19]
	v_add_co_u32 v18, vcc_lo, s8, v18
	s_delay_alu instid0(VALU_DEP_2)
	v_add_co_ci_u32_e32 v19, vcc_lo, s9, v19, vcc_lo
	v_add_co_u32 v20, vcc_lo, s8, v20
	v_add_co_ci_u32_e32 v21, vcc_lo, s9, v21, vcc_lo
	s_clause 0x2
	global_load_b64 v[25:26], v[22:23], off
	global_load_b64 v[18:19], v[18:19], off
	;; [unrolled: 1-line block ×3, first 2 shown]
	s_waitcnt vmcnt(3)
	v_subrev_nc_u32_e32 v23, s12, v6
	s_delay_alu instid0(VALU_DEP_1) | instskip(NEXT) | instid1(VALU_DEP_1)
	v_lshlrev_b64 v[22:23], 3, v[23:24]
	v_add_co_u32 v22, vcc_lo, s10, v22
	s_delay_alu instid0(VALU_DEP_2)
	v_add_co_ci_u32_e32 v23, vcc_lo, s11, v23, vcc_lo
	global_load_b64 v[22:23], v[22:23], off
	s_waitcnt vmcnt(0)
	v_dual_fmac_f32 v12, v25, v22 :: v_dual_add_nc_u32 v5, 32, v5
	v_fmac_f32_e32 v14, v21, v22
	v_fmac_f32_e32 v11, v26, v22
	;; [unrolled: 1-line block ×3, first 2 shown]
	s_delay_alu instid0(VALU_DEP_4)
	v_cmp_ge_i32_e32 vcc_lo, v5, v17
	v_fma_f32 v12, -v26, v23, v12
	v_fmac_f32_e32 v14, v20, v23
	v_dual_fmac_f32 v16, v19, v22 :: v_dual_fmac_f32 v11, v25, v23
	v_fmac_f32_e32 v13, v20, v22
	v_fma_f32 v15, -v19, v23, v15
	s_or_b32 s5, vcc_lo, s5
	s_delay_alu instid0(VALU_DEP_3) | instskip(NEXT) | instid1(VALU_DEP_3)
	v_fmac_f32_e32 v16, v18, v23
	v_fma_f32 v13, -v21, v23, v13
	s_and_not1_b32 exec_lo, exec_lo, s5
	s_cbranch_execnz .LBB77_12
; %bb.13:
	s_or_b32 exec_lo, exec_lo, s5
.LBB77_14:
	s_delay_alu instid0(SALU_CYCLE_1) | instskip(NEXT) | instid1(SALU_CYCLE_1)
	s_or_b32 exec_lo, exec_lo, s4
	s_and_not1_b32 vcc_lo, exec_lo, s3
	s_cbranch_vccz .LBB77_19
	s_branch .LBB77_24
.LBB77_15:
	v_dual_mov_b32 v1, s4 :: v_dual_mov_b32 v2, s5
	flat_load_b32 v7, v[1:2]
	v_cndmask_b32_e64 v1, 0, 1, s6
	v_mov_b32_e32 v8, s5
	s_and_not1_b32 vcc_lo, exec_lo, s6
	s_cbranch_vccnz .LBB77_2
.LBB77_16:
	v_dual_mov_b32 v2, s4 :: v_dual_mov_b32 v3, s5
	flat_load_b32 v8, v[2:3] offset:4
	v_cmp_ne_u32_e32 vcc_lo, 1, v1
	v_mov_b32_e32 v9, s2
	s_cbranch_vccnz .LBB77_3
.LBB77_17:
	v_dual_mov_b32 v2, s2 :: v_dual_mov_b32 v3, s3
	flat_load_b32 v9, v[2:3]
	v_cmp_ne_u32_e32 vcc_lo, 1, v1
	v_mov_b32_e32 v10, s3
	s_cbranch_vccz .LBB77_4
	s_branch .LBB77_5
.LBB77_18:
                                        ; implicit-def: $vgpr11
                                        ; implicit-def: $vgpr12
                                        ; implicit-def: $vgpr13
                                        ; implicit-def: $vgpr14
                                        ; implicit-def: $vgpr15
                                        ; implicit-def: $vgpr16
.LBB77_19:
	v_dual_mov_b32 v11, 0 :: v_dual_mov_b32 v12, 0
	v_dual_mov_b32 v13, 0 :: v_dual_mov_b32 v14, 0
	;; [unrolled: 1-line block ×3, first 2 shown]
	s_and_saveexec_b32 s3, s2
	s_cbranch_execz .LBB77_23
; %bb.20:
	v_mov_b32_e32 v5, 0
	v_lshl_add_u32 v4, v2, 1, v2
	s_mov_b32 s2, 0
	s_delay_alu instid0(VALU_DEP_2)
	v_mov_b32_e32 v11, v5
	v_mov_b32_e32 v12, v5
	;; [unrolled: 1-line block ×6, first 2 shown]
.LBB77_21:                              ; =>This Inner Loop Header: Depth=1
	v_ashrrev_i32_e32 v3, 31, v2
	v_lshlrev_b64 v[22:23], 3, v[4:5]
	v_dual_mov_b32 v21, v5 :: v_dual_add_nc_u32 v20, 2, v4
	s_delay_alu instid0(VALU_DEP_3) | instskip(NEXT) | instid1(VALU_DEP_2)
	v_lshlrev_b64 v[18:19], 2, v[2:3]
	v_lshlrev_b64 v[20:21], 3, v[20:21]
	s_delay_alu instid0(VALU_DEP_2) | instskip(NEXT) | instid1(VALU_DEP_3)
	v_add_co_u32 v18, vcc_lo, s6, v18
	v_add_co_ci_u32_e32 v19, vcc_lo, s7, v19, vcc_lo
	v_add_co_u32 v22, vcc_lo, s8, v22
	v_add_co_ci_u32_e32 v23, vcc_lo, s9, v23, vcc_lo
	global_load_b32 v3, v[18:19], off
	v_dual_mov_b32 v19, v5 :: v_dual_add_nc_u32 v18, 1, v4
	s_delay_alu instid0(VALU_DEP_1) | instskip(NEXT) | instid1(VALU_DEP_1)
	v_lshlrev_b64 v[18:19], 3, v[18:19]
	v_add_co_u32 v18, vcc_lo, s8, v18
	s_delay_alu instid0(VALU_DEP_2)
	v_add_co_ci_u32_e32 v19, vcc_lo, s9, v19, vcc_lo
	v_add_co_u32 v20, vcc_lo, s8, v20
	v_add_co_ci_u32_e32 v21, vcc_lo, s9, v21, vcc_lo
	s_clause 0x2
	global_load_b64 v[25:26], v[22:23], off
	global_load_b64 v[18:19], v[18:19], off
	;; [unrolled: 1-line block ×3, first 2 shown]
	v_mov_b32_e32 v24, v5
	s_waitcnt vmcnt(3)
	v_subrev_nc_u32_e32 v23, s12, v3
	s_delay_alu instid0(VALU_DEP_1) | instskip(NEXT) | instid1(VALU_DEP_1)
	v_lshlrev_b64 v[22:23], 3, v[23:24]
	v_add_co_u32 v22, vcc_lo, s10, v22
	s_delay_alu instid0(VALU_DEP_2)
	v_add_co_ci_u32_e32 v23, vcc_lo, s11, v23, vcc_lo
	global_load_b64 v[22:23], v[22:23], off
	s_waitcnt vmcnt(0)
	v_dual_fmac_f32 v15, v18, v22 :: v_dual_add_nc_u32 v4, 0x60, v4
	v_fmac_f32_e32 v11, v26, v22
	v_add_nc_u32_e32 v2, 32, v2
	v_fmac_f32_e32 v12, v25, v22
	v_fmac_f32_e32 v16, v19, v22
	;; [unrolled: 1-line block ×5, first 2 shown]
	v_cmp_ge_i32_e32 vcc_lo, v2, v17
	v_fmac_f32_e32 v16, v18, v23
	v_fma_f32 v12, -v26, v23, v12
	v_fma_f32 v15, -v19, v23, v15
	;; [unrolled: 1-line block ×3, first 2 shown]
	v_fmac_f32_e32 v14, v20, v23
	s_or_b32 s2, vcc_lo, s2
	s_delay_alu instid0(SALU_CYCLE_1)
	s_and_not1_b32 exec_lo, exec_lo, s2
	s_cbranch_execnz .LBB77_21
; %bb.22:
	s_or_b32 exec_lo, exec_lo, s2
.LBB77_23:
	s_delay_alu instid0(SALU_CYCLE_1)
	s_or_b32 exec_lo, exec_lo, s3
.LBB77_24:
	v_mbcnt_lo_u32_b32 v2, -1, 0
	s_delay_alu instid0(VALU_DEP_1) | instskip(SKIP_1) | instid1(VALU_DEP_2)
	v_xor_b32_e32 v3, 16, v2
	v_xor_b32_e32 v19, 8, v2
	v_cmp_gt_i32_e32 vcc_lo, 32, v3
	v_cndmask_b32_e32 v3, v2, v3, vcc_lo
	s_delay_alu instid0(VALU_DEP_3) | instskip(NEXT) | instid1(VALU_DEP_2)
	v_cmp_gt_i32_e32 vcc_lo, 32, v19
	v_lshlrev_b32_e32 v3, 2, v3
	ds_bpermute_b32 v6, v3, v15
	s_waitcnt lgkmcnt(0)
	v_add_f32_e32 v6, v15, v6
	ds_bpermute_b32 v4, v3, v12
	ds_bpermute_b32 v18, v3, v13
	v_cndmask_b32_e32 v19, v2, v19, vcc_lo
	ds_bpermute_b32 v5, v3, v11
	ds_bpermute_b32 v17, v3, v16
	ds_bpermute_b32 v3, v3, v14
	s_waitcnt lgkmcnt(4)
	v_add_f32_e32 v4, v12, v4
	s_waitcnt lgkmcnt(3)
	v_dual_add_f32 v12, v13, v18 :: v_dual_lshlrev_b32 v19, 2, v19
	ds_bpermute_b32 v13, v19, v4
	s_waitcnt lgkmcnt(0)
	v_add_f32_e32 v4, v4, v13
	ds_bpermute_b32 v15, v19, v6
	s_waitcnt lgkmcnt(0)
	v_dual_add_f32 v5, v11, v5 :: v_dual_add_f32 v6, v6, v15
	v_add_f32_e32 v11, v16, v17
	ds_bpermute_b32 v17, v19, v12
	v_add_f32_e32 v3, v14, v3
	ds_bpermute_b32 v14, v19, v5
	ds_bpermute_b32 v16, v19, v11
	s_waitcnt lgkmcnt(2)
	v_add_f32_e32 v12, v12, v17
	ds_bpermute_b32 v18, v19, v3
	v_xor_b32_e32 v19, 4, v2
	s_waitcnt lgkmcnt(2)
	v_add_f32_e32 v5, v5, v14
	s_delay_alu instid0(VALU_DEP_2) | instskip(SKIP_1) | instid1(VALU_DEP_1)
	v_cmp_gt_i32_e32 vcc_lo, 32, v19
	v_cndmask_b32_e32 v19, v2, v19, vcc_lo
	v_lshlrev_b32_e32 v19, 2, v19
	ds_bpermute_b32 v14, v19, v5
	ds_bpermute_b32 v17, v19, v12
	s_waitcnt lgkmcnt(0)
	v_dual_add_f32 v5, v5, v14 :: v_dual_add_f32 v14, v12, v17
	ds_bpermute_b32 v13, v19, v4
	ds_bpermute_b32 v15, v19, v6
	s_waitcnt lgkmcnt(1)
	v_add_f32_e32 v4, v4, v13
	s_waitcnt lgkmcnt(0)
	v_dual_add_f32 v6, v6, v15 :: v_dual_add_f32 v11, v11, v16
	ds_bpermute_b32 v16, v19, v11
	s_waitcnt lgkmcnt(0)
	v_add_f32_e32 v13, v11, v16
	v_add_f32_e32 v3, v3, v18
	ds_bpermute_b32 v18, v19, v3
	v_xor_b32_e32 v19, 2, v2
	s_delay_alu instid0(VALU_DEP_1) | instskip(SKIP_1) | instid1(VALU_DEP_1)
	v_cmp_gt_i32_e32 vcc_lo, 32, v19
	v_cndmask_b32_e32 v19, v2, v19, vcc_lo
	v_lshlrev_b32_e32 v19, 2, v19
	ds_bpermute_b32 v11, v19, v5
	ds_bpermute_b32 v12, v19, v6
	ds_bpermute_b32 v16, v19, v13
	ds_bpermute_b32 v17, v19, v14
	s_waitcnt lgkmcnt(3)
	v_add_f32_e32 v5, v5, v11
	s_waitcnt lgkmcnt(2)
	v_add_f32_e32 v11, v6, v12
	s_waitcnt lgkmcnt(1)
	v_dual_add_f32 v12, v13, v16 :: v_dual_add_f32 v15, v3, v18
	ds_bpermute_b32 v3, v19, v4
	ds_bpermute_b32 v18, v19, v15
	v_xor_b32_e32 v19, 1, v2
	s_delay_alu instid0(VALU_DEP_1) | instskip(SKIP_3) | instid1(VALU_DEP_2)
	v_cmp_gt_i32_e32 vcc_lo, 32, v19
	v_cndmask_b32_e32 v2, v2, v19, vcc_lo
	v_cmp_eq_u32_e32 vcc_lo, 31, v0
	s_waitcnt lgkmcnt(1)
	v_dual_add_f32 v2, v4, v3 :: v_dual_lshlrev_b32 v19, 2, v2
	s_waitcnt lgkmcnt(0)
	v_dual_add_f32 v3, v14, v17 :: v_dual_add_f32 v4, v15, v18
	ds_bpermute_b32 v15, v19, v5
	ds_bpermute_b32 v6, v19, v2
	;; [unrolled: 1-line block ×6, first 2 shown]
	s_and_b32 exec_lo, exec_lo, vcc_lo
	s_cbranch_execz .LBB77_29
; %bb.25:
	s_load_b64 s[2:3], s[0:1], 0x38
	v_cmp_eq_f32_e32 vcc_lo, 0, v9
	v_cmp_eq_f32_e64 s0, 0, v10
	s_waitcnt lgkmcnt(0)
	v_add_f32_e32 v0, v2, v6
	v_dual_add_f32 v6, v5, v15 :: v_dual_add_f32 v3, v3, v13
	v_dual_add_f32 v2, v11, v16 :: v_dual_add_f32 v5, v12, v17
	v_add_f32_e32 v4, v4, v14
	s_and_b32 s0, vcc_lo, s0
	s_delay_alu instid0(SALU_CYCLE_1) | instskip(NEXT) | instid1(SALU_CYCLE_1)
	s_and_saveexec_b32 s1, s0
	s_xor_b32 s0, exec_lo, s1
	s_cbranch_execz .LBB77_27
; %bb.26:
	v_lshl_add_u32 v13, v1, 1, v1
	v_mul_f32_e64 v9, v6, -v8
	v_mul_f32_e32 v10, v6, v7
	v_mul_f32_e64 v11, v5, -v8
	v_mul_f32_e32 v12, v5, v7
	v_ashrrev_i32_e32 v14, 31, v13
	v_mul_f32_e64 v5, v4, -v8
	s_delay_alu instid0(VALU_DEP_4) | instskip(SKIP_1) | instid1(VALU_DEP_4)
	v_dual_mul_f32 v6, v4, v7 :: v_dual_fmac_f32 v11, v7, v2
	v_fmac_f32_e32 v9, v7, v0
	v_lshlrev_b64 v[13:14], 3, v[13:14]
	s_delay_alu instid0(VALU_DEP_4) | instskip(SKIP_2) | instid1(VALU_DEP_4)
	v_dual_fmac_f32 v10, v8, v0 :: v_dual_fmac_f32 v5, v7, v3
	v_fmac_f32_e32 v12, v8, v2
	v_fmac_f32_e32 v6, v8, v3
                                        ; implicit-def: $vgpr7
                                        ; implicit-def: $vgpr8
                                        ; implicit-def: $vgpr2
                                        ; implicit-def: $vgpr3
                                        ; implicit-def: $vgpr4
	v_add_co_u32 v0, vcc_lo, s2, v13
	v_add_co_ci_u32_e32 v1, vcc_lo, s3, v14, vcc_lo
	s_clause 0x1
	global_store_b128 v[0:1], v[9:12], off
	global_store_b64 v[0:1], v[5:6], off offset:16
                                        ; implicit-def: $vgpr9
                                        ; implicit-def: $vgpr10
                                        ; implicit-def: $vgpr1
                                        ; implicit-def: $vgpr0
                                        ; implicit-def: $vgpr6
                                        ; implicit-def: $vgpr5
.LBB77_27:
	s_and_not1_saveexec_b32 s0, s0
	s_cbranch_execz .LBB77_29
; %bb.28:
	v_lshl_add_u32 v11, v1, 1, v1
	v_mul_f32_e64 v15, v6, -v8
	v_mul_f32_e32 v16, v6, v7
	v_mul_f32_e64 v6, v5, -v8
	v_mul_f32_e32 v1, v4, v7
	v_ashrrev_i32_e32 v12, 31, v11
	v_fmac_f32_e32 v15, v7, v0
	s_delay_alu instid0(VALU_DEP_4) | instskip(NEXT) | instid1(VALU_DEP_3)
	v_fmac_f32_e32 v6, v7, v2
	v_lshlrev_b64 v[11:12], 3, v[11:12]
	s_delay_alu instid0(VALU_DEP_1) | instskip(NEXT) | instid1(VALU_DEP_2)
	v_add_co_u32 v19, vcc_lo, s2, v11
	v_add_co_ci_u32_e32 v20, vcc_lo, s3, v12, vcc_lo
	s_clause 0x1
	global_load_b128 v[11:14], v[19:20], off
	global_load_b64 v[21:22], v[19:20], off offset:16
	s_waitcnt vmcnt(1)
	v_dual_fmac_f32 v1, v8, v3 :: v_dual_fmac_f32 v6, v9, v13
	s_waitcnt vmcnt(0)
	s_delay_alu instid0(VALU_DEP_1) | instskip(SKIP_2) | instid1(VALU_DEP_3)
	v_dual_mul_f32 v18, v5, v7 :: v_dual_fmac_f32 v1, v10, v21
	v_mul_f32_e64 v5, v4, -v8
	v_dual_fmac_f32 v16, v8, v0 :: v_dual_fmac_f32 v15, v9, v11
	v_fmac_f32_e32 v18, v8, v2
	v_fma_f32 v17, -v10, v14, v6
	s_delay_alu instid0(VALU_DEP_4) | instskip(NEXT) | instid1(VALU_DEP_4)
	v_fmac_f32_e32 v5, v7, v3
	v_fmac_f32_e32 v16, v10, v11
	v_fma_f32 v15, -v10, v12, v15
	v_dual_fmac_f32 v18, v10, v13 :: v_dual_fmac_f32 v1, v9, v22
	s_delay_alu instid0(VALU_DEP_4) | instskip(NEXT) | instid1(VALU_DEP_4)
	v_fmac_f32_e32 v5, v9, v21
	v_fmac_f32_e32 v16, v9, v12
	s_delay_alu instid0(VALU_DEP_3) | instskip(NEXT) | instid1(VALU_DEP_3)
	v_fmac_f32_e32 v18, v9, v14
	v_fma_f32 v0, -v10, v22, v5
	s_clause 0x1
	global_store_b128 v[19:20], v[15:18], off
	global_store_b64 v[19:20], v[0:1], off offset:16
.LBB77_29:
	s_nop 0
	s_sendmsg sendmsg(MSG_DEALLOC_VGPRS)
	s_endpgm
	.section	.rodata,"a",@progbits
	.p2align	6, 0x0
	.amdhsa_kernel _ZN9rocsparseL19gebsrmvn_3xn_kernelILj128ELj1ELj32E21rocsparse_complex_numIfEEEvi20rocsparse_direction_NS_24const_host_device_scalarIT2_EEPKiS8_PKS5_SA_S6_PS5_21rocsparse_index_base_b
		.amdhsa_group_segment_fixed_size 0
		.amdhsa_private_segment_fixed_size 0
		.amdhsa_kernarg_size 72
		.amdhsa_user_sgpr_count 15
		.amdhsa_user_sgpr_dispatch_ptr 0
		.amdhsa_user_sgpr_queue_ptr 0
		.amdhsa_user_sgpr_kernarg_segment_ptr 1
		.amdhsa_user_sgpr_dispatch_id 0
		.amdhsa_user_sgpr_private_segment_size 0
		.amdhsa_wavefront_size32 1
		.amdhsa_uses_dynamic_stack 0
		.amdhsa_enable_private_segment 0
		.amdhsa_system_sgpr_workgroup_id_x 1
		.amdhsa_system_sgpr_workgroup_id_y 0
		.amdhsa_system_sgpr_workgroup_id_z 0
		.amdhsa_system_sgpr_workgroup_info 0
		.amdhsa_system_vgpr_workitem_id 0
		.amdhsa_next_free_vgpr 27
		.amdhsa_next_free_sgpr 16
		.amdhsa_reserve_vcc 1
		.amdhsa_float_round_mode_32 0
		.amdhsa_float_round_mode_16_64 0
		.amdhsa_float_denorm_mode_32 3
		.amdhsa_float_denorm_mode_16_64 3
		.amdhsa_dx10_clamp 1
		.amdhsa_ieee_mode 1
		.amdhsa_fp16_overflow 0
		.amdhsa_workgroup_processor_mode 1
		.amdhsa_memory_ordered 1
		.amdhsa_forward_progress 0
		.amdhsa_shared_vgpr_count 0
		.amdhsa_exception_fp_ieee_invalid_op 0
		.amdhsa_exception_fp_denorm_src 0
		.amdhsa_exception_fp_ieee_div_zero 0
		.amdhsa_exception_fp_ieee_overflow 0
		.amdhsa_exception_fp_ieee_underflow 0
		.amdhsa_exception_fp_ieee_inexact 0
		.amdhsa_exception_int_div_zero 0
	.end_amdhsa_kernel
	.section	.text._ZN9rocsparseL19gebsrmvn_3xn_kernelILj128ELj1ELj32E21rocsparse_complex_numIfEEEvi20rocsparse_direction_NS_24const_host_device_scalarIT2_EEPKiS8_PKS5_SA_S6_PS5_21rocsparse_index_base_b,"axG",@progbits,_ZN9rocsparseL19gebsrmvn_3xn_kernelILj128ELj1ELj32E21rocsparse_complex_numIfEEEvi20rocsparse_direction_NS_24const_host_device_scalarIT2_EEPKiS8_PKS5_SA_S6_PS5_21rocsparse_index_base_b,comdat
.Lfunc_end77:
	.size	_ZN9rocsparseL19gebsrmvn_3xn_kernelILj128ELj1ELj32E21rocsparse_complex_numIfEEEvi20rocsparse_direction_NS_24const_host_device_scalarIT2_EEPKiS8_PKS5_SA_S6_PS5_21rocsparse_index_base_b, .Lfunc_end77-_ZN9rocsparseL19gebsrmvn_3xn_kernelILj128ELj1ELj32E21rocsparse_complex_numIfEEEvi20rocsparse_direction_NS_24const_host_device_scalarIT2_EEPKiS8_PKS5_SA_S6_PS5_21rocsparse_index_base_b
                                        ; -- End function
	.section	.AMDGPU.csdata,"",@progbits
; Kernel info:
; codeLenInByte = 2164
; NumSgprs: 18
; NumVgprs: 27
; ScratchSize: 0
; MemoryBound: 0
; FloatMode: 240
; IeeeMode: 1
; LDSByteSize: 0 bytes/workgroup (compile time only)
; SGPRBlocks: 2
; VGPRBlocks: 3
; NumSGPRsForWavesPerEU: 18
; NumVGPRsForWavesPerEU: 27
; Occupancy: 16
; WaveLimiterHint : 1
; COMPUTE_PGM_RSRC2:SCRATCH_EN: 0
; COMPUTE_PGM_RSRC2:USER_SGPR: 15
; COMPUTE_PGM_RSRC2:TRAP_HANDLER: 0
; COMPUTE_PGM_RSRC2:TGID_X_EN: 1
; COMPUTE_PGM_RSRC2:TGID_Y_EN: 0
; COMPUTE_PGM_RSRC2:TGID_Z_EN: 0
; COMPUTE_PGM_RSRC2:TIDIG_COMP_CNT: 0
	.section	.text._ZN9rocsparseL19gebsrmvn_3xn_kernelILj128ELj1ELj64E21rocsparse_complex_numIfEEEvi20rocsparse_direction_NS_24const_host_device_scalarIT2_EEPKiS8_PKS5_SA_S6_PS5_21rocsparse_index_base_b,"axG",@progbits,_ZN9rocsparseL19gebsrmvn_3xn_kernelILj128ELj1ELj64E21rocsparse_complex_numIfEEEvi20rocsparse_direction_NS_24const_host_device_scalarIT2_EEPKiS8_PKS5_SA_S6_PS5_21rocsparse_index_base_b,comdat
	.globl	_ZN9rocsparseL19gebsrmvn_3xn_kernelILj128ELj1ELj64E21rocsparse_complex_numIfEEEvi20rocsparse_direction_NS_24const_host_device_scalarIT2_EEPKiS8_PKS5_SA_S6_PS5_21rocsparse_index_base_b ; -- Begin function _ZN9rocsparseL19gebsrmvn_3xn_kernelILj128ELj1ELj64E21rocsparse_complex_numIfEEEvi20rocsparse_direction_NS_24const_host_device_scalarIT2_EEPKiS8_PKS5_SA_S6_PS5_21rocsparse_index_base_b
	.p2align	8
	.type	_ZN9rocsparseL19gebsrmvn_3xn_kernelILj128ELj1ELj64E21rocsparse_complex_numIfEEEvi20rocsparse_direction_NS_24const_host_device_scalarIT2_EEPKiS8_PKS5_SA_S6_PS5_21rocsparse_index_base_b,@function
_ZN9rocsparseL19gebsrmvn_3xn_kernelILj128ELj1ELj64E21rocsparse_complex_numIfEEEvi20rocsparse_direction_NS_24const_host_device_scalarIT2_EEPKiS8_PKS5_SA_S6_PS5_21rocsparse_index_base_b: ; @_ZN9rocsparseL19gebsrmvn_3xn_kernelILj128ELj1ELj64E21rocsparse_complex_numIfEEEvi20rocsparse_direction_NS_24const_host_device_scalarIT2_EEPKiS8_PKS5_SA_S6_PS5_21rocsparse_index_base_b
; %bb.0:
	s_clause 0x2
	s_load_b64 s[12:13], s[0:1], 0x40
	s_load_b64 s[4:5], s[0:1], 0x8
	;; [unrolled: 1-line block ×3, first 2 shown]
	s_waitcnt lgkmcnt(0)
	s_bitcmp1_b32 s13, 0
	v_mov_b32_e32 v7, s4
	s_cselect_b32 s6, -1, 0
	s_delay_alu instid0(SALU_CYCLE_1)
	s_and_b32 vcc_lo, exec_lo, s6
	s_xor_b32 s6, s6, -1
	s_cbranch_vccz .LBB78_15
; %bb.1:
	v_cndmask_b32_e64 v1, 0, 1, s6
	v_mov_b32_e32 v8, s5
	s_and_not1_b32 vcc_lo, exec_lo, s6
	s_cbranch_vccz .LBB78_16
.LBB78_2:
	s_delay_alu instid0(VALU_DEP_2)
	v_cmp_ne_u32_e32 vcc_lo, 1, v1
	v_mov_b32_e32 v9, s2
	s_cbranch_vccz .LBB78_17
.LBB78_3:
	v_cmp_ne_u32_e32 vcc_lo, 1, v1
	v_mov_b32_e32 v10, s3
	s_cbranch_vccnz .LBB78_5
.LBB78_4:
	v_dual_mov_b32 v1, s2 :: v_dual_mov_b32 v2, s3
	flat_load_b32 v10, v[1:2] offset:4
.LBB78_5:
	s_waitcnt vmcnt(0) lgkmcnt(0)
	v_cmp_eq_f32_e32 vcc_lo, 0, v7
	v_cmp_eq_f32_e64 s2, 0, v8
	s_delay_alu instid0(VALU_DEP_1)
	s_and_b32 s4, vcc_lo, s2
	s_mov_b32 s2, -1
	s_and_saveexec_b32 s3, s4
; %bb.6:
	v_cmp_neq_f32_e32 vcc_lo, 1.0, v9
	v_cmp_neq_f32_e64 s2, 0, v10
	s_delay_alu instid0(VALU_DEP_1) | instskip(NEXT) | instid1(SALU_CYCLE_1)
	s_or_b32 s2, vcc_lo, s2
	s_or_not1_b32 s2, s2, exec_lo
; %bb.7:
	s_or_b32 exec_lo, exec_lo, s3
	s_and_saveexec_b32 s3, s2
	s_cbranch_execz .LBB78_29
; %bb.8:
	s_load_b64 s[2:3], s[0:1], 0x0
	v_lshrrev_b32_e32 v1, 6, v0
	s_delay_alu instid0(VALU_DEP_1) | instskip(SKIP_1) | instid1(VALU_DEP_1)
	v_lshl_or_b32 v1, s15, 1, v1
	s_waitcnt lgkmcnt(0)
	v_cmp_gt_i32_e32 vcc_lo, s2, v1
	s_and_b32 exec_lo, exec_lo, vcc_lo
	s_cbranch_execz .LBB78_29
; %bb.9:
	s_load_b256 s[4:11], s[0:1], 0x10
	v_ashrrev_i32_e32 v2, 31, v1
	v_and_b32_e32 v0, 63, v0
	s_cmp_lg_u32 s3, 0
	s_delay_alu instid0(VALU_DEP_2) | instskip(SKIP_1) | instid1(VALU_DEP_1)
	v_lshlrev_b64 v[2:3], 2, v[1:2]
	s_waitcnt lgkmcnt(0)
	v_add_co_u32 v2, vcc_lo, s4, v2
	s_delay_alu instid0(VALU_DEP_2) | instskip(SKIP_4) | instid1(VALU_DEP_2)
	v_add_co_ci_u32_e32 v3, vcc_lo, s5, v3, vcc_lo
	global_load_b64 v[2:3], v[2:3], off
	s_waitcnt vmcnt(0)
	v_subrev_nc_u32_e32 v2, s12, v2
	v_subrev_nc_u32_e32 v17, s12, v3
	v_add_nc_u32_e32 v2, v2, v0
	s_delay_alu instid0(VALU_DEP_1)
	v_cmp_lt_i32_e64 s2, v2, v17
	s_cbranch_scc0 .LBB78_18
; %bb.10:
	v_dual_mov_b32 v11, 0 :: v_dual_mov_b32 v12, 0
	v_dual_mov_b32 v13, 0 :: v_dual_mov_b32 v14, 0
	;; [unrolled: 1-line block ×3, first 2 shown]
	s_mov_b32 s3, 0
	s_and_saveexec_b32 s4, s2
	s_cbranch_execz .LBB78_14
; %bb.11:
	v_dual_mov_b32 v4, 0 :: v_dual_mov_b32 v5, v2
	v_lshl_add_u32 v3, v2, 1, v2
	s_mov_b32 s5, 0
	s_delay_alu instid0(VALU_DEP_2)
	v_mov_b32_e32 v11, v4
	v_mov_b32_e32 v12, v4
	;; [unrolled: 1-line block ×6, first 2 shown]
.LBB78_12:                              ; =>This Inner Loop Header: Depth=1
	v_ashrrev_i32_e32 v6, 31, v5
	v_lshlrev_b64 v[22:23], 3, v[3:4]
	v_dual_mov_b32 v21, v4 :: v_dual_add_nc_u32 v20, 2, v3
	v_mov_b32_e32 v24, v4
	s_delay_alu instid0(VALU_DEP_4) | instskip(NEXT) | instid1(VALU_DEP_3)
	v_lshlrev_b64 v[18:19], 2, v[5:6]
	v_lshlrev_b64 v[20:21], 3, v[20:21]
	s_delay_alu instid0(VALU_DEP_2) | instskip(NEXT) | instid1(VALU_DEP_3)
	v_add_co_u32 v18, vcc_lo, s6, v18
	v_add_co_ci_u32_e32 v19, vcc_lo, s7, v19, vcc_lo
	v_add_co_u32 v22, vcc_lo, s8, v22
	v_add_co_ci_u32_e32 v23, vcc_lo, s9, v23, vcc_lo
	global_load_b32 v6, v[18:19], off
	v_dual_mov_b32 v19, v4 :: v_dual_add_nc_u32 v18, 1, v3
	v_add_nc_u32_e32 v3, 0xc0, v3
	s_delay_alu instid0(VALU_DEP_2) | instskip(NEXT) | instid1(VALU_DEP_1)
	v_lshlrev_b64 v[18:19], 3, v[18:19]
	v_add_co_u32 v18, vcc_lo, s8, v18
	s_delay_alu instid0(VALU_DEP_2)
	v_add_co_ci_u32_e32 v19, vcc_lo, s9, v19, vcc_lo
	v_add_co_u32 v20, vcc_lo, s8, v20
	v_add_co_ci_u32_e32 v21, vcc_lo, s9, v21, vcc_lo
	s_clause 0x2
	global_load_b64 v[25:26], v[22:23], off
	global_load_b64 v[18:19], v[18:19], off
	;; [unrolled: 1-line block ×3, first 2 shown]
	s_waitcnt vmcnt(3)
	v_subrev_nc_u32_e32 v23, s12, v6
	s_delay_alu instid0(VALU_DEP_1) | instskip(NEXT) | instid1(VALU_DEP_1)
	v_lshlrev_b64 v[22:23], 3, v[23:24]
	v_add_co_u32 v22, vcc_lo, s10, v22
	s_delay_alu instid0(VALU_DEP_2)
	v_add_co_ci_u32_e32 v23, vcc_lo, s11, v23, vcc_lo
	global_load_b64 v[22:23], v[22:23], off
	s_waitcnt vmcnt(0)
	v_dual_fmac_f32 v12, v25, v22 :: v_dual_add_nc_u32 v5, 64, v5
	v_fmac_f32_e32 v14, v21, v22
	v_fmac_f32_e32 v11, v26, v22
	;; [unrolled: 1-line block ×3, first 2 shown]
	s_delay_alu instid0(VALU_DEP_4)
	v_cmp_ge_i32_e32 vcc_lo, v5, v17
	v_fma_f32 v12, -v26, v23, v12
	v_fmac_f32_e32 v14, v20, v23
	v_dual_fmac_f32 v16, v19, v22 :: v_dual_fmac_f32 v11, v25, v23
	v_fmac_f32_e32 v13, v20, v22
	v_fma_f32 v15, -v19, v23, v15
	s_or_b32 s5, vcc_lo, s5
	s_delay_alu instid0(VALU_DEP_3) | instskip(NEXT) | instid1(VALU_DEP_3)
	v_fmac_f32_e32 v16, v18, v23
	v_fma_f32 v13, -v21, v23, v13
	s_and_not1_b32 exec_lo, exec_lo, s5
	s_cbranch_execnz .LBB78_12
; %bb.13:
	s_or_b32 exec_lo, exec_lo, s5
.LBB78_14:
	s_delay_alu instid0(SALU_CYCLE_1) | instskip(NEXT) | instid1(SALU_CYCLE_1)
	s_or_b32 exec_lo, exec_lo, s4
	s_and_not1_b32 vcc_lo, exec_lo, s3
	s_cbranch_vccz .LBB78_19
	s_branch .LBB78_24
.LBB78_15:
	v_dual_mov_b32 v1, s4 :: v_dual_mov_b32 v2, s5
	flat_load_b32 v7, v[1:2]
	v_cndmask_b32_e64 v1, 0, 1, s6
	v_mov_b32_e32 v8, s5
	s_and_not1_b32 vcc_lo, exec_lo, s6
	s_cbranch_vccnz .LBB78_2
.LBB78_16:
	v_dual_mov_b32 v2, s4 :: v_dual_mov_b32 v3, s5
	flat_load_b32 v8, v[2:3] offset:4
	v_cmp_ne_u32_e32 vcc_lo, 1, v1
	v_mov_b32_e32 v9, s2
	s_cbranch_vccnz .LBB78_3
.LBB78_17:
	v_dual_mov_b32 v2, s2 :: v_dual_mov_b32 v3, s3
	flat_load_b32 v9, v[2:3]
	v_cmp_ne_u32_e32 vcc_lo, 1, v1
	v_mov_b32_e32 v10, s3
	s_cbranch_vccz .LBB78_4
	s_branch .LBB78_5
.LBB78_18:
                                        ; implicit-def: $vgpr11
                                        ; implicit-def: $vgpr12
                                        ; implicit-def: $vgpr13
                                        ; implicit-def: $vgpr14
                                        ; implicit-def: $vgpr15
                                        ; implicit-def: $vgpr16
.LBB78_19:
	v_dual_mov_b32 v11, 0 :: v_dual_mov_b32 v12, 0
	v_dual_mov_b32 v13, 0 :: v_dual_mov_b32 v14, 0
	;; [unrolled: 1-line block ×3, first 2 shown]
	s_and_saveexec_b32 s3, s2
	s_cbranch_execz .LBB78_23
; %bb.20:
	v_mov_b32_e32 v5, 0
	v_lshl_add_u32 v4, v2, 1, v2
	s_mov_b32 s2, 0
	s_delay_alu instid0(VALU_DEP_2)
	v_mov_b32_e32 v11, v5
	v_mov_b32_e32 v12, v5
	;; [unrolled: 1-line block ×6, first 2 shown]
.LBB78_21:                              ; =>This Inner Loop Header: Depth=1
	v_ashrrev_i32_e32 v3, 31, v2
	v_lshlrev_b64 v[22:23], 3, v[4:5]
	v_dual_mov_b32 v21, v5 :: v_dual_add_nc_u32 v20, 2, v4
	s_delay_alu instid0(VALU_DEP_3) | instskip(NEXT) | instid1(VALU_DEP_2)
	v_lshlrev_b64 v[18:19], 2, v[2:3]
	v_lshlrev_b64 v[20:21], 3, v[20:21]
	s_delay_alu instid0(VALU_DEP_2) | instskip(NEXT) | instid1(VALU_DEP_3)
	v_add_co_u32 v18, vcc_lo, s6, v18
	v_add_co_ci_u32_e32 v19, vcc_lo, s7, v19, vcc_lo
	v_add_co_u32 v22, vcc_lo, s8, v22
	v_add_co_ci_u32_e32 v23, vcc_lo, s9, v23, vcc_lo
	global_load_b32 v3, v[18:19], off
	v_dual_mov_b32 v19, v5 :: v_dual_add_nc_u32 v18, 1, v4
	s_delay_alu instid0(VALU_DEP_1) | instskip(NEXT) | instid1(VALU_DEP_1)
	v_lshlrev_b64 v[18:19], 3, v[18:19]
	v_add_co_u32 v18, vcc_lo, s8, v18
	s_delay_alu instid0(VALU_DEP_2)
	v_add_co_ci_u32_e32 v19, vcc_lo, s9, v19, vcc_lo
	v_add_co_u32 v20, vcc_lo, s8, v20
	v_add_co_ci_u32_e32 v21, vcc_lo, s9, v21, vcc_lo
	s_clause 0x2
	global_load_b64 v[25:26], v[22:23], off
	global_load_b64 v[18:19], v[18:19], off
	global_load_b64 v[20:21], v[20:21], off
	v_mov_b32_e32 v24, v5
	s_waitcnt vmcnt(3)
	v_subrev_nc_u32_e32 v23, s12, v3
	s_delay_alu instid0(VALU_DEP_1) | instskip(NEXT) | instid1(VALU_DEP_1)
	v_lshlrev_b64 v[22:23], 3, v[23:24]
	v_add_co_u32 v22, vcc_lo, s10, v22
	s_delay_alu instid0(VALU_DEP_2)
	v_add_co_ci_u32_e32 v23, vcc_lo, s11, v23, vcc_lo
	global_load_b64 v[22:23], v[22:23], off
	s_waitcnt vmcnt(0)
	v_dual_fmac_f32 v15, v18, v22 :: v_dual_add_nc_u32 v4, 0xc0, v4
	v_fmac_f32_e32 v11, v26, v22
	v_add_nc_u32_e32 v2, 64, v2
	v_fmac_f32_e32 v12, v25, v22
	v_fmac_f32_e32 v16, v19, v22
	;; [unrolled: 1-line block ×5, first 2 shown]
	v_cmp_ge_i32_e32 vcc_lo, v2, v17
	v_fmac_f32_e32 v16, v18, v23
	v_fma_f32 v12, -v26, v23, v12
	v_fma_f32 v15, -v19, v23, v15
	;; [unrolled: 1-line block ×3, first 2 shown]
	v_fmac_f32_e32 v14, v20, v23
	s_or_b32 s2, vcc_lo, s2
	s_delay_alu instid0(SALU_CYCLE_1)
	s_and_not1_b32 exec_lo, exec_lo, s2
	s_cbranch_execnz .LBB78_21
; %bb.22:
	s_or_b32 exec_lo, exec_lo, s2
.LBB78_23:
	s_delay_alu instid0(SALU_CYCLE_1)
	s_or_b32 exec_lo, exec_lo, s3
.LBB78_24:
	v_mbcnt_lo_u32_b32 v2, -1, 0
	s_delay_alu instid0(VALU_DEP_1) | instskip(SKIP_1) | instid1(VALU_DEP_2)
	v_or_b32_e32 v3, 32, v2
	v_xor_b32_e32 v19, 16, v2
	v_cmp_gt_i32_e32 vcc_lo, 32, v3
	v_cndmask_b32_e32 v3, v2, v3, vcc_lo
	s_delay_alu instid0(VALU_DEP_3) | instskip(NEXT) | instid1(VALU_DEP_2)
	v_cmp_gt_i32_e32 vcc_lo, 32, v19
	v_lshlrev_b32_e32 v3, 2, v3
	ds_bpermute_b32 v6, v3, v15
	s_waitcnt lgkmcnt(0)
	v_add_f32_e32 v6, v15, v6
	ds_bpermute_b32 v4, v3, v12
	ds_bpermute_b32 v18, v3, v13
	v_cndmask_b32_e32 v19, v2, v19, vcc_lo
	ds_bpermute_b32 v5, v3, v11
	ds_bpermute_b32 v17, v3, v16
	;; [unrolled: 1-line block ×3, first 2 shown]
	s_waitcnt lgkmcnt(4)
	v_add_f32_e32 v4, v12, v4
	s_waitcnt lgkmcnt(3)
	v_dual_add_f32 v12, v13, v18 :: v_dual_lshlrev_b32 v19, 2, v19
	ds_bpermute_b32 v13, v19, v4
	s_waitcnt lgkmcnt(0)
	v_add_f32_e32 v4, v4, v13
	ds_bpermute_b32 v15, v19, v6
	s_waitcnt lgkmcnt(0)
	v_dual_add_f32 v5, v11, v5 :: v_dual_add_f32 v6, v6, v15
	v_add_f32_e32 v11, v16, v17
	ds_bpermute_b32 v17, v19, v12
	v_add_f32_e32 v3, v14, v3
	ds_bpermute_b32 v14, v19, v5
	ds_bpermute_b32 v16, v19, v11
	s_waitcnt lgkmcnt(2)
	v_add_f32_e32 v12, v12, v17
	ds_bpermute_b32 v18, v19, v3
	v_xor_b32_e32 v19, 8, v2
	s_delay_alu instid0(VALU_DEP_1) | instskip(SKIP_1) | instid1(VALU_DEP_1)
	v_cmp_gt_i32_e32 vcc_lo, 32, v19
	v_cndmask_b32_e32 v19, v2, v19, vcc_lo
	v_lshlrev_b32_e32 v19, 2, v19
	ds_bpermute_b32 v17, v19, v12
	s_waitcnt lgkmcnt(0)
	v_add_f32_e32 v12, v12, v17
	ds_bpermute_b32 v13, v19, v4
	ds_bpermute_b32 v15, v19, v6
	v_add_f32_e32 v3, v3, v18
	ds_bpermute_b32 v18, v19, v3
	s_waitcnt lgkmcnt(2)
	v_dual_add_f32 v4, v4, v13 :: v_dual_add_f32 v5, v5, v14
	s_waitcnt lgkmcnt(1)
	v_dual_add_f32 v6, v6, v15 :: v_dual_add_f32 v11, v11, v16
	ds_bpermute_b32 v14, v19, v5
	ds_bpermute_b32 v16, v19, v11
	v_xor_b32_e32 v19, 4, v2
	s_delay_alu instid0(VALU_DEP_1) | instskip(SKIP_1) | instid1(VALU_DEP_1)
	v_cmp_gt_i32_e32 vcc_lo, 32, v19
	v_cndmask_b32_e32 v19, v2, v19, vcc_lo
	v_lshlrev_b32_e32 v19, 2, v19
	ds_bpermute_b32 v13, v19, v4
	ds_bpermute_b32 v15, v19, v6
	;; [unrolled: 1-line block ×3, first 2 shown]
	s_waitcnt lgkmcnt(2)
	v_dual_add_f32 v4, v4, v13 :: v_dual_add_f32 v5, v5, v14
	s_waitcnt lgkmcnt(1)
	v_dual_add_f32 v6, v6, v15 :: v_dual_add_f32 v11, v11, v16
	ds_bpermute_b32 v14, v19, v5
	ds_bpermute_b32 v16, v19, v11
	s_waitcnt lgkmcnt(1)
	v_dual_add_f32 v5, v5, v14 :: v_dual_add_f32 v14, v12, v17
	v_add_f32_e32 v3, v3, v18
	s_waitcnt lgkmcnt(0)
	v_add_f32_e32 v13, v11, v16
	ds_bpermute_b32 v18, v19, v3
	v_xor_b32_e32 v19, 2, v2
	s_delay_alu instid0(VALU_DEP_1) | instskip(SKIP_1) | instid1(VALU_DEP_1)
	v_cmp_gt_i32_e32 vcc_lo, 32, v19
	v_cndmask_b32_e32 v19, v2, v19, vcc_lo
	v_lshlrev_b32_e32 v19, 2, v19
	s_waitcnt lgkmcnt(0)
	v_add_f32_e32 v15, v3, v18
	ds_bpermute_b32 v3, v19, v4
	ds_bpermute_b32 v11, v19, v5
	;; [unrolled: 1-line block ×6, first 2 shown]
	v_xor_b32_e32 v19, 1, v2
	s_delay_alu instid0(VALU_DEP_1) | instskip(SKIP_3) | instid1(VALU_DEP_2)
	v_cmp_gt_i32_e32 vcc_lo, 32, v19
	v_cndmask_b32_e32 v2, v2, v19, vcc_lo
	v_cmp_eq_u32_e32 vcc_lo, 63, v0
	s_waitcnt lgkmcnt(5)
	v_dual_add_f32 v2, v4, v3 :: v_dual_lshlrev_b32 v19, 2, v2
	s_waitcnt lgkmcnt(4)
	v_add_f32_e32 v5, v5, v11
	s_waitcnt lgkmcnt(3)
	v_add_f32_e32 v11, v6, v12
	s_waitcnt lgkmcnt(1)
	v_dual_add_f32 v12, v13, v16 :: v_dual_add_f32 v3, v14, v17
	s_waitcnt lgkmcnt(0)
	v_add_f32_e32 v4, v15, v18
	ds_bpermute_b32 v6, v19, v2
	ds_bpermute_b32 v15, v19, v5
	;; [unrolled: 1-line block ×6, first 2 shown]
	s_and_b32 exec_lo, exec_lo, vcc_lo
	s_cbranch_execz .LBB78_29
; %bb.25:
	s_load_b64 s[2:3], s[0:1], 0x38
	v_cmp_eq_f32_e32 vcc_lo, 0, v9
	v_cmp_eq_f32_e64 s0, 0, v10
	s_waitcnt lgkmcnt(0)
	v_add_f32_e32 v0, v2, v6
	v_dual_add_f32 v6, v5, v15 :: v_dual_add_f32 v3, v3, v13
	v_dual_add_f32 v2, v11, v16 :: v_dual_add_f32 v5, v12, v17
	v_add_f32_e32 v4, v4, v14
	s_and_b32 s0, vcc_lo, s0
	s_delay_alu instid0(SALU_CYCLE_1) | instskip(NEXT) | instid1(SALU_CYCLE_1)
	s_and_saveexec_b32 s1, s0
	s_xor_b32 s0, exec_lo, s1
	s_cbranch_execz .LBB78_27
; %bb.26:
	v_lshl_add_u32 v13, v1, 1, v1
	v_mul_f32_e64 v9, v6, -v8
	v_mul_f32_e32 v10, v6, v7
	v_mul_f32_e64 v11, v5, -v8
	v_mul_f32_e32 v12, v5, v7
	v_ashrrev_i32_e32 v14, 31, v13
	v_mul_f32_e64 v5, v4, -v8
	s_delay_alu instid0(VALU_DEP_4) | instskip(SKIP_1) | instid1(VALU_DEP_4)
	v_dual_mul_f32 v6, v4, v7 :: v_dual_fmac_f32 v11, v7, v2
	v_fmac_f32_e32 v9, v7, v0
	v_lshlrev_b64 v[13:14], 3, v[13:14]
	s_delay_alu instid0(VALU_DEP_4) | instskip(SKIP_2) | instid1(VALU_DEP_4)
	v_dual_fmac_f32 v10, v8, v0 :: v_dual_fmac_f32 v5, v7, v3
	v_fmac_f32_e32 v12, v8, v2
	v_fmac_f32_e32 v6, v8, v3
                                        ; implicit-def: $vgpr7
                                        ; implicit-def: $vgpr8
                                        ; implicit-def: $vgpr2
                                        ; implicit-def: $vgpr3
                                        ; implicit-def: $vgpr4
	v_add_co_u32 v0, vcc_lo, s2, v13
	v_add_co_ci_u32_e32 v1, vcc_lo, s3, v14, vcc_lo
	s_clause 0x1
	global_store_b128 v[0:1], v[9:12], off
	global_store_b64 v[0:1], v[5:6], off offset:16
                                        ; implicit-def: $vgpr9
                                        ; implicit-def: $vgpr10
                                        ; implicit-def: $vgpr1
                                        ; implicit-def: $vgpr0
                                        ; implicit-def: $vgpr6
                                        ; implicit-def: $vgpr5
.LBB78_27:
	s_and_not1_saveexec_b32 s0, s0
	s_cbranch_execz .LBB78_29
; %bb.28:
	v_lshl_add_u32 v11, v1, 1, v1
	v_mul_f32_e64 v15, v6, -v8
	v_mul_f32_e32 v16, v6, v7
	v_mul_f32_e64 v6, v5, -v8
	v_mul_f32_e32 v1, v4, v7
	v_ashrrev_i32_e32 v12, 31, v11
	v_fmac_f32_e32 v15, v7, v0
	s_delay_alu instid0(VALU_DEP_4) | instskip(NEXT) | instid1(VALU_DEP_3)
	v_fmac_f32_e32 v6, v7, v2
	v_lshlrev_b64 v[11:12], 3, v[11:12]
	s_delay_alu instid0(VALU_DEP_1) | instskip(NEXT) | instid1(VALU_DEP_2)
	v_add_co_u32 v19, vcc_lo, s2, v11
	v_add_co_ci_u32_e32 v20, vcc_lo, s3, v12, vcc_lo
	s_clause 0x1
	global_load_b128 v[11:14], v[19:20], off
	global_load_b64 v[21:22], v[19:20], off offset:16
	s_waitcnt vmcnt(1)
	v_dual_fmac_f32 v1, v8, v3 :: v_dual_fmac_f32 v6, v9, v13
	s_waitcnt vmcnt(0)
	s_delay_alu instid0(VALU_DEP_1) | instskip(SKIP_2) | instid1(VALU_DEP_3)
	v_dual_mul_f32 v18, v5, v7 :: v_dual_fmac_f32 v1, v10, v21
	v_mul_f32_e64 v5, v4, -v8
	v_dual_fmac_f32 v16, v8, v0 :: v_dual_fmac_f32 v15, v9, v11
	v_fmac_f32_e32 v18, v8, v2
	v_fma_f32 v17, -v10, v14, v6
	s_delay_alu instid0(VALU_DEP_4) | instskip(NEXT) | instid1(VALU_DEP_4)
	v_fmac_f32_e32 v5, v7, v3
	v_fmac_f32_e32 v16, v10, v11
	v_fma_f32 v15, -v10, v12, v15
	v_dual_fmac_f32 v18, v10, v13 :: v_dual_fmac_f32 v1, v9, v22
	s_delay_alu instid0(VALU_DEP_4) | instskip(NEXT) | instid1(VALU_DEP_4)
	v_fmac_f32_e32 v5, v9, v21
	v_fmac_f32_e32 v16, v9, v12
	s_delay_alu instid0(VALU_DEP_3) | instskip(NEXT) | instid1(VALU_DEP_3)
	v_fmac_f32_e32 v18, v9, v14
	v_fma_f32 v0, -v10, v22, v5
	s_clause 0x1
	global_store_b128 v[19:20], v[15:18], off
	global_store_b64 v[19:20], v[0:1], off offset:16
.LBB78_29:
	s_nop 0
	s_sendmsg sendmsg(MSG_DEALLOC_VGPRS)
	s_endpgm
	.section	.rodata,"a",@progbits
	.p2align	6, 0x0
	.amdhsa_kernel _ZN9rocsparseL19gebsrmvn_3xn_kernelILj128ELj1ELj64E21rocsparse_complex_numIfEEEvi20rocsparse_direction_NS_24const_host_device_scalarIT2_EEPKiS8_PKS5_SA_S6_PS5_21rocsparse_index_base_b
		.amdhsa_group_segment_fixed_size 0
		.amdhsa_private_segment_fixed_size 0
		.amdhsa_kernarg_size 72
		.amdhsa_user_sgpr_count 15
		.amdhsa_user_sgpr_dispatch_ptr 0
		.amdhsa_user_sgpr_queue_ptr 0
		.amdhsa_user_sgpr_kernarg_segment_ptr 1
		.amdhsa_user_sgpr_dispatch_id 0
		.amdhsa_user_sgpr_private_segment_size 0
		.amdhsa_wavefront_size32 1
		.amdhsa_uses_dynamic_stack 0
		.amdhsa_enable_private_segment 0
		.amdhsa_system_sgpr_workgroup_id_x 1
		.amdhsa_system_sgpr_workgroup_id_y 0
		.amdhsa_system_sgpr_workgroup_id_z 0
		.amdhsa_system_sgpr_workgroup_info 0
		.amdhsa_system_vgpr_workitem_id 0
		.amdhsa_next_free_vgpr 27
		.amdhsa_next_free_sgpr 16
		.amdhsa_reserve_vcc 1
		.amdhsa_float_round_mode_32 0
		.amdhsa_float_round_mode_16_64 0
		.amdhsa_float_denorm_mode_32 3
		.amdhsa_float_denorm_mode_16_64 3
		.amdhsa_dx10_clamp 1
		.amdhsa_ieee_mode 1
		.amdhsa_fp16_overflow 0
		.amdhsa_workgroup_processor_mode 1
		.amdhsa_memory_ordered 1
		.amdhsa_forward_progress 0
		.amdhsa_shared_vgpr_count 0
		.amdhsa_exception_fp_ieee_invalid_op 0
		.amdhsa_exception_fp_denorm_src 0
		.amdhsa_exception_fp_ieee_div_zero 0
		.amdhsa_exception_fp_ieee_overflow 0
		.amdhsa_exception_fp_ieee_underflow 0
		.amdhsa_exception_fp_ieee_inexact 0
		.amdhsa_exception_int_div_zero 0
	.end_amdhsa_kernel
	.section	.text._ZN9rocsparseL19gebsrmvn_3xn_kernelILj128ELj1ELj64E21rocsparse_complex_numIfEEEvi20rocsparse_direction_NS_24const_host_device_scalarIT2_EEPKiS8_PKS5_SA_S6_PS5_21rocsparse_index_base_b,"axG",@progbits,_ZN9rocsparseL19gebsrmvn_3xn_kernelILj128ELj1ELj64E21rocsparse_complex_numIfEEEvi20rocsparse_direction_NS_24const_host_device_scalarIT2_EEPKiS8_PKS5_SA_S6_PS5_21rocsparse_index_base_b,comdat
.Lfunc_end78:
	.size	_ZN9rocsparseL19gebsrmvn_3xn_kernelILj128ELj1ELj64E21rocsparse_complex_numIfEEEvi20rocsparse_direction_NS_24const_host_device_scalarIT2_EEPKiS8_PKS5_SA_S6_PS5_21rocsparse_index_base_b, .Lfunc_end78-_ZN9rocsparseL19gebsrmvn_3xn_kernelILj128ELj1ELj64E21rocsparse_complex_numIfEEEvi20rocsparse_direction_NS_24const_host_device_scalarIT2_EEPKiS8_PKS5_SA_S6_PS5_21rocsparse_index_base_b
                                        ; -- End function
	.section	.AMDGPU.csdata,"",@progbits
; Kernel info:
; codeLenInByte = 2268
; NumSgprs: 18
; NumVgprs: 27
; ScratchSize: 0
; MemoryBound: 0
; FloatMode: 240
; IeeeMode: 1
; LDSByteSize: 0 bytes/workgroup (compile time only)
; SGPRBlocks: 2
; VGPRBlocks: 3
; NumSGPRsForWavesPerEU: 18
; NumVGPRsForWavesPerEU: 27
; Occupancy: 16
; WaveLimiterHint : 1
; COMPUTE_PGM_RSRC2:SCRATCH_EN: 0
; COMPUTE_PGM_RSRC2:USER_SGPR: 15
; COMPUTE_PGM_RSRC2:TRAP_HANDLER: 0
; COMPUTE_PGM_RSRC2:TGID_X_EN: 1
; COMPUTE_PGM_RSRC2:TGID_Y_EN: 0
; COMPUTE_PGM_RSRC2:TGID_Z_EN: 0
; COMPUTE_PGM_RSRC2:TIDIG_COMP_CNT: 0
	.section	.text._ZN9rocsparseL19gebsrmvn_3xn_kernelILj128ELj2ELj4E21rocsparse_complex_numIfEEEvi20rocsparse_direction_NS_24const_host_device_scalarIT2_EEPKiS8_PKS5_SA_S6_PS5_21rocsparse_index_base_b,"axG",@progbits,_ZN9rocsparseL19gebsrmvn_3xn_kernelILj128ELj2ELj4E21rocsparse_complex_numIfEEEvi20rocsparse_direction_NS_24const_host_device_scalarIT2_EEPKiS8_PKS5_SA_S6_PS5_21rocsparse_index_base_b,comdat
	.globl	_ZN9rocsparseL19gebsrmvn_3xn_kernelILj128ELj2ELj4E21rocsparse_complex_numIfEEEvi20rocsparse_direction_NS_24const_host_device_scalarIT2_EEPKiS8_PKS5_SA_S6_PS5_21rocsparse_index_base_b ; -- Begin function _ZN9rocsparseL19gebsrmvn_3xn_kernelILj128ELj2ELj4E21rocsparse_complex_numIfEEEvi20rocsparse_direction_NS_24const_host_device_scalarIT2_EEPKiS8_PKS5_SA_S6_PS5_21rocsparse_index_base_b
	.p2align	8
	.type	_ZN9rocsparseL19gebsrmvn_3xn_kernelILj128ELj2ELj4E21rocsparse_complex_numIfEEEvi20rocsparse_direction_NS_24const_host_device_scalarIT2_EEPKiS8_PKS5_SA_S6_PS5_21rocsparse_index_base_b,@function
_ZN9rocsparseL19gebsrmvn_3xn_kernelILj128ELj2ELj4E21rocsparse_complex_numIfEEEvi20rocsparse_direction_NS_24const_host_device_scalarIT2_EEPKiS8_PKS5_SA_S6_PS5_21rocsparse_index_base_b: ; @_ZN9rocsparseL19gebsrmvn_3xn_kernelILj128ELj2ELj4E21rocsparse_complex_numIfEEEvi20rocsparse_direction_NS_24const_host_device_scalarIT2_EEPKiS8_PKS5_SA_S6_PS5_21rocsparse_index_base_b
; %bb.0:
	s_clause 0x2
	s_load_b64 s[12:13], s[0:1], 0x40
	s_load_b64 s[4:5], s[0:1], 0x8
	;; [unrolled: 1-line block ×3, first 2 shown]
	s_waitcnt lgkmcnt(0)
	s_bitcmp1_b32 s13, 0
	v_mov_b32_e32 v9, s4
	s_cselect_b32 s6, -1, 0
	s_delay_alu instid0(SALU_CYCLE_1)
	s_and_b32 vcc_lo, exec_lo, s6
	s_xor_b32 s6, s6, -1
	s_cbranch_vccz .LBB79_15
; %bb.1:
	v_cndmask_b32_e64 v1, 0, 1, s6
	v_mov_b32_e32 v10, s5
	s_and_not1_b32 vcc_lo, exec_lo, s6
	s_cbranch_vccz .LBB79_16
.LBB79_2:
	s_delay_alu instid0(VALU_DEP_2)
	v_cmp_ne_u32_e32 vcc_lo, 1, v1
	v_mov_b32_e32 v11, s2
	s_cbranch_vccz .LBB79_17
.LBB79_3:
	v_cmp_ne_u32_e32 vcc_lo, 1, v1
	v_mov_b32_e32 v12, s3
	s_cbranch_vccnz .LBB79_5
.LBB79_4:
	v_dual_mov_b32 v1, s2 :: v_dual_mov_b32 v2, s3
	flat_load_b32 v12, v[1:2] offset:4
.LBB79_5:
	s_waitcnt vmcnt(0) lgkmcnt(0)
	v_cmp_eq_f32_e32 vcc_lo, 0, v9
	v_cmp_eq_f32_e64 s2, 0, v10
	s_delay_alu instid0(VALU_DEP_1)
	s_and_b32 s4, vcc_lo, s2
	s_mov_b32 s2, -1
	s_and_saveexec_b32 s3, s4
; %bb.6:
	v_cmp_neq_f32_e32 vcc_lo, 1.0, v11
	v_cmp_neq_f32_e64 s2, 0, v12
	s_delay_alu instid0(VALU_DEP_1) | instskip(NEXT) | instid1(SALU_CYCLE_1)
	s_or_b32 s2, vcc_lo, s2
	s_or_not1_b32 s2, s2, exec_lo
; %bb.7:
	s_or_b32 exec_lo, exec_lo, s3
	s_and_saveexec_b32 s3, s2
	s_cbranch_execz .LBB79_29
; %bb.8:
	s_load_b64 s[2:3], s[0:1], 0x0
	v_lshrrev_b32_e32 v1, 2, v0
	s_delay_alu instid0(VALU_DEP_1) | instskip(SKIP_1) | instid1(VALU_DEP_1)
	v_lshl_or_b32 v1, s15, 5, v1
	s_waitcnt lgkmcnt(0)
	v_cmp_gt_i32_e32 vcc_lo, s2, v1
	s_and_b32 exec_lo, exec_lo, vcc_lo
	s_cbranch_execz .LBB79_29
; %bb.9:
	s_load_b256 s[4:11], s[0:1], 0x10
	v_ashrrev_i32_e32 v2, 31, v1
	v_and_b32_e32 v0, 3, v0
	s_cmp_lg_u32 s3, 0
	s_delay_alu instid0(VALU_DEP_2) | instskip(SKIP_1) | instid1(VALU_DEP_1)
	v_lshlrev_b64 v[2:3], 2, v[1:2]
	s_waitcnt lgkmcnt(0)
	v_add_co_u32 v2, vcc_lo, s4, v2
	s_delay_alu instid0(VALU_DEP_2) | instskip(SKIP_4) | instid1(VALU_DEP_2)
	v_add_co_ci_u32_e32 v3, vcc_lo, s5, v3, vcc_lo
	global_load_b64 v[2:3], v[2:3], off
	s_waitcnt vmcnt(0)
	v_subrev_nc_u32_e32 v2, s12, v2
	v_subrev_nc_u32_e32 v18, s12, v3
	v_add_nc_u32_e32 v2, v2, v0
	s_delay_alu instid0(VALU_DEP_1)
	v_cmp_lt_i32_e64 s2, v2, v18
	s_cbranch_scc0 .LBB79_18
; %bb.10:
	v_dual_mov_b32 v13, 0 :: v_dual_mov_b32 v16, 0
	v_dual_mov_b32 v17, 0 :: v_dual_mov_b32 v14, 0
	v_mov_b32_e32 v19, 0
	v_mov_b32_e32 v15, 0
	s_mov_b32 s4, 0
	s_and_saveexec_b32 s5, s2
	s_cbranch_execz .LBB79_14
; %bb.11:
	v_mad_u64_u32 v[3:4], null, v2, 6, 5
	v_dual_mov_b32 v6, 0 :: v_dual_mov_b32 v7, v2
	v_dual_mov_b32 v13, 0 :: v_dual_mov_b32 v16, 0
	;; [unrolled: 1-line block ×3, first 2 shown]
	v_mov_b32_e32 v19, 0
	v_mov_b32_e32 v15, 0
	s_mov_b32 s13, 0
.LBB79_12:                              ; =>This Inner Loop Header: Depth=1
	v_ashrrev_i32_e32 v8, 31, v7
	s_delay_alu instid0(VALU_DEP_1) | instskip(NEXT) | instid1(VALU_DEP_1)
	v_lshlrev_b64 v[4:5], 2, v[7:8]
	v_add_co_u32 v4, vcc_lo, s6, v4
	s_delay_alu instid0(VALU_DEP_2) | instskip(SKIP_2) | instid1(VALU_DEP_1)
	v_add_co_ci_u32_e32 v5, vcc_lo, s7, v5, vcc_lo
	global_load_b32 v8, v[4:5], off
	v_dual_mov_b32 v4, v6 :: v_dual_add_nc_u32 v5, -5, v3
	v_lshlrev_b64 v[20:21], 3, v[5:6]
	s_delay_alu instid0(VALU_DEP_2) | instskip(NEXT) | instid1(VALU_DEP_2)
	v_lshlrev_b64 v[22:23], 3, v[3:4]
	v_add_co_u32 v20, vcc_lo, s8, v20
	s_delay_alu instid0(VALU_DEP_3) | instskip(NEXT) | instid1(VALU_DEP_3)
	v_add_co_ci_u32_e32 v21, vcc_lo, s9, v21, vcc_lo
	v_add_co_u32 v28, vcc_lo, s8, v22
	s_delay_alu instid0(VALU_DEP_4) | instskip(SKIP_2) | instid1(VALU_DEP_1)
	v_add_co_ci_u32_e32 v29, vcc_lo, s9, v23, vcc_lo
	global_load_b128 v[20:23], v[20:21], off
	v_add_nc_u32_e32 v5, -3, v3
	v_lshlrev_b64 v[26:27], 3, v[5:6]
	s_delay_alu instid0(VALU_DEP_1) | instskip(NEXT) | instid1(VALU_DEP_2)
	v_add_co_u32 v26, vcc_lo, s8, v26
	v_add_co_ci_u32_e32 v27, vcc_lo, s9, v27, vcc_lo
	global_load_b64 v[32:33], v[26:27], off
	s_waitcnt vmcnt(2)
	v_subrev_nc_u32_e32 v8, s12, v8
	s_delay_alu instid0(VALU_DEP_1) | instskip(NEXT) | instid1(VALU_DEP_1)
	v_dual_mov_b32 v25, v6 :: v_dual_lshlrev_b32 v24, 1, v8
	v_lshlrev_b64 v[24:25], 3, v[24:25]
	s_delay_alu instid0(VALU_DEP_1) | instskip(NEXT) | instid1(VALU_DEP_1)
	v_add_co_u32 v24, s3, s10, v24
	v_add_co_ci_u32_e64 v25, s3, s11, v25, s3
	global_load_b128 v[24:27], v[24:25], off
	s_waitcnt vmcnt(0)
	v_dual_fmac_f32 v14, v33, v24 :: v_dual_add_nc_u32 v5, -2, v3
	s_delay_alu instid0(VALU_DEP_1) | instskip(SKIP_1) | instid1(VALU_DEP_3)
	v_lshlrev_b64 v[30:31], 3, v[5:6]
	v_dual_fmac_f32 v16, v20, v24 :: v_dual_add_nc_u32 v5, -1, v3
	v_dual_fmac_f32 v19, v22, v24 :: v_dual_fmac_f32 v14, v32, v25
	v_fmac_f32_e32 v15, v23, v24
	s_delay_alu instid0(VALU_DEP_3) | instskip(SKIP_3) | instid1(VALU_DEP_4)
	v_lshlrev_b64 v[4:5], 3, v[5:6]
	v_add_co_u32 v30, vcc_lo, s8, v30
	v_add_co_ci_u32_e32 v31, vcc_lo, s9, v31, vcc_lo
	v_fmac_f32_e32 v17, v32, v24
	v_add_co_u32 v4, vcc_lo, s8, v4
	v_add_co_ci_u32_e32 v5, vcc_lo, s9, v5, vcc_lo
	s_clause 0x2
	global_load_b64 v[30:31], v[30:31], off
	global_load_b64 v[4:5], v[4:5], off
	;; [unrolled: 1-line block ×3, first 2 shown]
	v_add_nc_u32_e32 v3, 24, v3
	v_fma_f32 v8, -v21, v25, v16
	v_fma_f32 v19, -v23, v25, v19
	v_fmac_f32_e32 v15, v22, v25
	v_fma_f32 v17, -v33, v25, v17
	s_waitcnt vmcnt(2)
	v_dual_fmac_f32 v8, v30, v26 :: v_dual_add_nc_u32 v7, 4, v7
	s_waitcnt vmcnt(1)
	v_fmac_f32_e32 v19, v4, v26
	s_waitcnt vmcnt(0)
	v_fmac_f32_e32 v14, v29, v26
	v_fmac_f32_e32 v13, v21, v24
	;; [unrolled: 1-line block ×4, first 2 shown]
	v_cmp_ge_i32_e32 vcc_lo, v7, v18
	v_fmac_f32_e32 v14, v28, v27
	v_fmac_f32_e32 v13, v20, v25
	v_fma_f32 v16, -v31, v27, v8
	v_fma_f32 v19, -v5, v27, v19
	v_fmac_f32_e32 v15, v4, v27
	v_fma_f32 v17, -v29, v27, v17
	v_fmac_f32_e32 v13, v31, v26
	s_or_b32 s13, vcc_lo, s13
	s_delay_alu instid0(VALU_DEP_1)
	v_fmac_f32_e32 v13, v30, v27
	s_and_not1_b32 exec_lo, exec_lo, s13
	s_cbranch_execnz .LBB79_12
; %bb.13:
	s_or_b32 exec_lo, exec_lo, s13
.LBB79_14:
	s_delay_alu instid0(SALU_CYCLE_1) | instskip(NEXT) | instid1(SALU_CYCLE_1)
	s_or_b32 exec_lo, exec_lo, s5
	s_and_not1_b32 vcc_lo, exec_lo, s4
	s_cbranch_vccz .LBB79_19
	s_branch .LBB79_24
.LBB79_15:
	v_dual_mov_b32 v1, s4 :: v_dual_mov_b32 v2, s5
	flat_load_b32 v9, v[1:2]
	v_cndmask_b32_e64 v1, 0, 1, s6
	v_mov_b32_e32 v10, s5
	s_and_not1_b32 vcc_lo, exec_lo, s6
	s_cbranch_vccnz .LBB79_2
.LBB79_16:
	v_dual_mov_b32 v2, s4 :: v_dual_mov_b32 v3, s5
	flat_load_b32 v10, v[2:3] offset:4
	v_cmp_ne_u32_e32 vcc_lo, 1, v1
	v_mov_b32_e32 v11, s2
	s_cbranch_vccnz .LBB79_3
.LBB79_17:
	v_dual_mov_b32 v2, s2 :: v_dual_mov_b32 v3, s3
	flat_load_b32 v11, v[2:3]
	v_cmp_ne_u32_e32 vcc_lo, 1, v1
	v_mov_b32_e32 v12, s3
	s_cbranch_vccz .LBB79_4
	s_branch .LBB79_5
.LBB79_18:
                                        ; implicit-def: $vgpr13
                                        ; implicit-def: $vgpr16
                                        ; implicit-def: $vgpr17
                                        ; implicit-def: $vgpr14
                                        ; implicit-def: $vgpr19
                                        ; implicit-def: $vgpr15
.LBB79_19:
	v_dual_mov_b32 v13, 0 :: v_dual_mov_b32 v16, 0
	v_dual_mov_b32 v17, 0 :: v_dual_mov_b32 v14, 0
	v_mov_b32_e32 v19, 0
	v_mov_b32_e32 v15, 0
	s_and_saveexec_b32 s3, s2
	s_cbranch_execz .LBB79_23
; %bb.20:
	v_mad_u64_u32 v[4:5], null, v2, 6, 5
	v_dual_mov_b32 v7, 0 :: v_dual_mov_b32 v16, 0
	v_dual_mov_b32 v13, 0 :: v_dual_mov_b32 v14, 0
	v_mov_b32_e32 v17, 0
	v_mov_b32_e32 v19, 0
	;; [unrolled: 1-line block ×3, first 2 shown]
	s_mov_b32 s4, 0
.LBB79_21:                              ; =>This Inner Loop Header: Depth=1
	v_ashrrev_i32_e32 v3, 31, v2
	v_dual_mov_b32 v21, v7 :: v_dual_add_nc_u32 v20, -3, v4
	v_dual_mov_b32 v23, v7 :: v_dual_add_nc_u32 v22, -1, v4
	s_delay_alu instid0(VALU_DEP_3) | instskip(SKIP_1) | instid1(VALU_DEP_4)
	v_lshlrev_b64 v[5:6], 2, v[2:3]
	v_mov_b32_e32 v25, v7
	v_lshlrev_b64 v[20:21], 3, v[20:21]
	s_delay_alu instid0(VALU_DEP_4) | instskip(NEXT) | instid1(VALU_DEP_4)
	v_lshlrev_b64 v[22:23], 3, v[22:23]
	v_add_co_u32 v5, vcc_lo, s6, v5
	v_add_co_ci_u32_e32 v6, vcc_lo, s7, v6, vcc_lo
	global_load_b32 v3, v[5:6], off
	v_dual_mov_b32 v5, v7 :: v_dual_add_nc_u32 v6, -5, v4
	s_delay_alu instid0(VALU_DEP_1) | instskip(SKIP_1) | instid1(VALU_DEP_3)
	v_lshlrev_b64 v[26:27], 3, v[6:7]
	v_add_nc_u32_e32 v6, -2, v4
	v_lshlrev_b64 v[28:29], 3, v[4:5]
	s_delay_alu instid0(VALU_DEP_2) | instskip(NEXT) | instid1(VALU_DEP_4)
	v_lshlrev_b64 v[5:6], 3, v[6:7]
	v_add_co_u32 v26, vcc_lo, s8, v26
	v_add_co_ci_u32_e32 v27, vcc_lo, s9, v27, vcc_lo
	v_add_co_u32 v30, vcc_lo, s8, v20
	v_add_co_ci_u32_e32 v31, vcc_lo, s9, v21, vcc_lo
	;; [unrolled: 2-line block ×3, first 2 shown]
	s_clause 0x2
	global_load_b128 v[20:23], v[26:27], off
	global_load_b64 v[30:31], v[30:31], off
	global_load_b64 v[32:33], v[32:33], off
	v_add_co_u32 v28, vcc_lo, s8, v28
	v_add_co_ci_u32_e32 v29, vcc_lo, s9, v29, vcc_lo
	v_add_co_u32 v5, vcc_lo, s8, v5
	v_add_co_ci_u32_e32 v6, vcc_lo, s9, v6, vcc_lo
	s_waitcnt vmcnt(3)
	v_subrev_nc_u32_e32 v3, s12, v3
	s_delay_alu instid0(VALU_DEP_1) | instskip(NEXT) | instid1(VALU_DEP_1)
	v_lshlrev_b32_e32 v24, 1, v3
	v_lshlrev_b64 v[24:25], 3, v[24:25]
	s_delay_alu instid0(VALU_DEP_1) | instskip(NEXT) | instid1(VALU_DEP_1)
	v_add_co_u32 v24, s2, s10, v24
	v_add_co_ci_u32_e64 v25, s2, s11, v25, s2
	global_load_b128 v[24:27], v[24:25], off
	s_clause 0x1
	global_load_b64 v[5:6], v[5:6], off
	global_load_b64 v[28:29], v[28:29], off
	s_waitcnt vmcnt(2)
	v_dual_fmac_f32 v13, v21, v24 :: v_dual_add_nc_u32 v2, 4, v2
	v_fmac_f32_e32 v16, v20, v24
	s_delay_alu instid0(VALU_DEP_2) | instskip(NEXT) | instid1(VALU_DEP_3)
	v_cmp_ge_i32_e32 vcc_lo, v2, v18
	v_dual_fmac_f32 v13, v20, v25 :: v_dual_fmac_f32 v14, v33, v24
	s_delay_alu instid0(VALU_DEP_3) | instskip(SKIP_1) | instid1(VALU_DEP_2)
	v_fma_f32 v3, -v21, v25, v16
	s_or_b32 s4, vcc_lo, s4
	v_fmac_f32_e32 v13, v23, v26
	s_delay_alu instid0(VALU_DEP_3) | instskip(SKIP_2) | instid1(VALU_DEP_4)
	v_dual_fmac_f32 v19, v30, v24 :: v_dual_fmac_f32 v14, v32, v25
	v_fmac_f32_e32 v17, v32, v24
	v_fmac_f32_e32 v3, v22, v26
	v_fmac_f32_e32 v13, v22, v27
	s_delay_alu instid0(VALU_DEP_4)
	v_fma_f32 v8, -v31, v25, v19
	s_waitcnt vmcnt(0)
	v_dual_fmac_f32 v14, v29, v26 :: v_dual_fmac_f32 v15, v31, v24
	v_fma_f32 v17, -v33, v25, v17
	v_fma_f32 v16, -v23, v27, v3
	v_fmac_f32_e32 v8, v5, v26
	s_delay_alu instid0(VALU_DEP_4) | instskip(NEXT) | instid1(VALU_DEP_4)
	v_dual_fmac_f32 v15, v30, v25 :: v_dual_add_nc_u32 v4, 24, v4
	v_fmac_f32_e32 v17, v28, v26
	v_fmac_f32_e32 v14, v28, v27
	s_delay_alu instid0(VALU_DEP_4) | instskip(NEXT) | instid1(VALU_DEP_4)
	v_fma_f32 v19, -v6, v27, v8
	v_fmac_f32_e32 v15, v6, v26
	s_delay_alu instid0(VALU_DEP_4) | instskip(NEXT) | instid1(VALU_DEP_2)
	v_fma_f32 v17, -v29, v27, v17
	v_fmac_f32_e32 v15, v5, v27
	s_and_not1_b32 exec_lo, exec_lo, s4
	s_cbranch_execnz .LBB79_21
; %bb.22:
	s_or_b32 exec_lo, exec_lo, s4
.LBB79_23:
	s_delay_alu instid0(SALU_CYCLE_1)
	s_or_b32 exec_lo, exec_lo, s3
.LBB79_24:
	v_mbcnt_lo_u32_b32 v2, -1, 0
	s_delay_alu instid0(VALU_DEP_1) | instskip(NEXT) | instid1(VALU_DEP_1)
	v_xor_b32_e32 v3, 2, v2
	v_cmp_gt_i32_e32 vcc_lo, 32, v3
	v_cndmask_b32_e32 v3, v2, v3, vcc_lo
	s_delay_alu instid0(VALU_DEP_1)
	v_lshlrev_b32_e32 v3, 2, v3
	ds_bpermute_b32 v8, v3, v15
	s_waitcnt lgkmcnt(0)
	v_add_f32_e32 v8, v15, v8
	ds_bpermute_b32 v4, v3, v16
	ds_bpermute_b32 v5, v3, v13
	;; [unrolled: 1-line block ×5, first 2 shown]
	v_xor_b32_e32 v3, 1, v2
	s_delay_alu instid0(VALU_DEP_1) | instskip(SKIP_4) | instid1(VALU_DEP_3)
	v_cmp_gt_i32_e32 vcc_lo, 32, v3
	v_cndmask_b32_e32 v2, v2, v3, vcc_lo
	v_cmp_eq_u32_e32 vcc_lo, 3, v0
	s_waitcnt lgkmcnt(3)
	v_add_f32_e32 v5, v13, v5
	v_dual_add_f32 v2, v16, v4 :: v_dual_lshlrev_b32 v21, 2, v2
	s_waitcnt lgkmcnt(0)
	v_dual_add_f32 v4, v14, v20 :: v_dual_add_f32 v7, v19, v6
	v_add_f32_e32 v3, v17, v18
	ds_bpermute_b32 v15, v21, v5
	ds_bpermute_b32 v6, v21, v2
	ds_bpermute_b32 v17, v21, v8
	ds_bpermute_b32 v16, v21, v7
	ds_bpermute_b32 v13, v21, v3
	ds_bpermute_b32 v14, v21, v4
	s_and_b32 exec_lo, exec_lo, vcc_lo
	s_cbranch_execz .LBB79_29
; %bb.25:
	s_load_b64 s[2:3], s[0:1], 0x38
	v_cmp_eq_f32_e32 vcc_lo, 0, v11
	v_cmp_eq_f32_e64 s0, 0, v12
	s_waitcnt lgkmcnt(0)
	v_add_f32_e32 v0, v2, v6
	v_dual_add_f32 v6, v5, v15 :: v_dual_add_f32 v3, v3, v13
	v_dual_add_f32 v2, v7, v16 :: v_dual_add_f32 v5, v8, v17
	v_add_f32_e32 v4, v4, v14
	s_and_b32 s0, vcc_lo, s0
	s_delay_alu instid0(SALU_CYCLE_1) | instskip(NEXT) | instid1(SALU_CYCLE_1)
	s_and_saveexec_b32 s1, s0
	s_xor_b32 s0, exec_lo, s1
	s_cbranch_execz .LBB79_27
; %bb.26:
	v_lshl_add_u32 v7, v1, 1, v1
	v_mul_f32_e64 v11, v6, -v10
	v_mul_f32_e32 v12, v6, v9
	v_mul_f32_e64 v13, v5, -v10
	v_mul_f32_e32 v14, v5, v9
	v_ashrrev_i32_e32 v8, 31, v7
	v_fmac_f32_e32 v11, v9, v0
	v_mul_f32_e64 v5, v4, -v10
	v_dual_mul_f32 v6, v4, v9 :: v_dual_fmac_f32 v13, v9, v2
	s_delay_alu instid0(VALU_DEP_4) | instskip(NEXT) | instid1(VALU_DEP_3)
	v_lshlrev_b64 v[7:8], 3, v[7:8]
	v_dual_fmac_f32 v12, v10, v0 :: v_dual_fmac_f32 v5, v9, v3
	v_fmac_f32_e32 v14, v10, v2
	s_delay_alu instid0(VALU_DEP_4) | instskip(NEXT) | instid1(VALU_DEP_4)
	v_fmac_f32_e32 v6, v10, v3
                                        ; implicit-def: $vgpr9
                                        ; implicit-def: $vgpr10
                                        ; implicit-def: $vgpr2
                                        ; implicit-def: $vgpr3
                                        ; implicit-def: $vgpr4
	v_add_co_u32 v0, vcc_lo, s2, v7
	v_add_co_ci_u32_e32 v1, vcc_lo, s3, v8, vcc_lo
	s_clause 0x1
	global_store_b128 v[0:1], v[11:14], off
	global_store_b64 v[0:1], v[5:6], off offset:16
                                        ; implicit-def: $vgpr11
                                        ; implicit-def: $vgpr12
                                        ; implicit-def: $vgpr1
                                        ; implicit-def: $vgpr0
                                        ; implicit-def: $vgpr6
                                        ; implicit-def: $vgpr5
.LBB79_27:
	s_and_not1_saveexec_b32 s0, s0
	s_cbranch_execz .LBB79_29
; %bb.28:
	v_lshl_add_u32 v7, v1, 1, v1
	v_mul_f32_e64 v21, v5, -v10
	v_mul_f32_e64 v22, v4, -v10
	s_delay_alu instid0(VALU_DEP_3) | instskip(NEXT) | instid1(VALU_DEP_1)
	v_ashrrev_i32_e32 v8, 31, v7
	v_lshlrev_b64 v[7:8], 3, v[7:8]
	s_delay_alu instid0(VALU_DEP_1) | instskip(NEXT) | instid1(VALU_DEP_2)
	v_add_co_u32 v17, vcc_lo, s2, v7
	v_add_co_ci_u32_e32 v18, vcc_lo, s3, v8, vcc_lo
	v_mul_f32_e64 v7, v6, -v10
	v_mul_f32_e32 v6, v6, v9
	s_clause 0x1
	global_load_b128 v[13:16], v[17:18], off
	global_load_b64 v[19:20], v[17:18], off offset:16
	v_fmac_f32_e32 v7, v9, v0
	v_dual_mul_f32 v1, v4, v9 :: v_dual_fmac_f32 v6, v10, v0
	v_mul_f32_e32 v8, v5, v9
	v_fmac_f32_e32 v21, v9, v2
	s_delay_alu instid0(VALU_DEP_3) | instskip(SKIP_1) | instid1(VALU_DEP_3)
	v_fmac_f32_e32 v1, v10, v3
	s_waitcnt vmcnt(1)
	v_dual_fmac_f32 v8, v10, v2 :: v_dual_fmac_f32 v7, v11, v13
	v_fmac_f32_e32 v6, v12, v13
	s_waitcnt vmcnt(0)
	v_fmac_f32_e32 v1, v12, v19
	v_fmac_f32_e32 v21, v11, v15
	;; [unrolled: 1-line block ×3, first 2 shown]
	v_fma_f32 v5, -v12, v14, v7
	v_fmac_f32_e32 v6, v11, v14
	v_dual_fmac_f32 v22, v9, v3 :: v_dual_fmac_f32 v1, v11, v20
	v_fma_f32 v7, -v12, v16, v21
	v_fmac_f32_e32 v8, v11, v16
	s_delay_alu instid0(VALU_DEP_3) | instskip(NEXT) | instid1(VALU_DEP_1)
	v_fmac_f32_e32 v22, v11, v19
	v_fma_f32 v0, -v12, v20, v22
	s_clause 0x1
	global_store_b128 v[17:18], v[5:8], off
	global_store_b64 v[17:18], v[0:1], off offset:16
.LBB79_29:
	s_nop 0
	s_sendmsg sendmsg(MSG_DEALLOC_VGPRS)
	s_endpgm
	.section	.rodata,"a",@progbits
	.p2align	6, 0x0
	.amdhsa_kernel _ZN9rocsparseL19gebsrmvn_3xn_kernelILj128ELj2ELj4E21rocsparse_complex_numIfEEEvi20rocsparse_direction_NS_24const_host_device_scalarIT2_EEPKiS8_PKS5_SA_S6_PS5_21rocsparse_index_base_b
		.amdhsa_group_segment_fixed_size 0
		.amdhsa_private_segment_fixed_size 0
		.amdhsa_kernarg_size 72
		.amdhsa_user_sgpr_count 15
		.amdhsa_user_sgpr_dispatch_ptr 0
		.amdhsa_user_sgpr_queue_ptr 0
		.amdhsa_user_sgpr_kernarg_segment_ptr 1
		.amdhsa_user_sgpr_dispatch_id 0
		.amdhsa_user_sgpr_private_segment_size 0
		.amdhsa_wavefront_size32 1
		.amdhsa_uses_dynamic_stack 0
		.amdhsa_enable_private_segment 0
		.amdhsa_system_sgpr_workgroup_id_x 1
		.amdhsa_system_sgpr_workgroup_id_y 0
		.amdhsa_system_sgpr_workgroup_id_z 0
		.amdhsa_system_sgpr_workgroup_info 0
		.amdhsa_system_vgpr_workitem_id 0
		.amdhsa_next_free_vgpr 34
		.amdhsa_next_free_sgpr 16
		.amdhsa_reserve_vcc 1
		.amdhsa_float_round_mode_32 0
		.amdhsa_float_round_mode_16_64 0
		.amdhsa_float_denorm_mode_32 3
		.amdhsa_float_denorm_mode_16_64 3
		.amdhsa_dx10_clamp 1
		.amdhsa_ieee_mode 1
		.amdhsa_fp16_overflow 0
		.amdhsa_workgroup_processor_mode 1
		.amdhsa_memory_ordered 1
		.amdhsa_forward_progress 0
		.amdhsa_shared_vgpr_count 0
		.amdhsa_exception_fp_ieee_invalid_op 0
		.amdhsa_exception_fp_denorm_src 0
		.amdhsa_exception_fp_ieee_div_zero 0
		.amdhsa_exception_fp_ieee_overflow 0
		.amdhsa_exception_fp_ieee_underflow 0
		.amdhsa_exception_fp_ieee_inexact 0
		.amdhsa_exception_int_div_zero 0
	.end_amdhsa_kernel
	.section	.text._ZN9rocsparseL19gebsrmvn_3xn_kernelILj128ELj2ELj4E21rocsparse_complex_numIfEEEvi20rocsparse_direction_NS_24const_host_device_scalarIT2_EEPKiS8_PKS5_SA_S6_PS5_21rocsparse_index_base_b,"axG",@progbits,_ZN9rocsparseL19gebsrmvn_3xn_kernelILj128ELj2ELj4E21rocsparse_complex_numIfEEEvi20rocsparse_direction_NS_24const_host_device_scalarIT2_EEPKiS8_PKS5_SA_S6_PS5_21rocsparse_index_base_b,comdat
.Lfunc_end79:
	.size	_ZN9rocsparseL19gebsrmvn_3xn_kernelILj128ELj2ELj4E21rocsparse_complex_numIfEEEvi20rocsparse_direction_NS_24const_host_device_scalarIT2_EEPKiS8_PKS5_SA_S6_PS5_21rocsparse_index_base_b, .Lfunc_end79-_ZN9rocsparseL19gebsrmvn_3xn_kernelILj128ELj2ELj4E21rocsparse_complex_numIfEEEvi20rocsparse_direction_NS_24const_host_device_scalarIT2_EEPKiS8_PKS5_SA_S6_PS5_21rocsparse_index_base_b
                                        ; -- End function
	.section	.AMDGPU.csdata,"",@progbits
; Kernel info:
; codeLenInByte = 2136
; NumSgprs: 18
; NumVgprs: 34
; ScratchSize: 0
; MemoryBound: 0
; FloatMode: 240
; IeeeMode: 1
; LDSByteSize: 0 bytes/workgroup (compile time only)
; SGPRBlocks: 2
; VGPRBlocks: 4
; NumSGPRsForWavesPerEU: 18
; NumVGPRsForWavesPerEU: 34
; Occupancy: 16
; WaveLimiterHint : 1
; COMPUTE_PGM_RSRC2:SCRATCH_EN: 0
; COMPUTE_PGM_RSRC2:USER_SGPR: 15
; COMPUTE_PGM_RSRC2:TRAP_HANDLER: 0
; COMPUTE_PGM_RSRC2:TGID_X_EN: 1
; COMPUTE_PGM_RSRC2:TGID_Y_EN: 0
; COMPUTE_PGM_RSRC2:TGID_Z_EN: 0
; COMPUTE_PGM_RSRC2:TIDIG_COMP_CNT: 0
	.section	.text._ZN9rocsparseL19gebsrmvn_3xn_kernelILj128ELj2ELj8E21rocsparse_complex_numIfEEEvi20rocsparse_direction_NS_24const_host_device_scalarIT2_EEPKiS8_PKS5_SA_S6_PS5_21rocsparse_index_base_b,"axG",@progbits,_ZN9rocsparseL19gebsrmvn_3xn_kernelILj128ELj2ELj8E21rocsparse_complex_numIfEEEvi20rocsparse_direction_NS_24const_host_device_scalarIT2_EEPKiS8_PKS5_SA_S6_PS5_21rocsparse_index_base_b,comdat
	.globl	_ZN9rocsparseL19gebsrmvn_3xn_kernelILj128ELj2ELj8E21rocsparse_complex_numIfEEEvi20rocsparse_direction_NS_24const_host_device_scalarIT2_EEPKiS8_PKS5_SA_S6_PS5_21rocsparse_index_base_b ; -- Begin function _ZN9rocsparseL19gebsrmvn_3xn_kernelILj128ELj2ELj8E21rocsparse_complex_numIfEEEvi20rocsparse_direction_NS_24const_host_device_scalarIT2_EEPKiS8_PKS5_SA_S6_PS5_21rocsparse_index_base_b
	.p2align	8
	.type	_ZN9rocsparseL19gebsrmvn_3xn_kernelILj128ELj2ELj8E21rocsparse_complex_numIfEEEvi20rocsparse_direction_NS_24const_host_device_scalarIT2_EEPKiS8_PKS5_SA_S6_PS5_21rocsparse_index_base_b,@function
_ZN9rocsparseL19gebsrmvn_3xn_kernelILj128ELj2ELj8E21rocsparse_complex_numIfEEEvi20rocsparse_direction_NS_24const_host_device_scalarIT2_EEPKiS8_PKS5_SA_S6_PS5_21rocsparse_index_base_b: ; @_ZN9rocsparseL19gebsrmvn_3xn_kernelILj128ELj2ELj8E21rocsparse_complex_numIfEEEvi20rocsparse_direction_NS_24const_host_device_scalarIT2_EEPKiS8_PKS5_SA_S6_PS5_21rocsparse_index_base_b
; %bb.0:
	s_clause 0x2
	s_load_b64 s[12:13], s[0:1], 0x40
	s_load_b64 s[4:5], s[0:1], 0x8
	;; [unrolled: 1-line block ×3, first 2 shown]
	s_waitcnt lgkmcnt(0)
	s_bitcmp1_b32 s13, 0
	v_mov_b32_e32 v9, s4
	s_cselect_b32 s6, -1, 0
	s_delay_alu instid0(SALU_CYCLE_1)
	s_and_b32 vcc_lo, exec_lo, s6
	s_xor_b32 s6, s6, -1
	s_cbranch_vccz .LBB80_15
; %bb.1:
	v_cndmask_b32_e64 v1, 0, 1, s6
	v_mov_b32_e32 v10, s5
	s_and_not1_b32 vcc_lo, exec_lo, s6
	s_cbranch_vccz .LBB80_16
.LBB80_2:
	s_delay_alu instid0(VALU_DEP_2)
	v_cmp_ne_u32_e32 vcc_lo, 1, v1
	v_mov_b32_e32 v11, s2
	s_cbranch_vccz .LBB80_17
.LBB80_3:
	v_cmp_ne_u32_e32 vcc_lo, 1, v1
	v_mov_b32_e32 v12, s3
	s_cbranch_vccnz .LBB80_5
.LBB80_4:
	v_dual_mov_b32 v1, s2 :: v_dual_mov_b32 v2, s3
	flat_load_b32 v12, v[1:2] offset:4
.LBB80_5:
	s_waitcnt vmcnt(0) lgkmcnt(0)
	v_cmp_eq_f32_e32 vcc_lo, 0, v9
	v_cmp_eq_f32_e64 s2, 0, v10
	s_delay_alu instid0(VALU_DEP_1)
	s_and_b32 s4, vcc_lo, s2
	s_mov_b32 s2, -1
	s_and_saveexec_b32 s3, s4
; %bb.6:
	v_cmp_neq_f32_e32 vcc_lo, 1.0, v11
	v_cmp_neq_f32_e64 s2, 0, v12
	s_delay_alu instid0(VALU_DEP_1) | instskip(NEXT) | instid1(SALU_CYCLE_1)
	s_or_b32 s2, vcc_lo, s2
	s_or_not1_b32 s2, s2, exec_lo
; %bb.7:
	s_or_b32 exec_lo, exec_lo, s3
	s_and_saveexec_b32 s3, s2
	s_cbranch_execz .LBB80_29
; %bb.8:
	s_load_b64 s[2:3], s[0:1], 0x0
	v_lshrrev_b32_e32 v1, 3, v0
	s_delay_alu instid0(VALU_DEP_1) | instskip(SKIP_1) | instid1(VALU_DEP_1)
	v_lshl_or_b32 v1, s15, 4, v1
	s_waitcnt lgkmcnt(0)
	v_cmp_gt_i32_e32 vcc_lo, s2, v1
	s_and_b32 exec_lo, exec_lo, vcc_lo
	s_cbranch_execz .LBB80_29
; %bb.9:
	s_load_b256 s[4:11], s[0:1], 0x10
	v_ashrrev_i32_e32 v2, 31, v1
	v_and_b32_e32 v0, 7, v0
	s_cmp_lg_u32 s3, 0
	s_delay_alu instid0(VALU_DEP_2) | instskip(SKIP_1) | instid1(VALU_DEP_1)
	v_lshlrev_b64 v[2:3], 2, v[1:2]
	s_waitcnt lgkmcnt(0)
	v_add_co_u32 v2, vcc_lo, s4, v2
	s_delay_alu instid0(VALU_DEP_2) | instskip(SKIP_4) | instid1(VALU_DEP_2)
	v_add_co_ci_u32_e32 v3, vcc_lo, s5, v3, vcc_lo
	global_load_b64 v[2:3], v[2:3], off
	s_waitcnt vmcnt(0)
	v_subrev_nc_u32_e32 v2, s12, v2
	v_subrev_nc_u32_e32 v19, s12, v3
	v_add_nc_u32_e32 v2, v2, v0
	s_delay_alu instid0(VALU_DEP_1)
	v_cmp_lt_i32_e64 s2, v2, v19
	s_cbranch_scc0 .LBB80_18
; %bb.10:
	v_dual_mov_b32 v13, 0 :: v_dual_mov_b32 v16, 0
	v_dual_mov_b32 v17, 0 :: v_dual_mov_b32 v14, 0
	;; [unrolled: 1-line block ×3, first 2 shown]
	s_mov_b32 s4, 0
	s_and_saveexec_b32 s5, s2
	s_cbranch_execz .LBB80_14
; %bb.11:
	v_mad_u64_u32 v[3:4], null, v2, 6, 5
	v_dual_mov_b32 v6, 0 :: v_dual_mov_b32 v7, v2
	v_dual_mov_b32 v13, 0 :: v_dual_mov_b32 v16, 0
	;; [unrolled: 1-line block ×4, first 2 shown]
	s_mov_b32 s13, 0
.LBB80_12:                              ; =>This Inner Loop Header: Depth=1
	v_ashrrev_i32_e32 v8, 31, v7
	s_delay_alu instid0(VALU_DEP_1) | instskip(NEXT) | instid1(VALU_DEP_1)
	v_lshlrev_b64 v[4:5], 2, v[7:8]
	v_add_co_u32 v4, vcc_lo, s6, v4
	s_delay_alu instid0(VALU_DEP_2) | instskip(SKIP_2) | instid1(VALU_DEP_1)
	v_add_co_ci_u32_e32 v5, vcc_lo, s7, v5, vcc_lo
	global_load_b32 v8, v[4:5], off
	v_dual_mov_b32 v4, v6 :: v_dual_add_nc_u32 v5, -5, v3
	v_lshlrev_b64 v[20:21], 3, v[5:6]
	s_delay_alu instid0(VALU_DEP_2) | instskip(NEXT) | instid1(VALU_DEP_2)
	v_lshlrev_b64 v[22:23], 3, v[3:4]
	v_add_co_u32 v20, vcc_lo, s8, v20
	s_delay_alu instid0(VALU_DEP_3) | instskip(NEXT) | instid1(VALU_DEP_3)
	v_add_co_ci_u32_e32 v21, vcc_lo, s9, v21, vcc_lo
	v_add_co_u32 v28, vcc_lo, s8, v22
	s_delay_alu instid0(VALU_DEP_4) | instskip(SKIP_2) | instid1(VALU_DEP_1)
	v_add_co_ci_u32_e32 v29, vcc_lo, s9, v23, vcc_lo
	global_load_b128 v[20:23], v[20:21], off
	v_add_nc_u32_e32 v5, -3, v3
	v_lshlrev_b64 v[26:27], 3, v[5:6]
	s_delay_alu instid0(VALU_DEP_1) | instskip(NEXT) | instid1(VALU_DEP_2)
	v_add_co_u32 v26, vcc_lo, s8, v26
	v_add_co_ci_u32_e32 v27, vcc_lo, s9, v27, vcc_lo
	global_load_b64 v[32:33], v[26:27], off
	s_waitcnt vmcnt(2)
	v_subrev_nc_u32_e32 v8, s12, v8
	s_delay_alu instid0(VALU_DEP_1) | instskip(NEXT) | instid1(VALU_DEP_1)
	v_dual_mov_b32 v25, v6 :: v_dual_lshlrev_b32 v24, 1, v8
	v_lshlrev_b64 v[24:25], 3, v[24:25]
	s_delay_alu instid0(VALU_DEP_1) | instskip(NEXT) | instid1(VALU_DEP_1)
	v_add_co_u32 v24, s3, s10, v24
	v_add_co_ci_u32_e64 v25, s3, s11, v25, s3
	global_load_b128 v[24:27], v[24:25], off
	s_waitcnt vmcnt(0)
	v_dual_fmac_f32 v18, v22, v24 :: v_dual_add_nc_u32 v5, -2, v3
	s_delay_alu instid0(VALU_DEP_1) | instskip(SKIP_3) | instid1(VALU_DEP_3)
	v_lshlrev_b64 v[30:31], 3, v[5:6]
	v_dual_fmac_f32 v14, v33, v24 :: v_dual_add_nc_u32 v5, -1, v3
	v_dual_fmac_f32 v16, v20, v24 :: v_dual_add_nc_u32 v7, 8, v7
	v_fmac_f32_e32 v17, v32, v24
	v_lshlrev_b64 v[4:5], 3, v[5:6]
	s_delay_alu instid0(VALU_DEP_4) | instskip(SKIP_2) | instid1(VALU_DEP_4)
	v_fmac_f32_e32 v14, v32, v25
	v_add_co_u32 v30, vcc_lo, s8, v30
	v_add_co_ci_u32_e32 v31, vcc_lo, s9, v31, vcc_lo
	v_add_co_u32 v4, vcc_lo, s8, v4
	v_add_co_ci_u32_e32 v5, vcc_lo, s9, v5, vcc_lo
	s_clause 0x2
	global_load_b64 v[30:31], v[30:31], off
	global_load_b64 v[4:5], v[4:5], off
	;; [unrolled: 1-line block ×3, first 2 shown]
	v_fmac_f32_e32 v15, v23, v24
	v_fma_f32 v18, -v23, v25, v18
	v_fmac_f32_e32 v13, v21, v24
	v_fma_f32 v8, -v21, v25, v16
	v_fma_f32 v17, -v33, v25, v17
	v_add_nc_u32_e32 v3, 48, v3
	v_cmp_ge_i32_e32 vcc_lo, v7, v19
	s_or_b32 s13, vcc_lo, s13
	s_waitcnt vmcnt(2)
	v_fmac_f32_e32 v8, v30, v26
	s_waitcnt vmcnt(1)
	v_fmac_f32_e32 v18, v4, v26
	s_waitcnt vmcnt(0)
	v_dual_fmac_f32 v13, v20, v25 :: v_dual_fmac_f32 v14, v29, v26
	v_fmac_f32_e32 v15, v22, v25
	v_fmac_f32_e32 v17, v28, v26
	v_fma_f32 v16, -v31, v27, v8
	s_delay_alu instid0(VALU_DEP_4) | instskip(NEXT) | instid1(VALU_DEP_4)
	v_dual_fmac_f32 v13, v31, v26 :: v_dual_fmac_f32 v14, v28, v27
	v_fmac_f32_e32 v15, v5, v26
	v_fma_f32 v18, -v5, v27, v18
	v_fma_f32 v17, -v29, v27, v17
	s_delay_alu instid0(VALU_DEP_4) | instskip(NEXT) | instid1(VALU_DEP_4)
	v_fmac_f32_e32 v13, v30, v27
	v_fmac_f32_e32 v15, v4, v27
	s_and_not1_b32 exec_lo, exec_lo, s13
	s_cbranch_execnz .LBB80_12
; %bb.13:
	s_or_b32 exec_lo, exec_lo, s13
.LBB80_14:
	s_delay_alu instid0(SALU_CYCLE_1) | instskip(NEXT) | instid1(SALU_CYCLE_1)
	s_or_b32 exec_lo, exec_lo, s5
	s_and_not1_b32 vcc_lo, exec_lo, s4
	s_cbranch_vccz .LBB80_19
	s_branch .LBB80_24
.LBB80_15:
	v_dual_mov_b32 v1, s4 :: v_dual_mov_b32 v2, s5
	flat_load_b32 v9, v[1:2]
	v_cndmask_b32_e64 v1, 0, 1, s6
	v_mov_b32_e32 v10, s5
	s_and_not1_b32 vcc_lo, exec_lo, s6
	s_cbranch_vccnz .LBB80_2
.LBB80_16:
	v_dual_mov_b32 v2, s4 :: v_dual_mov_b32 v3, s5
	flat_load_b32 v10, v[2:3] offset:4
	v_cmp_ne_u32_e32 vcc_lo, 1, v1
	v_mov_b32_e32 v11, s2
	s_cbranch_vccnz .LBB80_3
.LBB80_17:
	v_dual_mov_b32 v2, s2 :: v_dual_mov_b32 v3, s3
	flat_load_b32 v11, v[2:3]
	v_cmp_ne_u32_e32 vcc_lo, 1, v1
	v_mov_b32_e32 v12, s3
	s_cbranch_vccz .LBB80_4
	s_branch .LBB80_5
.LBB80_18:
                                        ; implicit-def: $vgpr13
                                        ; implicit-def: $vgpr16
                                        ; implicit-def: $vgpr17
                                        ; implicit-def: $vgpr14
                                        ; implicit-def: $vgpr18
                                        ; implicit-def: $vgpr15
.LBB80_19:
	v_dual_mov_b32 v13, 0 :: v_dual_mov_b32 v16, 0
	v_dual_mov_b32 v17, 0 :: v_dual_mov_b32 v14, 0
	;; [unrolled: 1-line block ×3, first 2 shown]
	s_and_saveexec_b32 s3, s2
	s_cbranch_execz .LBB80_23
; %bb.20:
	v_mad_u64_u32 v[4:5], null, v2, 6, 5
	v_dual_mov_b32 v7, 0 :: v_dual_mov_b32 v16, 0
	v_dual_mov_b32 v13, 0 :: v_dual_mov_b32 v14, 0
	;; [unrolled: 1-line block ×3, first 2 shown]
	v_mov_b32_e32 v15, 0
	s_mov_b32 s4, 0
.LBB80_21:                              ; =>This Inner Loop Header: Depth=1
	v_ashrrev_i32_e32 v3, 31, v2
	v_dual_mov_b32 v21, v7 :: v_dual_add_nc_u32 v20, -3, v4
	v_dual_mov_b32 v23, v7 :: v_dual_add_nc_u32 v22, -1, v4
	s_delay_alu instid0(VALU_DEP_3) | instskip(SKIP_1) | instid1(VALU_DEP_4)
	v_lshlrev_b64 v[5:6], 2, v[2:3]
	v_mov_b32_e32 v25, v7
	v_lshlrev_b64 v[20:21], 3, v[20:21]
	s_delay_alu instid0(VALU_DEP_4) | instskip(NEXT) | instid1(VALU_DEP_4)
	v_lshlrev_b64 v[22:23], 3, v[22:23]
	v_add_co_u32 v5, vcc_lo, s6, v5
	v_add_co_ci_u32_e32 v6, vcc_lo, s7, v6, vcc_lo
	global_load_b32 v3, v[5:6], off
	v_dual_mov_b32 v5, v7 :: v_dual_add_nc_u32 v6, -5, v4
	s_delay_alu instid0(VALU_DEP_1) | instskip(SKIP_1) | instid1(VALU_DEP_3)
	v_lshlrev_b64 v[26:27], 3, v[6:7]
	v_add_nc_u32_e32 v6, -2, v4
	v_lshlrev_b64 v[28:29], 3, v[4:5]
	s_delay_alu instid0(VALU_DEP_2) | instskip(NEXT) | instid1(VALU_DEP_4)
	v_lshlrev_b64 v[5:6], 3, v[6:7]
	v_add_co_u32 v26, vcc_lo, s8, v26
	v_add_co_ci_u32_e32 v27, vcc_lo, s9, v27, vcc_lo
	v_add_co_u32 v30, vcc_lo, s8, v20
	v_add_co_ci_u32_e32 v31, vcc_lo, s9, v21, vcc_lo
	;; [unrolled: 2-line block ×3, first 2 shown]
	s_clause 0x2
	global_load_b128 v[20:23], v[26:27], off
	global_load_b64 v[30:31], v[30:31], off
	global_load_b64 v[32:33], v[32:33], off
	v_add_co_u32 v28, vcc_lo, s8, v28
	v_add_co_ci_u32_e32 v29, vcc_lo, s9, v29, vcc_lo
	v_add_co_u32 v5, vcc_lo, s8, v5
	v_add_co_ci_u32_e32 v6, vcc_lo, s9, v6, vcc_lo
	s_waitcnt vmcnt(3)
	v_subrev_nc_u32_e32 v3, s12, v3
	s_delay_alu instid0(VALU_DEP_1) | instskip(NEXT) | instid1(VALU_DEP_1)
	v_lshlrev_b32_e32 v24, 1, v3
	v_lshlrev_b64 v[24:25], 3, v[24:25]
	s_delay_alu instid0(VALU_DEP_1) | instskip(NEXT) | instid1(VALU_DEP_1)
	v_add_co_u32 v24, s2, s10, v24
	v_add_co_ci_u32_e64 v25, s2, s11, v25, s2
	global_load_b128 v[24:27], v[24:25], off
	s_clause 0x1
	global_load_b64 v[5:6], v[5:6], off
	global_load_b64 v[28:29], v[28:29], off
	s_waitcnt vmcnt(2)
	v_dual_fmac_f32 v13, v21, v24 :: v_dual_add_nc_u32 v2, 8, v2
	v_fmac_f32_e32 v16, v20, v24
	v_fmac_f32_e32 v14, v33, v24
	;; [unrolled: 1-line block ×3, first 2 shown]
	s_delay_alu instid0(VALU_DEP_4) | instskip(SKIP_4) | instid1(VALU_DEP_4)
	v_cmp_ge_i32_e32 vcc_lo, v2, v19
	v_dual_fmac_f32 v13, v20, v25 :: v_dual_fmac_f32 v18, v30, v24
	v_fma_f32 v3, -v21, v25, v16
	v_fmac_f32_e32 v14, v32, v25
	v_dual_fmac_f32 v15, v30, v25 :: v_dual_add_nc_u32 v4, 48, v4
	v_fmac_f32_e32 v13, v23, v26
	v_fma_f32 v8, -v31, v25, v18
	v_fmac_f32_e32 v17, v32, v24
	v_fmac_f32_e32 v3, v22, v26
	s_waitcnt vmcnt(1)
	v_fmac_f32_e32 v15, v6, v26
	s_waitcnt vmcnt(0)
	v_dual_fmac_f32 v14, v29, v26 :: v_dual_fmac_f32 v13, v22, v27
	v_fmac_f32_e32 v8, v5, v26
	v_fma_f32 v17, -v33, v25, v17
	v_fma_f32 v16, -v23, v27, v3
	v_fmac_f32_e32 v15, v5, v27
	v_fmac_f32_e32 v14, v28, v27
	v_fma_f32 v18, -v6, v27, v8
	v_fmac_f32_e32 v17, v28, v26
	s_or_b32 s4, vcc_lo, s4
	s_delay_alu instid0(VALU_DEP_1)
	v_fma_f32 v17, -v29, v27, v17
	s_and_not1_b32 exec_lo, exec_lo, s4
	s_cbranch_execnz .LBB80_21
; %bb.22:
	s_or_b32 exec_lo, exec_lo, s4
.LBB80_23:
	s_delay_alu instid0(SALU_CYCLE_1)
	s_or_b32 exec_lo, exec_lo, s3
.LBB80_24:
	v_mbcnt_lo_u32_b32 v2, -1, 0
	s_delay_alu instid0(VALU_DEP_1) | instskip(SKIP_1) | instid1(VALU_DEP_2)
	v_xor_b32_e32 v3, 4, v2
	v_xor_b32_e32 v19, 2, v2
	v_cmp_gt_i32_e32 vcc_lo, 32, v3
	v_cndmask_b32_e32 v3, v2, v3, vcc_lo
	s_delay_alu instid0(VALU_DEP_3) | instskip(NEXT) | instid1(VALU_DEP_2)
	v_cmp_gt_i32_e32 vcc_lo, 32, v19
	v_lshlrev_b32_e32 v3, 2, v3
	ds_bpermute_b32 v6, v3, v18
	s_waitcnt lgkmcnt(0)
	v_add_f32_e32 v6, v18, v6
	ds_bpermute_b32 v5, v3, v13
	ds_bpermute_b32 v7, v3, v15
	;; [unrolled: 1-line block ×5, first 2 shown]
	s_waitcnt lgkmcnt(4)
	v_add_f32_e32 v5, v13, v5
	s_waitcnt lgkmcnt(3)
	v_add_f32_e32 v13, v15, v7
	s_waitcnt lgkmcnt(2)
	v_dual_cndmask_b32 v19, v2, v19 :: v_dual_add_f32 v4, v16, v4
	s_waitcnt lgkmcnt(0)
	v_dual_add_f32 v15, v17, v8 :: v_dual_add_f32 v14, v14, v3
	s_delay_alu instid0(VALU_DEP_2)
	v_lshlrev_b32_e32 v19, 2, v19
	ds_bpermute_b32 v3, v19, v4
	ds_bpermute_b32 v7, v19, v5
	;; [unrolled: 1-line block ×6, first 2 shown]
	v_xor_b32_e32 v19, 1, v2
	s_delay_alu instid0(VALU_DEP_1) | instskip(SKIP_3) | instid1(VALU_DEP_2)
	v_cmp_gt_i32_e32 vcc_lo, 32, v19
	v_cndmask_b32_e32 v2, v2, v19, vcc_lo
	v_cmp_eq_u32_e32 vcc_lo, 7, v0
	s_waitcnt lgkmcnt(5)
	v_dual_add_f32 v2, v4, v3 :: v_dual_lshlrev_b32 v19, 2, v2
	s_waitcnt lgkmcnt(4)
	v_add_f32_e32 v5, v5, v7
	s_waitcnt lgkmcnt(3)
	v_add_f32_e32 v7, v6, v8
	s_waitcnt lgkmcnt(1)
	v_dual_add_f32 v8, v13, v16 :: v_dual_add_f32 v3, v15, v17
	s_waitcnt lgkmcnt(0)
	v_add_f32_e32 v4, v14, v18
	ds_bpermute_b32 v6, v19, v2
	ds_bpermute_b32 v15, v19, v5
	ds_bpermute_b32 v16, v19, v7
	ds_bpermute_b32 v17, v19, v8
	ds_bpermute_b32 v13, v19, v3
	ds_bpermute_b32 v14, v19, v4
	s_and_b32 exec_lo, exec_lo, vcc_lo
	s_cbranch_execz .LBB80_29
; %bb.25:
	s_load_b64 s[2:3], s[0:1], 0x38
	v_cmp_eq_f32_e32 vcc_lo, 0, v11
	v_cmp_eq_f32_e64 s0, 0, v12
	s_waitcnt lgkmcnt(0)
	v_add_f32_e32 v0, v2, v6
	v_dual_add_f32 v6, v5, v15 :: v_dual_add_f32 v3, v3, v13
	v_dual_add_f32 v2, v7, v16 :: v_dual_add_f32 v5, v8, v17
	v_add_f32_e32 v4, v4, v14
	s_and_b32 s0, vcc_lo, s0
	s_delay_alu instid0(SALU_CYCLE_1) | instskip(NEXT) | instid1(SALU_CYCLE_1)
	s_and_saveexec_b32 s1, s0
	s_xor_b32 s0, exec_lo, s1
	s_cbranch_execz .LBB80_27
; %bb.26:
	v_lshl_add_u32 v7, v1, 1, v1
	v_mul_f32_e64 v11, v6, -v10
	v_mul_f32_e32 v12, v6, v9
	v_mul_f32_e64 v13, v5, -v10
	v_mul_f32_e32 v14, v5, v9
	v_ashrrev_i32_e32 v8, 31, v7
	v_fmac_f32_e32 v11, v9, v0
	v_mul_f32_e64 v5, v4, -v10
	v_dual_mul_f32 v6, v4, v9 :: v_dual_fmac_f32 v13, v9, v2
	s_delay_alu instid0(VALU_DEP_4) | instskip(NEXT) | instid1(VALU_DEP_3)
	v_lshlrev_b64 v[7:8], 3, v[7:8]
	v_dual_fmac_f32 v12, v10, v0 :: v_dual_fmac_f32 v5, v9, v3
	v_fmac_f32_e32 v14, v10, v2
	s_delay_alu instid0(VALU_DEP_4) | instskip(NEXT) | instid1(VALU_DEP_4)
	v_fmac_f32_e32 v6, v10, v3
                                        ; implicit-def: $vgpr9
                                        ; implicit-def: $vgpr10
                                        ; implicit-def: $vgpr2
                                        ; implicit-def: $vgpr3
                                        ; implicit-def: $vgpr4
	v_add_co_u32 v0, vcc_lo, s2, v7
	v_add_co_ci_u32_e32 v1, vcc_lo, s3, v8, vcc_lo
	s_clause 0x1
	global_store_b128 v[0:1], v[11:14], off
	global_store_b64 v[0:1], v[5:6], off offset:16
                                        ; implicit-def: $vgpr11
                                        ; implicit-def: $vgpr12
                                        ; implicit-def: $vgpr1
                                        ; implicit-def: $vgpr0
                                        ; implicit-def: $vgpr6
                                        ; implicit-def: $vgpr5
.LBB80_27:
	s_and_not1_saveexec_b32 s0, s0
	s_cbranch_execz .LBB80_29
; %bb.28:
	v_lshl_add_u32 v7, v1, 1, v1
	v_mul_f32_e64 v21, v5, -v10
	v_mul_f32_e64 v22, v4, -v10
	s_delay_alu instid0(VALU_DEP_3) | instskip(NEXT) | instid1(VALU_DEP_1)
	v_ashrrev_i32_e32 v8, 31, v7
	v_lshlrev_b64 v[7:8], 3, v[7:8]
	s_delay_alu instid0(VALU_DEP_1) | instskip(NEXT) | instid1(VALU_DEP_2)
	v_add_co_u32 v17, vcc_lo, s2, v7
	v_add_co_ci_u32_e32 v18, vcc_lo, s3, v8, vcc_lo
	v_mul_f32_e64 v7, v6, -v10
	v_mul_f32_e32 v6, v6, v9
	s_clause 0x1
	global_load_b128 v[13:16], v[17:18], off
	global_load_b64 v[19:20], v[17:18], off offset:16
	v_fmac_f32_e32 v7, v9, v0
	v_dual_mul_f32 v1, v4, v9 :: v_dual_fmac_f32 v6, v10, v0
	v_mul_f32_e32 v8, v5, v9
	v_fmac_f32_e32 v21, v9, v2
	s_delay_alu instid0(VALU_DEP_3) | instskip(SKIP_1) | instid1(VALU_DEP_3)
	v_fmac_f32_e32 v1, v10, v3
	s_waitcnt vmcnt(1)
	v_dual_fmac_f32 v8, v10, v2 :: v_dual_fmac_f32 v7, v11, v13
	v_fmac_f32_e32 v6, v12, v13
	s_waitcnt vmcnt(0)
	v_fmac_f32_e32 v1, v12, v19
	v_fmac_f32_e32 v21, v11, v15
	;; [unrolled: 1-line block ×3, first 2 shown]
	v_fma_f32 v5, -v12, v14, v7
	v_fmac_f32_e32 v6, v11, v14
	v_dual_fmac_f32 v22, v9, v3 :: v_dual_fmac_f32 v1, v11, v20
	v_fma_f32 v7, -v12, v16, v21
	v_fmac_f32_e32 v8, v11, v16
	s_delay_alu instid0(VALU_DEP_3) | instskip(NEXT) | instid1(VALU_DEP_1)
	v_fmac_f32_e32 v22, v11, v19
	v_fma_f32 v0, -v12, v20, v22
	s_clause 0x1
	global_store_b128 v[17:18], v[5:8], off
	global_store_b64 v[17:18], v[0:1], off offset:16
.LBB80_29:
	s_nop 0
	s_sendmsg sendmsg(MSG_DEALLOC_VGPRS)
	s_endpgm
	.section	.rodata,"a",@progbits
	.p2align	6, 0x0
	.amdhsa_kernel _ZN9rocsparseL19gebsrmvn_3xn_kernelILj128ELj2ELj8E21rocsparse_complex_numIfEEEvi20rocsparse_direction_NS_24const_host_device_scalarIT2_EEPKiS8_PKS5_SA_S6_PS5_21rocsparse_index_base_b
		.amdhsa_group_segment_fixed_size 0
		.amdhsa_private_segment_fixed_size 0
		.amdhsa_kernarg_size 72
		.amdhsa_user_sgpr_count 15
		.amdhsa_user_sgpr_dispatch_ptr 0
		.amdhsa_user_sgpr_queue_ptr 0
		.amdhsa_user_sgpr_kernarg_segment_ptr 1
		.amdhsa_user_sgpr_dispatch_id 0
		.amdhsa_user_sgpr_private_segment_size 0
		.amdhsa_wavefront_size32 1
		.amdhsa_uses_dynamic_stack 0
		.amdhsa_enable_private_segment 0
		.amdhsa_system_sgpr_workgroup_id_x 1
		.amdhsa_system_sgpr_workgroup_id_y 0
		.amdhsa_system_sgpr_workgroup_id_z 0
		.amdhsa_system_sgpr_workgroup_info 0
		.amdhsa_system_vgpr_workitem_id 0
		.amdhsa_next_free_vgpr 34
		.amdhsa_next_free_sgpr 16
		.amdhsa_reserve_vcc 1
		.amdhsa_float_round_mode_32 0
		.amdhsa_float_round_mode_16_64 0
		.amdhsa_float_denorm_mode_32 3
		.amdhsa_float_denorm_mode_16_64 3
		.amdhsa_dx10_clamp 1
		.amdhsa_ieee_mode 1
		.amdhsa_fp16_overflow 0
		.amdhsa_workgroup_processor_mode 1
		.amdhsa_memory_ordered 1
		.amdhsa_forward_progress 0
		.amdhsa_shared_vgpr_count 0
		.amdhsa_exception_fp_ieee_invalid_op 0
		.amdhsa_exception_fp_denorm_src 0
		.amdhsa_exception_fp_ieee_div_zero 0
		.amdhsa_exception_fp_ieee_overflow 0
		.amdhsa_exception_fp_ieee_underflow 0
		.amdhsa_exception_fp_ieee_inexact 0
		.amdhsa_exception_int_div_zero 0
	.end_amdhsa_kernel
	.section	.text._ZN9rocsparseL19gebsrmvn_3xn_kernelILj128ELj2ELj8E21rocsparse_complex_numIfEEEvi20rocsparse_direction_NS_24const_host_device_scalarIT2_EEPKiS8_PKS5_SA_S6_PS5_21rocsparse_index_base_b,"axG",@progbits,_ZN9rocsparseL19gebsrmvn_3xn_kernelILj128ELj2ELj8E21rocsparse_complex_numIfEEEvi20rocsparse_direction_NS_24const_host_device_scalarIT2_EEPKiS8_PKS5_SA_S6_PS5_21rocsparse_index_base_b,comdat
.Lfunc_end80:
	.size	_ZN9rocsparseL19gebsrmvn_3xn_kernelILj128ELj2ELj8E21rocsparse_complex_numIfEEEvi20rocsparse_direction_NS_24const_host_device_scalarIT2_EEPKiS8_PKS5_SA_S6_PS5_21rocsparse_index_base_b, .Lfunc_end80-_ZN9rocsparseL19gebsrmvn_3xn_kernelILj128ELj2ELj8E21rocsparse_complex_numIfEEEvi20rocsparse_direction_NS_24const_host_device_scalarIT2_EEPKiS8_PKS5_SA_S6_PS5_21rocsparse_index_base_b
                                        ; -- End function
	.section	.AMDGPU.csdata,"",@progbits
; Kernel info:
; codeLenInByte = 2244
; NumSgprs: 18
; NumVgprs: 34
; ScratchSize: 0
; MemoryBound: 0
; FloatMode: 240
; IeeeMode: 1
; LDSByteSize: 0 bytes/workgroup (compile time only)
; SGPRBlocks: 2
; VGPRBlocks: 4
; NumSGPRsForWavesPerEU: 18
; NumVGPRsForWavesPerEU: 34
; Occupancy: 16
; WaveLimiterHint : 1
; COMPUTE_PGM_RSRC2:SCRATCH_EN: 0
; COMPUTE_PGM_RSRC2:USER_SGPR: 15
; COMPUTE_PGM_RSRC2:TRAP_HANDLER: 0
; COMPUTE_PGM_RSRC2:TGID_X_EN: 1
; COMPUTE_PGM_RSRC2:TGID_Y_EN: 0
; COMPUTE_PGM_RSRC2:TGID_Z_EN: 0
; COMPUTE_PGM_RSRC2:TIDIG_COMP_CNT: 0
	.section	.text._ZN9rocsparseL19gebsrmvn_3xn_kernelILj128ELj2ELj16E21rocsparse_complex_numIfEEEvi20rocsparse_direction_NS_24const_host_device_scalarIT2_EEPKiS8_PKS5_SA_S6_PS5_21rocsparse_index_base_b,"axG",@progbits,_ZN9rocsparseL19gebsrmvn_3xn_kernelILj128ELj2ELj16E21rocsparse_complex_numIfEEEvi20rocsparse_direction_NS_24const_host_device_scalarIT2_EEPKiS8_PKS5_SA_S6_PS5_21rocsparse_index_base_b,comdat
	.globl	_ZN9rocsparseL19gebsrmvn_3xn_kernelILj128ELj2ELj16E21rocsparse_complex_numIfEEEvi20rocsparse_direction_NS_24const_host_device_scalarIT2_EEPKiS8_PKS5_SA_S6_PS5_21rocsparse_index_base_b ; -- Begin function _ZN9rocsparseL19gebsrmvn_3xn_kernelILj128ELj2ELj16E21rocsparse_complex_numIfEEEvi20rocsparse_direction_NS_24const_host_device_scalarIT2_EEPKiS8_PKS5_SA_S6_PS5_21rocsparse_index_base_b
	.p2align	8
	.type	_ZN9rocsparseL19gebsrmvn_3xn_kernelILj128ELj2ELj16E21rocsparse_complex_numIfEEEvi20rocsparse_direction_NS_24const_host_device_scalarIT2_EEPKiS8_PKS5_SA_S6_PS5_21rocsparse_index_base_b,@function
_ZN9rocsparseL19gebsrmvn_3xn_kernelILj128ELj2ELj16E21rocsparse_complex_numIfEEEvi20rocsparse_direction_NS_24const_host_device_scalarIT2_EEPKiS8_PKS5_SA_S6_PS5_21rocsparse_index_base_b: ; @_ZN9rocsparseL19gebsrmvn_3xn_kernelILj128ELj2ELj16E21rocsparse_complex_numIfEEEvi20rocsparse_direction_NS_24const_host_device_scalarIT2_EEPKiS8_PKS5_SA_S6_PS5_21rocsparse_index_base_b
; %bb.0:
	s_clause 0x2
	s_load_b64 s[12:13], s[0:1], 0x40
	s_load_b64 s[4:5], s[0:1], 0x8
	;; [unrolled: 1-line block ×3, first 2 shown]
	s_waitcnt lgkmcnt(0)
	s_bitcmp1_b32 s13, 0
	v_mov_b32_e32 v9, s4
	s_cselect_b32 s6, -1, 0
	s_delay_alu instid0(SALU_CYCLE_1)
	s_and_b32 vcc_lo, exec_lo, s6
	s_xor_b32 s6, s6, -1
	s_cbranch_vccz .LBB81_15
; %bb.1:
	v_cndmask_b32_e64 v1, 0, 1, s6
	v_mov_b32_e32 v10, s5
	s_and_not1_b32 vcc_lo, exec_lo, s6
	s_cbranch_vccz .LBB81_16
.LBB81_2:
	s_delay_alu instid0(VALU_DEP_2)
	v_cmp_ne_u32_e32 vcc_lo, 1, v1
	v_mov_b32_e32 v11, s2
	s_cbranch_vccz .LBB81_17
.LBB81_3:
	v_cmp_ne_u32_e32 vcc_lo, 1, v1
	v_mov_b32_e32 v12, s3
	s_cbranch_vccnz .LBB81_5
.LBB81_4:
	v_dual_mov_b32 v1, s2 :: v_dual_mov_b32 v2, s3
	flat_load_b32 v12, v[1:2] offset:4
.LBB81_5:
	s_waitcnt vmcnt(0) lgkmcnt(0)
	v_cmp_eq_f32_e32 vcc_lo, 0, v9
	v_cmp_eq_f32_e64 s2, 0, v10
	s_delay_alu instid0(VALU_DEP_1)
	s_and_b32 s4, vcc_lo, s2
	s_mov_b32 s2, -1
	s_and_saveexec_b32 s3, s4
; %bb.6:
	v_cmp_neq_f32_e32 vcc_lo, 1.0, v11
	v_cmp_neq_f32_e64 s2, 0, v12
	s_delay_alu instid0(VALU_DEP_1) | instskip(NEXT) | instid1(SALU_CYCLE_1)
	s_or_b32 s2, vcc_lo, s2
	s_or_not1_b32 s2, s2, exec_lo
; %bb.7:
	s_or_b32 exec_lo, exec_lo, s3
	s_and_saveexec_b32 s3, s2
	s_cbranch_execz .LBB81_29
; %bb.8:
	s_load_b64 s[2:3], s[0:1], 0x0
	v_lshrrev_b32_e32 v1, 4, v0
	s_delay_alu instid0(VALU_DEP_1) | instskip(SKIP_1) | instid1(VALU_DEP_1)
	v_lshl_or_b32 v1, s15, 3, v1
	s_waitcnt lgkmcnt(0)
	v_cmp_gt_i32_e32 vcc_lo, s2, v1
	s_and_b32 exec_lo, exec_lo, vcc_lo
	s_cbranch_execz .LBB81_29
; %bb.9:
	s_load_b256 s[4:11], s[0:1], 0x10
	v_ashrrev_i32_e32 v2, 31, v1
	v_and_b32_e32 v0, 15, v0
	s_cmp_lg_u32 s3, 0
	s_delay_alu instid0(VALU_DEP_2) | instskip(SKIP_1) | instid1(VALU_DEP_1)
	v_lshlrev_b64 v[2:3], 2, v[1:2]
	s_waitcnt lgkmcnt(0)
	v_add_co_u32 v2, vcc_lo, s4, v2
	s_delay_alu instid0(VALU_DEP_2) | instskip(SKIP_4) | instid1(VALU_DEP_2)
	v_add_co_ci_u32_e32 v3, vcc_lo, s5, v3, vcc_lo
	global_load_b64 v[2:3], v[2:3], off
	s_waitcnt vmcnt(0)
	v_subrev_nc_u32_e32 v2, s12, v2
	v_subrev_nc_u32_e32 v19, s12, v3
	v_add_nc_u32_e32 v2, v2, v0
	s_delay_alu instid0(VALU_DEP_1)
	v_cmp_lt_i32_e64 s2, v2, v19
	s_cbranch_scc0 .LBB81_18
; %bb.10:
	v_dual_mov_b32 v13, 0 :: v_dual_mov_b32 v16, 0
	v_dual_mov_b32 v17, 0 :: v_dual_mov_b32 v14, 0
	v_dual_mov_b32 v18, 0 :: v_dual_mov_b32 v15, 0
	s_mov_b32 s4, 0
	s_and_saveexec_b32 s5, s2
	s_cbranch_execz .LBB81_14
; %bb.11:
	v_mad_u64_u32 v[3:4], null, v2, 6, 5
	v_dual_mov_b32 v6, 0 :: v_dual_mov_b32 v7, v2
	v_dual_mov_b32 v13, 0 :: v_dual_mov_b32 v16, 0
	v_dual_mov_b32 v17, 0 :: v_dual_mov_b32 v14, 0
	v_dual_mov_b32 v18, 0 :: v_dual_mov_b32 v15, 0
	s_mov_b32 s13, 0
.LBB81_12:                              ; =>This Inner Loop Header: Depth=1
	v_ashrrev_i32_e32 v8, 31, v7
	s_delay_alu instid0(VALU_DEP_1) | instskip(NEXT) | instid1(VALU_DEP_1)
	v_lshlrev_b64 v[4:5], 2, v[7:8]
	v_add_co_u32 v4, vcc_lo, s6, v4
	s_delay_alu instid0(VALU_DEP_2) | instskip(SKIP_2) | instid1(VALU_DEP_1)
	v_add_co_ci_u32_e32 v5, vcc_lo, s7, v5, vcc_lo
	global_load_b32 v8, v[4:5], off
	v_dual_mov_b32 v4, v6 :: v_dual_add_nc_u32 v5, -5, v3
	v_lshlrev_b64 v[20:21], 3, v[5:6]
	s_delay_alu instid0(VALU_DEP_2) | instskip(NEXT) | instid1(VALU_DEP_2)
	v_lshlrev_b64 v[22:23], 3, v[3:4]
	v_add_co_u32 v20, vcc_lo, s8, v20
	s_delay_alu instid0(VALU_DEP_3) | instskip(NEXT) | instid1(VALU_DEP_3)
	v_add_co_ci_u32_e32 v21, vcc_lo, s9, v21, vcc_lo
	v_add_co_u32 v28, vcc_lo, s8, v22
	s_delay_alu instid0(VALU_DEP_4) | instskip(SKIP_2) | instid1(VALU_DEP_1)
	v_add_co_ci_u32_e32 v29, vcc_lo, s9, v23, vcc_lo
	global_load_b128 v[20:23], v[20:21], off
	v_add_nc_u32_e32 v5, -3, v3
	v_lshlrev_b64 v[26:27], 3, v[5:6]
	s_delay_alu instid0(VALU_DEP_1) | instskip(NEXT) | instid1(VALU_DEP_2)
	v_add_co_u32 v26, vcc_lo, s8, v26
	v_add_co_ci_u32_e32 v27, vcc_lo, s9, v27, vcc_lo
	global_load_b64 v[32:33], v[26:27], off
	s_waitcnt vmcnt(2)
	v_subrev_nc_u32_e32 v8, s12, v8
	s_delay_alu instid0(VALU_DEP_1) | instskip(NEXT) | instid1(VALU_DEP_1)
	v_dual_mov_b32 v25, v6 :: v_dual_lshlrev_b32 v24, 1, v8
	v_lshlrev_b64 v[24:25], 3, v[24:25]
	s_delay_alu instid0(VALU_DEP_1) | instskip(NEXT) | instid1(VALU_DEP_1)
	v_add_co_u32 v24, s3, s10, v24
	v_add_co_ci_u32_e64 v25, s3, s11, v25, s3
	global_load_b128 v[24:27], v[24:25], off
	s_waitcnt vmcnt(0)
	v_dual_fmac_f32 v18, v22, v24 :: v_dual_add_nc_u32 v5, -2, v3
	s_delay_alu instid0(VALU_DEP_1) | instskip(SKIP_3) | instid1(VALU_DEP_3)
	v_lshlrev_b64 v[30:31], 3, v[5:6]
	v_dual_fmac_f32 v14, v33, v24 :: v_dual_add_nc_u32 v5, -1, v3
	v_dual_fmac_f32 v16, v20, v24 :: v_dual_add_nc_u32 v7, 16, v7
	v_fmac_f32_e32 v17, v32, v24
	v_lshlrev_b64 v[4:5], 3, v[5:6]
	s_delay_alu instid0(VALU_DEP_4) | instskip(SKIP_2) | instid1(VALU_DEP_4)
	v_fmac_f32_e32 v14, v32, v25
	v_add_co_u32 v30, vcc_lo, s8, v30
	v_add_co_ci_u32_e32 v31, vcc_lo, s9, v31, vcc_lo
	v_add_co_u32 v4, vcc_lo, s8, v4
	v_add_co_ci_u32_e32 v5, vcc_lo, s9, v5, vcc_lo
	s_clause 0x2
	global_load_b64 v[30:31], v[30:31], off
	global_load_b64 v[4:5], v[4:5], off
	;; [unrolled: 1-line block ×3, first 2 shown]
	v_fmac_f32_e32 v15, v23, v24
	v_fma_f32 v18, -v23, v25, v18
	v_fmac_f32_e32 v13, v21, v24
	v_fma_f32 v8, -v21, v25, v16
	v_fma_f32 v17, -v33, v25, v17
	v_add_nc_u32_e32 v3, 0x60, v3
	v_cmp_ge_i32_e32 vcc_lo, v7, v19
	s_or_b32 s13, vcc_lo, s13
	s_waitcnt vmcnt(2)
	v_fmac_f32_e32 v8, v30, v26
	s_waitcnt vmcnt(1)
	v_fmac_f32_e32 v18, v4, v26
	s_waitcnt vmcnt(0)
	v_dual_fmac_f32 v13, v20, v25 :: v_dual_fmac_f32 v14, v29, v26
	v_fmac_f32_e32 v15, v22, v25
	v_fmac_f32_e32 v17, v28, v26
	v_fma_f32 v16, -v31, v27, v8
	s_delay_alu instid0(VALU_DEP_4) | instskip(NEXT) | instid1(VALU_DEP_4)
	v_dual_fmac_f32 v13, v31, v26 :: v_dual_fmac_f32 v14, v28, v27
	v_fmac_f32_e32 v15, v5, v26
	v_fma_f32 v18, -v5, v27, v18
	v_fma_f32 v17, -v29, v27, v17
	s_delay_alu instid0(VALU_DEP_4) | instskip(NEXT) | instid1(VALU_DEP_4)
	v_fmac_f32_e32 v13, v30, v27
	v_fmac_f32_e32 v15, v4, v27
	s_and_not1_b32 exec_lo, exec_lo, s13
	s_cbranch_execnz .LBB81_12
; %bb.13:
	s_or_b32 exec_lo, exec_lo, s13
.LBB81_14:
	s_delay_alu instid0(SALU_CYCLE_1) | instskip(NEXT) | instid1(SALU_CYCLE_1)
	s_or_b32 exec_lo, exec_lo, s5
	s_and_not1_b32 vcc_lo, exec_lo, s4
	s_cbranch_vccz .LBB81_19
	s_branch .LBB81_24
.LBB81_15:
	v_dual_mov_b32 v1, s4 :: v_dual_mov_b32 v2, s5
	flat_load_b32 v9, v[1:2]
	v_cndmask_b32_e64 v1, 0, 1, s6
	v_mov_b32_e32 v10, s5
	s_and_not1_b32 vcc_lo, exec_lo, s6
	s_cbranch_vccnz .LBB81_2
.LBB81_16:
	v_dual_mov_b32 v2, s4 :: v_dual_mov_b32 v3, s5
	flat_load_b32 v10, v[2:3] offset:4
	v_cmp_ne_u32_e32 vcc_lo, 1, v1
	v_mov_b32_e32 v11, s2
	s_cbranch_vccnz .LBB81_3
.LBB81_17:
	v_dual_mov_b32 v2, s2 :: v_dual_mov_b32 v3, s3
	flat_load_b32 v11, v[2:3]
	v_cmp_ne_u32_e32 vcc_lo, 1, v1
	v_mov_b32_e32 v12, s3
	s_cbranch_vccz .LBB81_4
	s_branch .LBB81_5
.LBB81_18:
                                        ; implicit-def: $vgpr13
                                        ; implicit-def: $vgpr16
                                        ; implicit-def: $vgpr17
                                        ; implicit-def: $vgpr14
                                        ; implicit-def: $vgpr18
                                        ; implicit-def: $vgpr15
.LBB81_19:
	v_dual_mov_b32 v13, 0 :: v_dual_mov_b32 v16, 0
	v_dual_mov_b32 v17, 0 :: v_dual_mov_b32 v14, 0
	;; [unrolled: 1-line block ×3, first 2 shown]
	s_and_saveexec_b32 s3, s2
	s_cbranch_execz .LBB81_23
; %bb.20:
	v_mad_u64_u32 v[4:5], null, v2, 6, 5
	v_dual_mov_b32 v7, 0 :: v_dual_mov_b32 v16, 0
	v_dual_mov_b32 v13, 0 :: v_dual_mov_b32 v14, 0
	;; [unrolled: 1-line block ×3, first 2 shown]
	v_mov_b32_e32 v15, 0
	s_mov_b32 s4, 0
.LBB81_21:                              ; =>This Inner Loop Header: Depth=1
	v_ashrrev_i32_e32 v3, 31, v2
	v_dual_mov_b32 v21, v7 :: v_dual_add_nc_u32 v20, -3, v4
	v_dual_mov_b32 v23, v7 :: v_dual_add_nc_u32 v22, -1, v4
	s_delay_alu instid0(VALU_DEP_3) | instskip(SKIP_1) | instid1(VALU_DEP_4)
	v_lshlrev_b64 v[5:6], 2, v[2:3]
	v_mov_b32_e32 v25, v7
	v_lshlrev_b64 v[20:21], 3, v[20:21]
	s_delay_alu instid0(VALU_DEP_4) | instskip(NEXT) | instid1(VALU_DEP_4)
	v_lshlrev_b64 v[22:23], 3, v[22:23]
	v_add_co_u32 v5, vcc_lo, s6, v5
	v_add_co_ci_u32_e32 v6, vcc_lo, s7, v6, vcc_lo
	global_load_b32 v3, v[5:6], off
	v_dual_mov_b32 v5, v7 :: v_dual_add_nc_u32 v6, -5, v4
	s_delay_alu instid0(VALU_DEP_1) | instskip(SKIP_1) | instid1(VALU_DEP_3)
	v_lshlrev_b64 v[26:27], 3, v[6:7]
	v_add_nc_u32_e32 v6, -2, v4
	v_lshlrev_b64 v[28:29], 3, v[4:5]
	s_delay_alu instid0(VALU_DEP_2) | instskip(NEXT) | instid1(VALU_DEP_4)
	v_lshlrev_b64 v[5:6], 3, v[6:7]
	v_add_co_u32 v26, vcc_lo, s8, v26
	v_add_co_ci_u32_e32 v27, vcc_lo, s9, v27, vcc_lo
	v_add_co_u32 v30, vcc_lo, s8, v20
	v_add_co_ci_u32_e32 v31, vcc_lo, s9, v21, vcc_lo
	;; [unrolled: 2-line block ×3, first 2 shown]
	s_clause 0x2
	global_load_b128 v[20:23], v[26:27], off
	global_load_b64 v[30:31], v[30:31], off
	global_load_b64 v[32:33], v[32:33], off
	v_add_co_u32 v28, vcc_lo, s8, v28
	v_add_co_ci_u32_e32 v29, vcc_lo, s9, v29, vcc_lo
	v_add_co_u32 v5, vcc_lo, s8, v5
	v_add_co_ci_u32_e32 v6, vcc_lo, s9, v6, vcc_lo
	s_waitcnt vmcnt(3)
	v_subrev_nc_u32_e32 v3, s12, v3
	s_delay_alu instid0(VALU_DEP_1) | instskip(NEXT) | instid1(VALU_DEP_1)
	v_lshlrev_b32_e32 v24, 1, v3
	v_lshlrev_b64 v[24:25], 3, v[24:25]
	s_delay_alu instid0(VALU_DEP_1) | instskip(NEXT) | instid1(VALU_DEP_1)
	v_add_co_u32 v24, s2, s10, v24
	v_add_co_ci_u32_e64 v25, s2, s11, v25, s2
	global_load_b128 v[24:27], v[24:25], off
	s_clause 0x1
	global_load_b64 v[5:6], v[5:6], off
	global_load_b64 v[28:29], v[28:29], off
	s_waitcnt vmcnt(2)
	v_dual_fmac_f32 v13, v21, v24 :: v_dual_add_nc_u32 v2, 16, v2
	v_fmac_f32_e32 v16, v20, v24
	v_fmac_f32_e32 v14, v33, v24
	;; [unrolled: 1-line block ×3, first 2 shown]
	s_delay_alu instid0(VALU_DEP_4) | instskip(SKIP_4) | instid1(VALU_DEP_4)
	v_cmp_ge_i32_e32 vcc_lo, v2, v19
	v_dual_fmac_f32 v13, v20, v25 :: v_dual_fmac_f32 v18, v30, v24
	v_fma_f32 v3, -v21, v25, v16
	v_fmac_f32_e32 v14, v32, v25
	v_dual_fmac_f32 v15, v30, v25 :: v_dual_add_nc_u32 v4, 0x60, v4
	v_fmac_f32_e32 v13, v23, v26
	v_fma_f32 v8, -v31, v25, v18
	v_fmac_f32_e32 v17, v32, v24
	v_fmac_f32_e32 v3, v22, v26
	s_waitcnt vmcnt(1)
	v_fmac_f32_e32 v15, v6, v26
	s_waitcnt vmcnt(0)
	v_dual_fmac_f32 v14, v29, v26 :: v_dual_fmac_f32 v13, v22, v27
	v_fmac_f32_e32 v8, v5, v26
	v_fma_f32 v17, -v33, v25, v17
	v_fma_f32 v16, -v23, v27, v3
	v_fmac_f32_e32 v15, v5, v27
	v_fmac_f32_e32 v14, v28, v27
	v_fma_f32 v18, -v6, v27, v8
	v_fmac_f32_e32 v17, v28, v26
	s_or_b32 s4, vcc_lo, s4
	s_delay_alu instid0(VALU_DEP_1)
	v_fma_f32 v17, -v29, v27, v17
	s_and_not1_b32 exec_lo, exec_lo, s4
	s_cbranch_execnz .LBB81_21
; %bb.22:
	s_or_b32 exec_lo, exec_lo, s4
.LBB81_23:
	s_delay_alu instid0(SALU_CYCLE_1)
	s_or_b32 exec_lo, exec_lo, s3
.LBB81_24:
	v_mbcnt_lo_u32_b32 v2, -1, 0
	s_delay_alu instid0(VALU_DEP_1) | instskip(SKIP_1) | instid1(VALU_DEP_2)
	v_xor_b32_e32 v3, 8, v2
	v_xor_b32_e32 v19, 4, v2
	v_cmp_gt_i32_e32 vcc_lo, 32, v3
	v_cndmask_b32_e32 v3, v2, v3, vcc_lo
	s_delay_alu instid0(VALU_DEP_3) | instskip(NEXT) | instid1(VALU_DEP_2)
	v_cmp_gt_i32_e32 vcc_lo, 32, v19
	v_lshlrev_b32_e32 v3, 2, v3
	ds_bpermute_b32 v6, v3, v18
	s_waitcnt lgkmcnt(0)
	v_add_f32_e32 v6, v18, v6
	ds_bpermute_b32 v4, v3, v16
	ds_bpermute_b32 v8, v3, v17
	;; [unrolled: 1-line block ×3, first 2 shown]
	v_cndmask_b32_e32 v19, v2, v19, vcc_lo
	ds_bpermute_b32 v7, v3, v15
	ds_bpermute_b32 v3, v3, v14
	s_waitcnt lgkmcnt(4)
	v_add_f32_e32 v4, v16, v4
	s_waitcnt lgkmcnt(3)
	v_dual_add_f32 v8, v17, v8 :: v_dual_lshlrev_b32 v19, 2, v19
	s_waitcnt lgkmcnt(2)
	v_add_f32_e32 v5, v13, v5
	s_waitcnt lgkmcnt(0)
	v_add_f32_e32 v3, v14, v3
	ds_bpermute_b32 v13, v19, v4
	s_waitcnt lgkmcnt(0)
	v_add_f32_e32 v4, v4, v13
	ds_bpermute_b32 v17, v19, v8
	v_add_f32_e32 v7, v15, v7
	ds_bpermute_b32 v15, v19, v6
	ds_bpermute_b32 v18, v19, v3
	s_waitcnt lgkmcnt(1)
	v_add_f32_e32 v6, v6, v15
	ds_bpermute_b32 v14, v19, v5
	s_waitcnt lgkmcnt(0)
	v_dual_add_f32 v5, v5, v14 :: v_dual_add_f32 v14, v8, v17
	ds_bpermute_b32 v16, v19, v7
	v_xor_b32_e32 v19, 2, v2
	s_delay_alu instid0(VALU_DEP_1) | instskip(SKIP_1) | instid1(VALU_DEP_1)
	v_cmp_gt_i32_e32 vcc_lo, 32, v19
	v_cndmask_b32_e32 v19, v2, v19, vcc_lo
	v_lshlrev_b32_e32 v19, 2, v19
	s_waitcnt lgkmcnt(0)
	v_add_f32_e32 v13, v7, v16
	ds_bpermute_b32 v7, v19, v5
	ds_bpermute_b32 v8, v19, v6
	;; [unrolled: 1-line block ×4, first 2 shown]
	s_waitcnt lgkmcnt(3)
	v_add_f32_e32 v5, v5, v7
	s_waitcnt lgkmcnt(2)
	v_add_f32_e32 v7, v6, v8
	s_waitcnt lgkmcnt(0)
	v_dual_add_f32 v8, v13, v16 :: v_dual_add_f32 v15, v3, v18
	ds_bpermute_b32 v3, v19, v4
	ds_bpermute_b32 v18, v19, v15
	v_xor_b32_e32 v19, 1, v2
	s_delay_alu instid0(VALU_DEP_1) | instskip(SKIP_3) | instid1(VALU_DEP_2)
	v_cmp_gt_i32_e32 vcc_lo, 32, v19
	v_cndmask_b32_e32 v2, v2, v19, vcc_lo
	v_cmp_eq_u32_e32 vcc_lo, 15, v0
	s_waitcnt lgkmcnt(1)
	v_dual_add_f32 v2, v4, v3 :: v_dual_lshlrev_b32 v19, 2, v2
	s_waitcnt lgkmcnt(0)
	v_dual_add_f32 v3, v14, v17 :: v_dual_add_f32 v4, v15, v18
	ds_bpermute_b32 v15, v19, v5
	ds_bpermute_b32 v6, v19, v2
	ds_bpermute_b32 v16, v19, v7
	ds_bpermute_b32 v17, v19, v8
	ds_bpermute_b32 v13, v19, v3
	ds_bpermute_b32 v14, v19, v4
	s_and_b32 exec_lo, exec_lo, vcc_lo
	s_cbranch_execz .LBB81_29
; %bb.25:
	s_load_b64 s[2:3], s[0:1], 0x38
	v_cmp_eq_f32_e32 vcc_lo, 0, v11
	v_cmp_eq_f32_e64 s0, 0, v12
	s_waitcnt lgkmcnt(0)
	v_add_f32_e32 v0, v2, v6
	v_dual_add_f32 v6, v5, v15 :: v_dual_add_f32 v3, v3, v13
	v_dual_add_f32 v2, v7, v16 :: v_dual_add_f32 v5, v8, v17
	v_add_f32_e32 v4, v4, v14
	s_and_b32 s0, vcc_lo, s0
	s_delay_alu instid0(SALU_CYCLE_1) | instskip(NEXT) | instid1(SALU_CYCLE_1)
	s_and_saveexec_b32 s1, s0
	s_xor_b32 s0, exec_lo, s1
	s_cbranch_execz .LBB81_27
; %bb.26:
	v_lshl_add_u32 v7, v1, 1, v1
	v_mul_f32_e64 v11, v6, -v10
	v_mul_f32_e32 v12, v6, v9
	v_mul_f32_e64 v13, v5, -v10
	v_mul_f32_e32 v14, v5, v9
	v_ashrrev_i32_e32 v8, 31, v7
	v_fmac_f32_e32 v11, v9, v0
	v_mul_f32_e64 v5, v4, -v10
	v_dual_mul_f32 v6, v4, v9 :: v_dual_fmac_f32 v13, v9, v2
	s_delay_alu instid0(VALU_DEP_4) | instskip(NEXT) | instid1(VALU_DEP_3)
	v_lshlrev_b64 v[7:8], 3, v[7:8]
	v_dual_fmac_f32 v12, v10, v0 :: v_dual_fmac_f32 v5, v9, v3
	v_fmac_f32_e32 v14, v10, v2
	s_delay_alu instid0(VALU_DEP_4) | instskip(NEXT) | instid1(VALU_DEP_4)
	v_fmac_f32_e32 v6, v10, v3
                                        ; implicit-def: $vgpr9
                                        ; implicit-def: $vgpr10
                                        ; implicit-def: $vgpr2
                                        ; implicit-def: $vgpr3
                                        ; implicit-def: $vgpr4
	v_add_co_u32 v0, vcc_lo, s2, v7
	v_add_co_ci_u32_e32 v1, vcc_lo, s3, v8, vcc_lo
	s_clause 0x1
	global_store_b128 v[0:1], v[11:14], off
	global_store_b64 v[0:1], v[5:6], off offset:16
                                        ; implicit-def: $vgpr11
                                        ; implicit-def: $vgpr12
                                        ; implicit-def: $vgpr1
                                        ; implicit-def: $vgpr0
                                        ; implicit-def: $vgpr6
                                        ; implicit-def: $vgpr5
.LBB81_27:
	s_and_not1_saveexec_b32 s0, s0
	s_cbranch_execz .LBB81_29
; %bb.28:
	v_lshl_add_u32 v7, v1, 1, v1
	v_mul_f32_e64 v21, v5, -v10
	v_mul_f32_e64 v22, v4, -v10
	s_delay_alu instid0(VALU_DEP_3) | instskip(NEXT) | instid1(VALU_DEP_1)
	v_ashrrev_i32_e32 v8, 31, v7
	v_lshlrev_b64 v[7:8], 3, v[7:8]
	s_delay_alu instid0(VALU_DEP_1) | instskip(NEXT) | instid1(VALU_DEP_2)
	v_add_co_u32 v17, vcc_lo, s2, v7
	v_add_co_ci_u32_e32 v18, vcc_lo, s3, v8, vcc_lo
	v_mul_f32_e64 v7, v6, -v10
	v_mul_f32_e32 v6, v6, v9
	s_clause 0x1
	global_load_b128 v[13:16], v[17:18], off
	global_load_b64 v[19:20], v[17:18], off offset:16
	v_fmac_f32_e32 v7, v9, v0
	v_dual_mul_f32 v1, v4, v9 :: v_dual_fmac_f32 v6, v10, v0
	v_mul_f32_e32 v8, v5, v9
	v_fmac_f32_e32 v21, v9, v2
	s_delay_alu instid0(VALU_DEP_3) | instskip(SKIP_1) | instid1(VALU_DEP_3)
	v_fmac_f32_e32 v1, v10, v3
	s_waitcnt vmcnt(1)
	v_dual_fmac_f32 v8, v10, v2 :: v_dual_fmac_f32 v7, v11, v13
	v_fmac_f32_e32 v6, v12, v13
	s_waitcnt vmcnt(0)
	v_fmac_f32_e32 v1, v12, v19
	v_fmac_f32_e32 v21, v11, v15
	v_fmac_f32_e32 v8, v12, v15
	v_fma_f32 v5, -v12, v14, v7
	v_fmac_f32_e32 v6, v11, v14
	v_dual_fmac_f32 v22, v9, v3 :: v_dual_fmac_f32 v1, v11, v20
	v_fma_f32 v7, -v12, v16, v21
	v_fmac_f32_e32 v8, v11, v16
	s_delay_alu instid0(VALU_DEP_3) | instskip(NEXT) | instid1(VALU_DEP_1)
	v_fmac_f32_e32 v22, v11, v19
	v_fma_f32 v0, -v12, v20, v22
	s_clause 0x1
	global_store_b128 v[17:18], v[5:8], off
	global_store_b64 v[17:18], v[0:1], off offset:16
.LBB81_29:
	s_nop 0
	s_sendmsg sendmsg(MSG_DEALLOC_VGPRS)
	s_endpgm
	.section	.rodata,"a",@progbits
	.p2align	6, 0x0
	.amdhsa_kernel _ZN9rocsparseL19gebsrmvn_3xn_kernelILj128ELj2ELj16E21rocsparse_complex_numIfEEEvi20rocsparse_direction_NS_24const_host_device_scalarIT2_EEPKiS8_PKS5_SA_S6_PS5_21rocsparse_index_base_b
		.amdhsa_group_segment_fixed_size 0
		.amdhsa_private_segment_fixed_size 0
		.amdhsa_kernarg_size 72
		.amdhsa_user_sgpr_count 15
		.amdhsa_user_sgpr_dispatch_ptr 0
		.amdhsa_user_sgpr_queue_ptr 0
		.amdhsa_user_sgpr_kernarg_segment_ptr 1
		.amdhsa_user_sgpr_dispatch_id 0
		.amdhsa_user_sgpr_private_segment_size 0
		.amdhsa_wavefront_size32 1
		.amdhsa_uses_dynamic_stack 0
		.amdhsa_enable_private_segment 0
		.amdhsa_system_sgpr_workgroup_id_x 1
		.amdhsa_system_sgpr_workgroup_id_y 0
		.amdhsa_system_sgpr_workgroup_id_z 0
		.amdhsa_system_sgpr_workgroup_info 0
		.amdhsa_system_vgpr_workitem_id 0
		.amdhsa_next_free_vgpr 34
		.amdhsa_next_free_sgpr 16
		.amdhsa_reserve_vcc 1
		.amdhsa_float_round_mode_32 0
		.amdhsa_float_round_mode_16_64 0
		.amdhsa_float_denorm_mode_32 3
		.amdhsa_float_denorm_mode_16_64 3
		.amdhsa_dx10_clamp 1
		.amdhsa_ieee_mode 1
		.amdhsa_fp16_overflow 0
		.amdhsa_workgroup_processor_mode 1
		.amdhsa_memory_ordered 1
		.amdhsa_forward_progress 0
		.amdhsa_shared_vgpr_count 0
		.amdhsa_exception_fp_ieee_invalid_op 0
		.amdhsa_exception_fp_denorm_src 0
		.amdhsa_exception_fp_ieee_div_zero 0
		.amdhsa_exception_fp_ieee_overflow 0
		.amdhsa_exception_fp_ieee_underflow 0
		.amdhsa_exception_fp_ieee_inexact 0
		.amdhsa_exception_int_div_zero 0
	.end_amdhsa_kernel
	.section	.text._ZN9rocsparseL19gebsrmvn_3xn_kernelILj128ELj2ELj16E21rocsparse_complex_numIfEEEvi20rocsparse_direction_NS_24const_host_device_scalarIT2_EEPKiS8_PKS5_SA_S6_PS5_21rocsparse_index_base_b,"axG",@progbits,_ZN9rocsparseL19gebsrmvn_3xn_kernelILj128ELj2ELj16E21rocsparse_complex_numIfEEEvi20rocsparse_direction_NS_24const_host_device_scalarIT2_EEPKiS8_PKS5_SA_S6_PS5_21rocsparse_index_base_b,comdat
.Lfunc_end81:
	.size	_ZN9rocsparseL19gebsrmvn_3xn_kernelILj128ELj2ELj16E21rocsparse_complex_numIfEEEvi20rocsparse_direction_NS_24const_host_device_scalarIT2_EEPKiS8_PKS5_SA_S6_PS5_21rocsparse_index_base_b, .Lfunc_end81-_ZN9rocsparseL19gebsrmvn_3xn_kernelILj128ELj2ELj16E21rocsparse_complex_numIfEEEvi20rocsparse_direction_NS_24const_host_device_scalarIT2_EEPKiS8_PKS5_SA_S6_PS5_21rocsparse_index_base_b
                                        ; -- End function
	.section	.AMDGPU.csdata,"",@progbits
; Kernel info:
; codeLenInByte = 2356
; NumSgprs: 18
; NumVgprs: 34
; ScratchSize: 0
; MemoryBound: 0
; FloatMode: 240
; IeeeMode: 1
; LDSByteSize: 0 bytes/workgroup (compile time only)
; SGPRBlocks: 2
; VGPRBlocks: 4
; NumSGPRsForWavesPerEU: 18
; NumVGPRsForWavesPerEU: 34
; Occupancy: 16
; WaveLimiterHint : 1
; COMPUTE_PGM_RSRC2:SCRATCH_EN: 0
; COMPUTE_PGM_RSRC2:USER_SGPR: 15
; COMPUTE_PGM_RSRC2:TRAP_HANDLER: 0
; COMPUTE_PGM_RSRC2:TGID_X_EN: 1
; COMPUTE_PGM_RSRC2:TGID_Y_EN: 0
; COMPUTE_PGM_RSRC2:TGID_Z_EN: 0
; COMPUTE_PGM_RSRC2:TIDIG_COMP_CNT: 0
	.section	.text._ZN9rocsparseL19gebsrmvn_3xn_kernelILj128ELj2ELj32E21rocsparse_complex_numIfEEEvi20rocsparse_direction_NS_24const_host_device_scalarIT2_EEPKiS8_PKS5_SA_S6_PS5_21rocsparse_index_base_b,"axG",@progbits,_ZN9rocsparseL19gebsrmvn_3xn_kernelILj128ELj2ELj32E21rocsparse_complex_numIfEEEvi20rocsparse_direction_NS_24const_host_device_scalarIT2_EEPKiS8_PKS5_SA_S6_PS5_21rocsparse_index_base_b,comdat
	.globl	_ZN9rocsparseL19gebsrmvn_3xn_kernelILj128ELj2ELj32E21rocsparse_complex_numIfEEEvi20rocsparse_direction_NS_24const_host_device_scalarIT2_EEPKiS8_PKS5_SA_S6_PS5_21rocsparse_index_base_b ; -- Begin function _ZN9rocsparseL19gebsrmvn_3xn_kernelILj128ELj2ELj32E21rocsparse_complex_numIfEEEvi20rocsparse_direction_NS_24const_host_device_scalarIT2_EEPKiS8_PKS5_SA_S6_PS5_21rocsparse_index_base_b
	.p2align	8
	.type	_ZN9rocsparseL19gebsrmvn_3xn_kernelILj128ELj2ELj32E21rocsparse_complex_numIfEEEvi20rocsparse_direction_NS_24const_host_device_scalarIT2_EEPKiS8_PKS5_SA_S6_PS5_21rocsparse_index_base_b,@function
_ZN9rocsparseL19gebsrmvn_3xn_kernelILj128ELj2ELj32E21rocsparse_complex_numIfEEEvi20rocsparse_direction_NS_24const_host_device_scalarIT2_EEPKiS8_PKS5_SA_S6_PS5_21rocsparse_index_base_b: ; @_ZN9rocsparseL19gebsrmvn_3xn_kernelILj128ELj2ELj32E21rocsparse_complex_numIfEEEvi20rocsparse_direction_NS_24const_host_device_scalarIT2_EEPKiS8_PKS5_SA_S6_PS5_21rocsparse_index_base_b
; %bb.0:
	s_clause 0x2
	s_load_b64 s[12:13], s[0:1], 0x40
	s_load_b64 s[4:5], s[0:1], 0x8
	;; [unrolled: 1-line block ×3, first 2 shown]
	s_waitcnt lgkmcnt(0)
	s_bitcmp1_b32 s13, 0
	v_mov_b32_e32 v9, s4
	s_cselect_b32 s6, -1, 0
	s_delay_alu instid0(SALU_CYCLE_1)
	s_and_b32 vcc_lo, exec_lo, s6
	s_xor_b32 s6, s6, -1
	s_cbranch_vccz .LBB82_15
; %bb.1:
	v_cndmask_b32_e64 v1, 0, 1, s6
	v_mov_b32_e32 v10, s5
	s_and_not1_b32 vcc_lo, exec_lo, s6
	s_cbranch_vccz .LBB82_16
.LBB82_2:
	s_delay_alu instid0(VALU_DEP_2)
	v_cmp_ne_u32_e32 vcc_lo, 1, v1
	v_mov_b32_e32 v11, s2
	s_cbranch_vccz .LBB82_17
.LBB82_3:
	v_cmp_ne_u32_e32 vcc_lo, 1, v1
	v_mov_b32_e32 v12, s3
	s_cbranch_vccnz .LBB82_5
.LBB82_4:
	v_dual_mov_b32 v1, s2 :: v_dual_mov_b32 v2, s3
	flat_load_b32 v12, v[1:2] offset:4
.LBB82_5:
	s_waitcnt vmcnt(0) lgkmcnt(0)
	v_cmp_eq_f32_e32 vcc_lo, 0, v9
	v_cmp_eq_f32_e64 s2, 0, v10
	s_delay_alu instid0(VALU_DEP_1)
	s_and_b32 s4, vcc_lo, s2
	s_mov_b32 s2, -1
	s_and_saveexec_b32 s3, s4
; %bb.6:
	v_cmp_neq_f32_e32 vcc_lo, 1.0, v11
	v_cmp_neq_f32_e64 s2, 0, v12
	s_delay_alu instid0(VALU_DEP_1) | instskip(NEXT) | instid1(SALU_CYCLE_1)
	s_or_b32 s2, vcc_lo, s2
	s_or_not1_b32 s2, s2, exec_lo
; %bb.7:
	s_or_b32 exec_lo, exec_lo, s3
	s_and_saveexec_b32 s3, s2
	s_cbranch_execz .LBB82_29
; %bb.8:
	s_load_b64 s[2:3], s[0:1], 0x0
	v_lshrrev_b32_e32 v1, 5, v0
	s_delay_alu instid0(VALU_DEP_1) | instskip(SKIP_1) | instid1(VALU_DEP_1)
	v_lshl_or_b32 v1, s15, 2, v1
	s_waitcnt lgkmcnt(0)
	v_cmp_gt_i32_e32 vcc_lo, s2, v1
	s_and_b32 exec_lo, exec_lo, vcc_lo
	s_cbranch_execz .LBB82_29
; %bb.9:
	s_load_b256 s[4:11], s[0:1], 0x10
	v_ashrrev_i32_e32 v2, 31, v1
	v_and_b32_e32 v0, 31, v0
	s_cmp_lg_u32 s3, 0
	s_delay_alu instid0(VALU_DEP_2) | instskip(SKIP_1) | instid1(VALU_DEP_1)
	v_lshlrev_b64 v[2:3], 2, v[1:2]
	s_waitcnt lgkmcnt(0)
	v_add_co_u32 v2, vcc_lo, s4, v2
	s_delay_alu instid0(VALU_DEP_2) | instskip(SKIP_4) | instid1(VALU_DEP_2)
	v_add_co_ci_u32_e32 v3, vcc_lo, s5, v3, vcc_lo
	global_load_b64 v[2:3], v[2:3], off
	s_waitcnt vmcnt(0)
	v_subrev_nc_u32_e32 v2, s12, v2
	v_subrev_nc_u32_e32 v19, s12, v3
	v_add_nc_u32_e32 v2, v2, v0
	s_delay_alu instid0(VALU_DEP_1)
	v_cmp_lt_i32_e64 s2, v2, v19
	s_cbranch_scc0 .LBB82_18
; %bb.10:
	v_dual_mov_b32 v13, 0 :: v_dual_mov_b32 v16, 0
	v_dual_mov_b32 v17, 0 :: v_dual_mov_b32 v14, 0
	;; [unrolled: 1-line block ×3, first 2 shown]
	s_mov_b32 s4, 0
	s_and_saveexec_b32 s5, s2
	s_cbranch_execz .LBB82_14
; %bb.11:
	v_mad_u64_u32 v[3:4], null, v2, 6, 5
	v_dual_mov_b32 v6, 0 :: v_dual_mov_b32 v7, v2
	v_dual_mov_b32 v13, 0 :: v_dual_mov_b32 v16, 0
	;; [unrolled: 1-line block ×4, first 2 shown]
	s_mov_b32 s13, 0
.LBB82_12:                              ; =>This Inner Loop Header: Depth=1
	v_ashrrev_i32_e32 v8, 31, v7
	s_delay_alu instid0(VALU_DEP_1) | instskip(NEXT) | instid1(VALU_DEP_1)
	v_lshlrev_b64 v[4:5], 2, v[7:8]
	v_add_co_u32 v4, vcc_lo, s6, v4
	s_delay_alu instid0(VALU_DEP_2) | instskip(SKIP_2) | instid1(VALU_DEP_1)
	v_add_co_ci_u32_e32 v5, vcc_lo, s7, v5, vcc_lo
	global_load_b32 v8, v[4:5], off
	v_dual_mov_b32 v4, v6 :: v_dual_add_nc_u32 v5, -5, v3
	v_lshlrev_b64 v[20:21], 3, v[5:6]
	s_delay_alu instid0(VALU_DEP_2) | instskip(NEXT) | instid1(VALU_DEP_2)
	v_lshlrev_b64 v[22:23], 3, v[3:4]
	v_add_co_u32 v20, vcc_lo, s8, v20
	s_delay_alu instid0(VALU_DEP_3) | instskip(NEXT) | instid1(VALU_DEP_3)
	v_add_co_ci_u32_e32 v21, vcc_lo, s9, v21, vcc_lo
	v_add_co_u32 v28, vcc_lo, s8, v22
	s_delay_alu instid0(VALU_DEP_4) | instskip(SKIP_2) | instid1(VALU_DEP_1)
	v_add_co_ci_u32_e32 v29, vcc_lo, s9, v23, vcc_lo
	global_load_b128 v[20:23], v[20:21], off
	v_add_nc_u32_e32 v5, -3, v3
	v_lshlrev_b64 v[26:27], 3, v[5:6]
	s_delay_alu instid0(VALU_DEP_1) | instskip(NEXT) | instid1(VALU_DEP_2)
	v_add_co_u32 v26, vcc_lo, s8, v26
	v_add_co_ci_u32_e32 v27, vcc_lo, s9, v27, vcc_lo
	global_load_b64 v[32:33], v[26:27], off
	s_waitcnt vmcnt(2)
	v_subrev_nc_u32_e32 v8, s12, v8
	s_delay_alu instid0(VALU_DEP_1) | instskip(NEXT) | instid1(VALU_DEP_1)
	v_dual_mov_b32 v25, v6 :: v_dual_lshlrev_b32 v24, 1, v8
	v_lshlrev_b64 v[24:25], 3, v[24:25]
	s_delay_alu instid0(VALU_DEP_1) | instskip(NEXT) | instid1(VALU_DEP_1)
	v_add_co_u32 v24, s3, s10, v24
	v_add_co_ci_u32_e64 v25, s3, s11, v25, s3
	global_load_b128 v[24:27], v[24:25], off
	s_waitcnt vmcnt(0)
	v_dual_fmac_f32 v18, v22, v24 :: v_dual_add_nc_u32 v5, -2, v3
	s_delay_alu instid0(VALU_DEP_1) | instskip(SKIP_3) | instid1(VALU_DEP_3)
	v_lshlrev_b64 v[30:31], 3, v[5:6]
	v_dual_fmac_f32 v14, v33, v24 :: v_dual_add_nc_u32 v5, -1, v3
	v_dual_fmac_f32 v16, v20, v24 :: v_dual_add_nc_u32 v7, 32, v7
	v_fmac_f32_e32 v17, v32, v24
	v_lshlrev_b64 v[4:5], 3, v[5:6]
	s_delay_alu instid0(VALU_DEP_4) | instskip(SKIP_2) | instid1(VALU_DEP_4)
	v_fmac_f32_e32 v14, v32, v25
	v_add_co_u32 v30, vcc_lo, s8, v30
	v_add_co_ci_u32_e32 v31, vcc_lo, s9, v31, vcc_lo
	v_add_co_u32 v4, vcc_lo, s8, v4
	v_add_co_ci_u32_e32 v5, vcc_lo, s9, v5, vcc_lo
	s_clause 0x2
	global_load_b64 v[30:31], v[30:31], off
	global_load_b64 v[4:5], v[4:5], off
	;; [unrolled: 1-line block ×3, first 2 shown]
	v_fmac_f32_e32 v15, v23, v24
	v_fma_f32 v18, -v23, v25, v18
	v_fmac_f32_e32 v13, v21, v24
	v_fma_f32 v8, -v21, v25, v16
	v_fma_f32 v17, -v33, v25, v17
	v_add_nc_u32_e32 v3, 0xc0, v3
	v_cmp_ge_i32_e32 vcc_lo, v7, v19
	s_or_b32 s13, vcc_lo, s13
	s_waitcnt vmcnt(2)
	v_fmac_f32_e32 v8, v30, v26
	s_waitcnt vmcnt(1)
	v_fmac_f32_e32 v18, v4, v26
	s_waitcnt vmcnt(0)
	v_dual_fmac_f32 v13, v20, v25 :: v_dual_fmac_f32 v14, v29, v26
	v_fmac_f32_e32 v15, v22, v25
	v_fmac_f32_e32 v17, v28, v26
	v_fma_f32 v16, -v31, v27, v8
	s_delay_alu instid0(VALU_DEP_4) | instskip(NEXT) | instid1(VALU_DEP_4)
	v_dual_fmac_f32 v13, v31, v26 :: v_dual_fmac_f32 v14, v28, v27
	v_fmac_f32_e32 v15, v5, v26
	v_fma_f32 v18, -v5, v27, v18
	v_fma_f32 v17, -v29, v27, v17
	s_delay_alu instid0(VALU_DEP_4) | instskip(NEXT) | instid1(VALU_DEP_4)
	v_fmac_f32_e32 v13, v30, v27
	v_fmac_f32_e32 v15, v4, v27
	s_and_not1_b32 exec_lo, exec_lo, s13
	s_cbranch_execnz .LBB82_12
; %bb.13:
	s_or_b32 exec_lo, exec_lo, s13
.LBB82_14:
	s_delay_alu instid0(SALU_CYCLE_1) | instskip(NEXT) | instid1(SALU_CYCLE_1)
	s_or_b32 exec_lo, exec_lo, s5
	s_and_not1_b32 vcc_lo, exec_lo, s4
	s_cbranch_vccz .LBB82_19
	s_branch .LBB82_24
.LBB82_15:
	v_dual_mov_b32 v1, s4 :: v_dual_mov_b32 v2, s5
	flat_load_b32 v9, v[1:2]
	v_cndmask_b32_e64 v1, 0, 1, s6
	v_mov_b32_e32 v10, s5
	s_and_not1_b32 vcc_lo, exec_lo, s6
	s_cbranch_vccnz .LBB82_2
.LBB82_16:
	v_dual_mov_b32 v2, s4 :: v_dual_mov_b32 v3, s5
	flat_load_b32 v10, v[2:3] offset:4
	v_cmp_ne_u32_e32 vcc_lo, 1, v1
	v_mov_b32_e32 v11, s2
	s_cbranch_vccnz .LBB82_3
.LBB82_17:
	v_dual_mov_b32 v2, s2 :: v_dual_mov_b32 v3, s3
	flat_load_b32 v11, v[2:3]
	v_cmp_ne_u32_e32 vcc_lo, 1, v1
	v_mov_b32_e32 v12, s3
	s_cbranch_vccz .LBB82_4
	s_branch .LBB82_5
.LBB82_18:
                                        ; implicit-def: $vgpr13
                                        ; implicit-def: $vgpr16
                                        ; implicit-def: $vgpr17
                                        ; implicit-def: $vgpr14
                                        ; implicit-def: $vgpr18
                                        ; implicit-def: $vgpr15
.LBB82_19:
	v_dual_mov_b32 v13, 0 :: v_dual_mov_b32 v16, 0
	v_dual_mov_b32 v17, 0 :: v_dual_mov_b32 v14, 0
	v_dual_mov_b32 v18, 0 :: v_dual_mov_b32 v15, 0
	s_and_saveexec_b32 s3, s2
	s_cbranch_execz .LBB82_23
; %bb.20:
	v_mad_u64_u32 v[4:5], null, v2, 6, 5
	v_dual_mov_b32 v7, 0 :: v_dual_mov_b32 v16, 0
	v_dual_mov_b32 v13, 0 :: v_dual_mov_b32 v14, 0
	;; [unrolled: 1-line block ×3, first 2 shown]
	v_mov_b32_e32 v15, 0
	s_mov_b32 s4, 0
.LBB82_21:                              ; =>This Inner Loop Header: Depth=1
	v_ashrrev_i32_e32 v3, 31, v2
	v_dual_mov_b32 v21, v7 :: v_dual_add_nc_u32 v20, -3, v4
	v_dual_mov_b32 v23, v7 :: v_dual_add_nc_u32 v22, -1, v4
	s_delay_alu instid0(VALU_DEP_3) | instskip(SKIP_1) | instid1(VALU_DEP_4)
	v_lshlrev_b64 v[5:6], 2, v[2:3]
	v_mov_b32_e32 v25, v7
	v_lshlrev_b64 v[20:21], 3, v[20:21]
	s_delay_alu instid0(VALU_DEP_4) | instskip(NEXT) | instid1(VALU_DEP_4)
	v_lshlrev_b64 v[22:23], 3, v[22:23]
	v_add_co_u32 v5, vcc_lo, s6, v5
	v_add_co_ci_u32_e32 v6, vcc_lo, s7, v6, vcc_lo
	global_load_b32 v3, v[5:6], off
	v_dual_mov_b32 v5, v7 :: v_dual_add_nc_u32 v6, -5, v4
	s_delay_alu instid0(VALU_DEP_1) | instskip(SKIP_1) | instid1(VALU_DEP_3)
	v_lshlrev_b64 v[26:27], 3, v[6:7]
	v_add_nc_u32_e32 v6, -2, v4
	v_lshlrev_b64 v[28:29], 3, v[4:5]
	s_delay_alu instid0(VALU_DEP_2) | instskip(NEXT) | instid1(VALU_DEP_4)
	v_lshlrev_b64 v[5:6], 3, v[6:7]
	v_add_co_u32 v26, vcc_lo, s8, v26
	v_add_co_ci_u32_e32 v27, vcc_lo, s9, v27, vcc_lo
	v_add_co_u32 v30, vcc_lo, s8, v20
	v_add_co_ci_u32_e32 v31, vcc_lo, s9, v21, vcc_lo
	;; [unrolled: 2-line block ×3, first 2 shown]
	s_clause 0x2
	global_load_b128 v[20:23], v[26:27], off
	global_load_b64 v[30:31], v[30:31], off
	global_load_b64 v[32:33], v[32:33], off
	v_add_co_u32 v28, vcc_lo, s8, v28
	v_add_co_ci_u32_e32 v29, vcc_lo, s9, v29, vcc_lo
	v_add_co_u32 v5, vcc_lo, s8, v5
	v_add_co_ci_u32_e32 v6, vcc_lo, s9, v6, vcc_lo
	s_waitcnt vmcnt(3)
	v_subrev_nc_u32_e32 v3, s12, v3
	s_delay_alu instid0(VALU_DEP_1) | instskip(NEXT) | instid1(VALU_DEP_1)
	v_lshlrev_b32_e32 v24, 1, v3
	v_lshlrev_b64 v[24:25], 3, v[24:25]
	s_delay_alu instid0(VALU_DEP_1) | instskip(NEXT) | instid1(VALU_DEP_1)
	v_add_co_u32 v24, s2, s10, v24
	v_add_co_ci_u32_e64 v25, s2, s11, v25, s2
	global_load_b128 v[24:27], v[24:25], off
	s_clause 0x1
	global_load_b64 v[5:6], v[5:6], off
	global_load_b64 v[28:29], v[28:29], off
	s_waitcnt vmcnt(2)
	v_dual_fmac_f32 v13, v21, v24 :: v_dual_add_nc_u32 v2, 32, v2
	v_fmac_f32_e32 v16, v20, v24
	v_fmac_f32_e32 v14, v33, v24
	;; [unrolled: 1-line block ×3, first 2 shown]
	s_delay_alu instid0(VALU_DEP_4) | instskip(SKIP_4) | instid1(VALU_DEP_4)
	v_cmp_ge_i32_e32 vcc_lo, v2, v19
	v_dual_fmac_f32 v13, v20, v25 :: v_dual_fmac_f32 v18, v30, v24
	v_fma_f32 v3, -v21, v25, v16
	v_fmac_f32_e32 v14, v32, v25
	v_dual_fmac_f32 v15, v30, v25 :: v_dual_add_nc_u32 v4, 0xc0, v4
	v_fmac_f32_e32 v13, v23, v26
	v_fma_f32 v8, -v31, v25, v18
	v_fmac_f32_e32 v17, v32, v24
	v_fmac_f32_e32 v3, v22, v26
	s_waitcnt vmcnt(1)
	v_fmac_f32_e32 v15, v6, v26
	s_waitcnt vmcnt(0)
	v_dual_fmac_f32 v14, v29, v26 :: v_dual_fmac_f32 v13, v22, v27
	v_fmac_f32_e32 v8, v5, v26
	v_fma_f32 v17, -v33, v25, v17
	v_fma_f32 v16, -v23, v27, v3
	v_fmac_f32_e32 v15, v5, v27
	v_fmac_f32_e32 v14, v28, v27
	v_fma_f32 v18, -v6, v27, v8
	v_fmac_f32_e32 v17, v28, v26
	s_or_b32 s4, vcc_lo, s4
	s_delay_alu instid0(VALU_DEP_1)
	v_fma_f32 v17, -v29, v27, v17
	s_and_not1_b32 exec_lo, exec_lo, s4
	s_cbranch_execnz .LBB82_21
; %bb.22:
	s_or_b32 exec_lo, exec_lo, s4
.LBB82_23:
	s_delay_alu instid0(SALU_CYCLE_1)
	s_or_b32 exec_lo, exec_lo, s3
.LBB82_24:
	v_mbcnt_lo_u32_b32 v2, -1, 0
	s_delay_alu instid0(VALU_DEP_1) | instskip(SKIP_1) | instid1(VALU_DEP_2)
	v_xor_b32_e32 v3, 16, v2
	v_xor_b32_e32 v19, 8, v2
	v_cmp_gt_i32_e32 vcc_lo, 32, v3
	v_cndmask_b32_e32 v3, v2, v3, vcc_lo
	s_delay_alu instid0(VALU_DEP_3) | instskip(NEXT) | instid1(VALU_DEP_2)
	v_cmp_gt_i32_e32 vcc_lo, 32, v19
	v_lshlrev_b32_e32 v3, 2, v3
	ds_bpermute_b32 v6, v3, v18
	s_waitcnt lgkmcnt(0)
	v_add_f32_e32 v6, v18, v6
	ds_bpermute_b32 v4, v3, v16
	ds_bpermute_b32 v8, v3, v17
	;; [unrolled: 1-line block ×3, first 2 shown]
	v_cndmask_b32_e32 v19, v2, v19, vcc_lo
	ds_bpermute_b32 v7, v3, v15
	ds_bpermute_b32 v3, v3, v14
	s_waitcnt lgkmcnt(4)
	v_add_f32_e32 v4, v16, v4
	s_waitcnt lgkmcnt(3)
	v_dual_add_f32 v8, v17, v8 :: v_dual_lshlrev_b32 v19, 2, v19
	s_waitcnt lgkmcnt(2)
	v_add_f32_e32 v5, v13, v5
	ds_bpermute_b32 v13, v19, v4
	s_waitcnt lgkmcnt(0)
	v_add_f32_e32 v4, v4, v13
	ds_bpermute_b32 v17, v19, v8
	v_add_f32_e32 v7, v15, v7
	ds_bpermute_b32 v15, v19, v6
	;; [unrolled: 2-line block ×3, first 2 shown]
	s_waitcnt lgkmcnt(2)
	v_add_f32_e32 v8, v8, v17
	ds_bpermute_b32 v16, v19, v7
	s_waitcnt lgkmcnt(2)
	v_add_f32_e32 v6, v6, v15
	ds_bpermute_b32 v14, v19, v5
	v_xor_b32_e32 v19, 4, v2
	s_delay_alu instid0(VALU_DEP_1) | instskip(SKIP_1) | instid1(VALU_DEP_1)
	v_cmp_gt_i32_e32 vcc_lo, 32, v19
	v_cndmask_b32_e32 v19, v2, v19, vcc_lo
	v_lshlrev_b32_e32 v19, 2, v19
	s_waitcnt lgkmcnt(1)
	v_add_f32_e32 v7, v7, v16
	ds_bpermute_b32 v13, v19, v4
	ds_bpermute_b32 v15, v19, v6
	s_waitcnt lgkmcnt(2)
	v_add_f32_e32 v5, v5, v14
	ds_bpermute_b32 v16, v19, v7
	ds_bpermute_b32 v17, v19, v8
	s_waitcnt lgkmcnt(3)
	v_add_f32_e32 v4, v4, v13
	s_waitcnt lgkmcnt(2)
	v_dual_add_f32 v6, v6, v15 :: v_dual_add_f32 v3, v3, v18
	ds_bpermute_b32 v14, v19, v5
	s_waitcnt lgkmcnt(2)
	v_add_f32_e32 v13, v7, v16
	ds_bpermute_b32 v18, v19, v3
	v_xor_b32_e32 v19, 2, v2
	s_delay_alu instid0(VALU_DEP_1) | instskip(SKIP_3) | instid1(VALU_DEP_1)
	v_cmp_gt_i32_e32 vcc_lo, 32, v19
	s_waitcnt lgkmcnt(0)
	v_add_f32_e32 v15, v3, v18
	v_cndmask_b32_e32 v19, v2, v19, vcc_lo
	v_lshlrev_b32_e32 v19, 2, v19
	ds_bpermute_b32 v3, v19, v4
	v_dual_add_f32 v5, v5, v14 :: v_dual_add_f32 v14, v8, v17
	ds_bpermute_b32 v8, v19, v6
	ds_bpermute_b32 v16, v19, v13
	ds_bpermute_b32 v18, v19, v15
	ds_bpermute_b32 v7, v19, v5
	ds_bpermute_b32 v17, v19, v14
	v_xor_b32_e32 v19, 1, v2
	s_delay_alu instid0(VALU_DEP_1) | instskip(SKIP_3) | instid1(VALU_DEP_2)
	v_cmp_gt_i32_e32 vcc_lo, 32, v19
	v_cndmask_b32_e32 v2, v2, v19, vcc_lo
	v_cmp_eq_u32_e32 vcc_lo, 31, v0
	s_waitcnt lgkmcnt(5)
	v_dual_add_f32 v2, v4, v3 :: v_dual_lshlrev_b32 v19, 2, v2
	s_waitcnt lgkmcnt(1)
	v_dual_add_f32 v4, v15, v18 :: v_dual_add_f32 v5, v5, v7
	v_add_f32_e32 v7, v6, v8
	s_waitcnt lgkmcnt(0)
	v_dual_add_f32 v8, v13, v16 :: v_dual_add_f32 v3, v14, v17
	ds_bpermute_b32 v6, v19, v2
	ds_bpermute_b32 v15, v19, v5
	;; [unrolled: 1-line block ×6, first 2 shown]
	s_and_b32 exec_lo, exec_lo, vcc_lo
	s_cbranch_execz .LBB82_29
; %bb.25:
	s_load_b64 s[2:3], s[0:1], 0x38
	v_cmp_eq_f32_e32 vcc_lo, 0, v11
	v_cmp_eq_f32_e64 s0, 0, v12
	s_waitcnt lgkmcnt(0)
	v_add_f32_e32 v0, v2, v6
	v_dual_add_f32 v6, v5, v15 :: v_dual_add_f32 v3, v3, v13
	v_dual_add_f32 v2, v7, v16 :: v_dual_add_f32 v5, v8, v17
	v_add_f32_e32 v4, v4, v14
	s_and_b32 s0, vcc_lo, s0
	s_delay_alu instid0(SALU_CYCLE_1) | instskip(NEXT) | instid1(SALU_CYCLE_1)
	s_and_saveexec_b32 s1, s0
	s_xor_b32 s0, exec_lo, s1
	s_cbranch_execz .LBB82_27
; %bb.26:
	v_lshl_add_u32 v7, v1, 1, v1
	v_mul_f32_e64 v11, v6, -v10
	v_mul_f32_e32 v12, v6, v9
	v_mul_f32_e64 v13, v5, -v10
	v_mul_f32_e32 v14, v5, v9
	v_ashrrev_i32_e32 v8, 31, v7
	v_fmac_f32_e32 v11, v9, v0
	v_mul_f32_e64 v5, v4, -v10
	v_dual_mul_f32 v6, v4, v9 :: v_dual_fmac_f32 v13, v9, v2
	s_delay_alu instid0(VALU_DEP_4) | instskip(NEXT) | instid1(VALU_DEP_3)
	v_lshlrev_b64 v[7:8], 3, v[7:8]
	v_dual_fmac_f32 v12, v10, v0 :: v_dual_fmac_f32 v5, v9, v3
	v_fmac_f32_e32 v14, v10, v2
	s_delay_alu instid0(VALU_DEP_4) | instskip(NEXT) | instid1(VALU_DEP_4)
	v_fmac_f32_e32 v6, v10, v3
                                        ; implicit-def: $vgpr9
                                        ; implicit-def: $vgpr10
                                        ; implicit-def: $vgpr2
                                        ; implicit-def: $vgpr3
                                        ; implicit-def: $vgpr4
	v_add_co_u32 v0, vcc_lo, s2, v7
	v_add_co_ci_u32_e32 v1, vcc_lo, s3, v8, vcc_lo
	s_clause 0x1
	global_store_b128 v[0:1], v[11:14], off
	global_store_b64 v[0:1], v[5:6], off offset:16
                                        ; implicit-def: $vgpr11
                                        ; implicit-def: $vgpr12
                                        ; implicit-def: $vgpr1
                                        ; implicit-def: $vgpr0
                                        ; implicit-def: $vgpr6
                                        ; implicit-def: $vgpr5
.LBB82_27:
	s_and_not1_saveexec_b32 s0, s0
	s_cbranch_execz .LBB82_29
; %bb.28:
	v_lshl_add_u32 v7, v1, 1, v1
	v_mul_f32_e64 v21, v5, -v10
	v_mul_f32_e64 v22, v4, -v10
	s_delay_alu instid0(VALU_DEP_3) | instskip(NEXT) | instid1(VALU_DEP_1)
	v_ashrrev_i32_e32 v8, 31, v7
	v_lshlrev_b64 v[7:8], 3, v[7:8]
	s_delay_alu instid0(VALU_DEP_1) | instskip(NEXT) | instid1(VALU_DEP_2)
	v_add_co_u32 v17, vcc_lo, s2, v7
	v_add_co_ci_u32_e32 v18, vcc_lo, s3, v8, vcc_lo
	v_mul_f32_e64 v7, v6, -v10
	v_mul_f32_e32 v6, v6, v9
	s_clause 0x1
	global_load_b128 v[13:16], v[17:18], off
	global_load_b64 v[19:20], v[17:18], off offset:16
	v_fmac_f32_e32 v7, v9, v0
	v_dual_mul_f32 v1, v4, v9 :: v_dual_fmac_f32 v6, v10, v0
	v_mul_f32_e32 v8, v5, v9
	v_fmac_f32_e32 v21, v9, v2
	s_delay_alu instid0(VALU_DEP_3) | instskip(SKIP_1) | instid1(VALU_DEP_3)
	v_fmac_f32_e32 v1, v10, v3
	s_waitcnt vmcnt(1)
	v_dual_fmac_f32 v8, v10, v2 :: v_dual_fmac_f32 v7, v11, v13
	v_fmac_f32_e32 v6, v12, v13
	s_waitcnt vmcnt(0)
	v_fmac_f32_e32 v1, v12, v19
	v_fmac_f32_e32 v21, v11, v15
	;; [unrolled: 1-line block ×3, first 2 shown]
	v_fma_f32 v5, -v12, v14, v7
	v_fmac_f32_e32 v6, v11, v14
	v_dual_fmac_f32 v22, v9, v3 :: v_dual_fmac_f32 v1, v11, v20
	v_fma_f32 v7, -v12, v16, v21
	v_fmac_f32_e32 v8, v11, v16
	s_delay_alu instid0(VALU_DEP_3) | instskip(NEXT) | instid1(VALU_DEP_1)
	v_fmac_f32_e32 v22, v11, v19
	v_fma_f32 v0, -v12, v20, v22
	s_clause 0x1
	global_store_b128 v[17:18], v[5:8], off
	global_store_b64 v[17:18], v[0:1], off offset:16
.LBB82_29:
	s_nop 0
	s_sendmsg sendmsg(MSG_DEALLOC_VGPRS)
	s_endpgm
	.section	.rodata,"a",@progbits
	.p2align	6, 0x0
	.amdhsa_kernel _ZN9rocsparseL19gebsrmvn_3xn_kernelILj128ELj2ELj32E21rocsparse_complex_numIfEEEvi20rocsparse_direction_NS_24const_host_device_scalarIT2_EEPKiS8_PKS5_SA_S6_PS5_21rocsparse_index_base_b
		.amdhsa_group_segment_fixed_size 0
		.amdhsa_private_segment_fixed_size 0
		.amdhsa_kernarg_size 72
		.amdhsa_user_sgpr_count 15
		.amdhsa_user_sgpr_dispatch_ptr 0
		.amdhsa_user_sgpr_queue_ptr 0
		.amdhsa_user_sgpr_kernarg_segment_ptr 1
		.amdhsa_user_sgpr_dispatch_id 0
		.amdhsa_user_sgpr_private_segment_size 0
		.amdhsa_wavefront_size32 1
		.amdhsa_uses_dynamic_stack 0
		.amdhsa_enable_private_segment 0
		.amdhsa_system_sgpr_workgroup_id_x 1
		.amdhsa_system_sgpr_workgroup_id_y 0
		.amdhsa_system_sgpr_workgroup_id_z 0
		.amdhsa_system_sgpr_workgroup_info 0
		.amdhsa_system_vgpr_workitem_id 0
		.amdhsa_next_free_vgpr 34
		.amdhsa_next_free_sgpr 16
		.amdhsa_reserve_vcc 1
		.amdhsa_float_round_mode_32 0
		.amdhsa_float_round_mode_16_64 0
		.amdhsa_float_denorm_mode_32 3
		.amdhsa_float_denorm_mode_16_64 3
		.amdhsa_dx10_clamp 1
		.amdhsa_ieee_mode 1
		.amdhsa_fp16_overflow 0
		.amdhsa_workgroup_processor_mode 1
		.amdhsa_memory_ordered 1
		.amdhsa_forward_progress 0
		.amdhsa_shared_vgpr_count 0
		.amdhsa_exception_fp_ieee_invalid_op 0
		.amdhsa_exception_fp_denorm_src 0
		.amdhsa_exception_fp_ieee_div_zero 0
		.amdhsa_exception_fp_ieee_overflow 0
		.amdhsa_exception_fp_ieee_underflow 0
		.amdhsa_exception_fp_ieee_inexact 0
		.amdhsa_exception_int_div_zero 0
	.end_amdhsa_kernel
	.section	.text._ZN9rocsparseL19gebsrmvn_3xn_kernelILj128ELj2ELj32E21rocsparse_complex_numIfEEEvi20rocsparse_direction_NS_24const_host_device_scalarIT2_EEPKiS8_PKS5_SA_S6_PS5_21rocsparse_index_base_b,"axG",@progbits,_ZN9rocsparseL19gebsrmvn_3xn_kernelILj128ELj2ELj32E21rocsparse_complex_numIfEEEvi20rocsparse_direction_NS_24const_host_device_scalarIT2_EEPKiS8_PKS5_SA_S6_PS5_21rocsparse_index_base_b,comdat
.Lfunc_end82:
	.size	_ZN9rocsparseL19gebsrmvn_3xn_kernelILj128ELj2ELj32E21rocsparse_complex_numIfEEEvi20rocsparse_direction_NS_24const_host_device_scalarIT2_EEPKiS8_PKS5_SA_S6_PS5_21rocsparse_index_base_b, .Lfunc_end82-_ZN9rocsparseL19gebsrmvn_3xn_kernelILj128ELj2ELj32E21rocsparse_complex_numIfEEEvi20rocsparse_direction_NS_24const_host_device_scalarIT2_EEPKiS8_PKS5_SA_S6_PS5_21rocsparse_index_base_b
                                        ; -- End function
	.section	.AMDGPU.csdata,"",@progbits
; Kernel info:
; codeLenInByte = 2456
; NumSgprs: 18
; NumVgprs: 34
; ScratchSize: 0
; MemoryBound: 0
; FloatMode: 240
; IeeeMode: 1
; LDSByteSize: 0 bytes/workgroup (compile time only)
; SGPRBlocks: 2
; VGPRBlocks: 4
; NumSGPRsForWavesPerEU: 18
; NumVGPRsForWavesPerEU: 34
; Occupancy: 16
; WaveLimiterHint : 1
; COMPUTE_PGM_RSRC2:SCRATCH_EN: 0
; COMPUTE_PGM_RSRC2:USER_SGPR: 15
; COMPUTE_PGM_RSRC2:TRAP_HANDLER: 0
; COMPUTE_PGM_RSRC2:TGID_X_EN: 1
; COMPUTE_PGM_RSRC2:TGID_Y_EN: 0
; COMPUTE_PGM_RSRC2:TGID_Z_EN: 0
; COMPUTE_PGM_RSRC2:TIDIG_COMP_CNT: 0
	.section	.text._ZN9rocsparseL19gebsrmvn_3xn_kernelILj128ELj2ELj64E21rocsparse_complex_numIfEEEvi20rocsparse_direction_NS_24const_host_device_scalarIT2_EEPKiS8_PKS5_SA_S6_PS5_21rocsparse_index_base_b,"axG",@progbits,_ZN9rocsparseL19gebsrmvn_3xn_kernelILj128ELj2ELj64E21rocsparse_complex_numIfEEEvi20rocsparse_direction_NS_24const_host_device_scalarIT2_EEPKiS8_PKS5_SA_S6_PS5_21rocsparse_index_base_b,comdat
	.globl	_ZN9rocsparseL19gebsrmvn_3xn_kernelILj128ELj2ELj64E21rocsparse_complex_numIfEEEvi20rocsparse_direction_NS_24const_host_device_scalarIT2_EEPKiS8_PKS5_SA_S6_PS5_21rocsparse_index_base_b ; -- Begin function _ZN9rocsparseL19gebsrmvn_3xn_kernelILj128ELj2ELj64E21rocsparse_complex_numIfEEEvi20rocsparse_direction_NS_24const_host_device_scalarIT2_EEPKiS8_PKS5_SA_S6_PS5_21rocsparse_index_base_b
	.p2align	8
	.type	_ZN9rocsparseL19gebsrmvn_3xn_kernelILj128ELj2ELj64E21rocsparse_complex_numIfEEEvi20rocsparse_direction_NS_24const_host_device_scalarIT2_EEPKiS8_PKS5_SA_S6_PS5_21rocsparse_index_base_b,@function
_ZN9rocsparseL19gebsrmvn_3xn_kernelILj128ELj2ELj64E21rocsparse_complex_numIfEEEvi20rocsparse_direction_NS_24const_host_device_scalarIT2_EEPKiS8_PKS5_SA_S6_PS5_21rocsparse_index_base_b: ; @_ZN9rocsparseL19gebsrmvn_3xn_kernelILj128ELj2ELj64E21rocsparse_complex_numIfEEEvi20rocsparse_direction_NS_24const_host_device_scalarIT2_EEPKiS8_PKS5_SA_S6_PS5_21rocsparse_index_base_b
; %bb.0:
	s_clause 0x2
	s_load_b64 s[12:13], s[0:1], 0x40
	s_load_b64 s[4:5], s[0:1], 0x8
	;; [unrolled: 1-line block ×3, first 2 shown]
	s_waitcnt lgkmcnt(0)
	s_bitcmp1_b32 s13, 0
	v_mov_b32_e32 v9, s4
	s_cselect_b32 s6, -1, 0
	s_delay_alu instid0(SALU_CYCLE_1)
	s_and_b32 vcc_lo, exec_lo, s6
	s_xor_b32 s6, s6, -1
	s_cbranch_vccz .LBB83_15
; %bb.1:
	v_cndmask_b32_e64 v1, 0, 1, s6
	v_mov_b32_e32 v10, s5
	s_and_not1_b32 vcc_lo, exec_lo, s6
	s_cbranch_vccz .LBB83_16
.LBB83_2:
	s_delay_alu instid0(VALU_DEP_2)
	v_cmp_ne_u32_e32 vcc_lo, 1, v1
	v_mov_b32_e32 v11, s2
	s_cbranch_vccz .LBB83_17
.LBB83_3:
	v_cmp_ne_u32_e32 vcc_lo, 1, v1
	v_mov_b32_e32 v12, s3
	s_cbranch_vccnz .LBB83_5
.LBB83_4:
	v_dual_mov_b32 v1, s2 :: v_dual_mov_b32 v2, s3
	flat_load_b32 v12, v[1:2] offset:4
.LBB83_5:
	s_waitcnt vmcnt(0) lgkmcnt(0)
	v_cmp_eq_f32_e32 vcc_lo, 0, v9
	v_cmp_eq_f32_e64 s2, 0, v10
	s_delay_alu instid0(VALU_DEP_1)
	s_and_b32 s4, vcc_lo, s2
	s_mov_b32 s2, -1
	s_and_saveexec_b32 s3, s4
; %bb.6:
	v_cmp_neq_f32_e32 vcc_lo, 1.0, v11
	v_cmp_neq_f32_e64 s2, 0, v12
	s_delay_alu instid0(VALU_DEP_1) | instskip(NEXT) | instid1(SALU_CYCLE_1)
	s_or_b32 s2, vcc_lo, s2
	s_or_not1_b32 s2, s2, exec_lo
; %bb.7:
	s_or_b32 exec_lo, exec_lo, s3
	s_and_saveexec_b32 s3, s2
	s_cbranch_execz .LBB83_29
; %bb.8:
	s_load_b64 s[2:3], s[0:1], 0x0
	v_lshrrev_b32_e32 v1, 6, v0
	s_delay_alu instid0(VALU_DEP_1) | instskip(SKIP_1) | instid1(VALU_DEP_1)
	v_lshl_or_b32 v1, s15, 1, v1
	s_waitcnt lgkmcnt(0)
	v_cmp_gt_i32_e32 vcc_lo, s2, v1
	s_and_b32 exec_lo, exec_lo, vcc_lo
	s_cbranch_execz .LBB83_29
; %bb.9:
	s_load_b256 s[4:11], s[0:1], 0x10
	v_ashrrev_i32_e32 v2, 31, v1
	v_and_b32_e32 v0, 63, v0
	s_cmp_lg_u32 s3, 0
	s_delay_alu instid0(VALU_DEP_2) | instskip(SKIP_1) | instid1(VALU_DEP_1)
	v_lshlrev_b64 v[2:3], 2, v[1:2]
	s_waitcnt lgkmcnt(0)
	v_add_co_u32 v2, vcc_lo, s4, v2
	s_delay_alu instid0(VALU_DEP_2) | instskip(SKIP_4) | instid1(VALU_DEP_2)
	v_add_co_ci_u32_e32 v3, vcc_lo, s5, v3, vcc_lo
	global_load_b64 v[2:3], v[2:3], off
	s_waitcnt vmcnt(0)
	v_subrev_nc_u32_e32 v2, s12, v2
	v_subrev_nc_u32_e32 v19, s12, v3
	v_add_nc_u32_e32 v2, v2, v0
	s_delay_alu instid0(VALU_DEP_1)
	v_cmp_lt_i32_e64 s2, v2, v19
	s_cbranch_scc0 .LBB83_18
; %bb.10:
	v_dual_mov_b32 v13, 0 :: v_dual_mov_b32 v16, 0
	v_dual_mov_b32 v17, 0 :: v_dual_mov_b32 v14, 0
	;; [unrolled: 1-line block ×3, first 2 shown]
	s_mov_b32 s4, 0
	s_and_saveexec_b32 s5, s2
	s_cbranch_execz .LBB83_14
; %bb.11:
	v_mad_u64_u32 v[3:4], null, v2, 6, 5
	v_dual_mov_b32 v6, 0 :: v_dual_mov_b32 v7, v2
	v_dual_mov_b32 v13, 0 :: v_dual_mov_b32 v16, 0
	;; [unrolled: 1-line block ×4, first 2 shown]
	s_mov_b32 s13, 0
.LBB83_12:                              ; =>This Inner Loop Header: Depth=1
	v_ashrrev_i32_e32 v8, 31, v7
	s_delay_alu instid0(VALU_DEP_1) | instskip(NEXT) | instid1(VALU_DEP_1)
	v_lshlrev_b64 v[4:5], 2, v[7:8]
	v_add_co_u32 v4, vcc_lo, s6, v4
	s_delay_alu instid0(VALU_DEP_2) | instskip(SKIP_2) | instid1(VALU_DEP_1)
	v_add_co_ci_u32_e32 v5, vcc_lo, s7, v5, vcc_lo
	global_load_b32 v8, v[4:5], off
	v_dual_mov_b32 v4, v6 :: v_dual_add_nc_u32 v5, -5, v3
	v_lshlrev_b64 v[20:21], 3, v[5:6]
	s_delay_alu instid0(VALU_DEP_2) | instskip(NEXT) | instid1(VALU_DEP_2)
	v_lshlrev_b64 v[22:23], 3, v[3:4]
	v_add_co_u32 v20, vcc_lo, s8, v20
	s_delay_alu instid0(VALU_DEP_3) | instskip(NEXT) | instid1(VALU_DEP_3)
	v_add_co_ci_u32_e32 v21, vcc_lo, s9, v21, vcc_lo
	v_add_co_u32 v28, vcc_lo, s8, v22
	s_delay_alu instid0(VALU_DEP_4) | instskip(SKIP_2) | instid1(VALU_DEP_1)
	v_add_co_ci_u32_e32 v29, vcc_lo, s9, v23, vcc_lo
	global_load_b128 v[20:23], v[20:21], off
	v_add_nc_u32_e32 v5, -3, v3
	v_lshlrev_b64 v[26:27], 3, v[5:6]
	s_delay_alu instid0(VALU_DEP_1) | instskip(NEXT) | instid1(VALU_DEP_2)
	v_add_co_u32 v26, vcc_lo, s8, v26
	v_add_co_ci_u32_e32 v27, vcc_lo, s9, v27, vcc_lo
	global_load_b64 v[32:33], v[26:27], off
	s_waitcnt vmcnt(2)
	v_subrev_nc_u32_e32 v8, s12, v8
	s_delay_alu instid0(VALU_DEP_1) | instskip(NEXT) | instid1(VALU_DEP_1)
	v_dual_mov_b32 v25, v6 :: v_dual_lshlrev_b32 v24, 1, v8
	v_lshlrev_b64 v[24:25], 3, v[24:25]
	s_delay_alu instid0(VALU_DEP_1) | instskip(NEXT) | instid1(VALU_DEP_1)
	v_add_co_u32 v24, s3, s10, v24
	v_add_co_ci_u32_e64 v25, s3, s11, v25, s3
	global_load_b128 v[24:27], v[24:25], off
	s_waitcnt vmcnt(0)
	v_dual_fmac_f32 v18, v22, v24 :: v_dual_add_nc_u32 v5, -2, v3
	s_delay_alu instid0(VALU_DEP_1) | instskip(SKIP_3) | instid1(VALU_DEP_3)
	v_lshlrev_b64 v[30:31], 3, v[5:6]
	v_dual_fmac_f32 v14, v33, v24 :: v_dual_add_nc_u32 v5, -1, v3
	v_dual_fmac_f32 v16, v20, v24 :: v_dual_add_nc_u32 v7, 64, v7
	v_fmac_f32_e32 v17, v32, v24
	v_lshlrev_b64 v[4:5], 3, v[5:6]
	s_delay_alu instid0(VALU_DEP_4) | instskip(SKIP_2) | instid1(VALU_DEP_4)
	v_fmac_f32_e32 v14, v32, v25
	v_add_co_u32 v30, vcc_lo, s8, v30
	v_add_co_ci_u32_e32 v31, vcc_lo, s9, v31, vcc_lo
	v_add_co_u32 v4, vcc_lo, s8, v4
	v_add_co_ci_u32_e32 v5, vcc_lo, s9, v5, vcc_lo
	s_clause 0x2
	global_load_b64 v[30:31], v[30:31], off
	global_load_b64 v[4:5], v[4:5], off
	;; [unrolled: 1-line block ×3, first 2 shown]
	v_fmac_f32_e32 v15, v23, v24
	v_fma_f32 v18, -v23, v25, v18
	v_fmac_f32_e32 v13, v21, v24
	v_fma_f32 v8, -v21, v25, v16
	v_fma_f32 v17, -v33, v25, v17
	v_add_nc_u32_e32 v3, 0x180, v3
	v_cmp_ge_i32_e32 vcc_lo, v7, v19
	s_or_b32 s13, vcc_lo, s13
	s_waitcnt vmcnt(2)
	v_fmac_f32_e32 v8, v30, v26
	s_waitcnt vmcnt(1)
	v_fmac_f32_e32 v18, v4, v26
	s_waitcnt vmcnt(0)
	v_dual_fmac_f32 v13, v20, v25 :: v_dual_fmac_f32 v14, v29, v26
	v_fmac_f32_e32 v15, v22, v25
	v_fmac_f32_e32 v17, v28, v26
	v_fma_f32 v16, -v31, v27, v8
	s_delay_alu instid0(VALU_DEP_4) | instskip(NEXT) | instid1(VALU_DEP_4)
	v_dual_fmac_f32 v13, v31, v26 :: v_dual_fmac_f32 v14, v28, v27
	v_fmac_f32_e32 v15, v5, v26
	v_fma_f32 v18, -v5, v27, v18
	v_fma_f32 v17, -v29, v27, v17
	s_delay_alu instid0(VALU_DEP_4) | instskip(NEXT) | instid1(VALU_DEP_4)
	v_fmac_f32_e32 v13, v30, v27
	v_fmac_f32_e32 v15, v4, v27
	s_and_not1_b32 exec_lo, exec_lo, s13
	s_cbranch_execnz .LBB83_12
; %bb.13:
	s_or_b32 exec_lo, exec_lo, s13
.LBB83_14:
	s_delay_alu instid0(SALU_CYCLE_1) | instskip(NEXT) | instid1(SALU_CYCLE_1)
	s_or_b32 exec_lo, exec_lo, s5
	s_and_not1_b32 vcc_lo, exec_lo, s4
	s_cbranch_vccz .LBB83_19
	s_branch .LBB83_24
.LBB83_15:
	v_dual_mov_b32 v1, s4 :: v_dual_mov_b32 v2, s5
	flat_load_b32 v9, v[1:2]
	v_cndmask_b32_e64 v1, 0, 1, s6
	v_mov_b32_e32 v10, s5
	s_and_not1_b32 vcc_lo, exec_lo, s6
	s_cbranch_vccnz .LBB83_2
.LBB83_16:
	v_dual_mov_b32 v2, s4 :: v_dual_mov_b32 v3, s5
	flat_load_b32 v10, v[2:3] offset:4
	v_cmp_ne_u32_e32 vcc_lo, 1, v1
	v_mov_b32_e32 v11, s2
	s_cbranch_vccnz .LBB83_3
.LBB83_17:
	v_dual_mov_b32 v2, s2 :: v_dual_mov_b32 v3, s3
	flat_load_b32 v11, v[2:3]
	v_cmp_ne_u32_e32 vcc_lo, 1, v1
	v_mov_b32_e32 v12, s3
	s_cbranch_vccz .LBB83_4
	s_branch .LBB83_5
.LBB83_18:
                                        ; implicit-def: $vgpr13
                                        ; implicit-def: $vgpr16
                                        ; implicit-def: $vgpr17
                                        ; implicit-def: $vgpr14
                                        ; implicit-def: $vgpr18
                                        ; implicit-def: $vgpr15
.LBB83_19:
	v_dual_mov_b32 v13, 0 :: v_dual_mov_b32 v16, 0
	v_dual_mov_b32 v17, 0 :: v_dual_mov_b32 v14, 0
	;; [unrolled: 1-line block ×3, first 2 shown]
	s_and_saveexec_b32 s3, s2
	s_cbranch_execz .LBB83_23
; %bb.20:
	v_mad_u64_u32 v[4:5], null, v2, 6, 5
	v_dual_mov_b32 v7, 0 :: v_dual_mov_b32 v16, 0
	v_dual_mov_b32 v13, 0 :: v_dual_mov_b32 v14, 0
	;; [unrolled: 1-line block ×3, first 2 shown]
	v_mov_b32_e32 v15, 0
	s_mov_b32 s4, 0
.LBB83_21:                              ; =>This Inner Loop Header: Depth=1
	v_ashrrev_i32_e32 v3, 31, v2
	v_dual_mov_b32 v21, v7 :: v_dual_add_nc_u32 v20, -3, v4
	v_dual_mov_b32 v23, v7 :: v_dual_add_nc_u32 v22, -1, v4
	s_delay_alu instid0(VALU_DEP_3) | instskip(SKIP_1) | instid1(VALU_DEP_4)
	v_lshlrev_b64 v[5:6], 2, v[2:3]
	v_mov_b32_e32 v25, v7
	v_lshlrev_b64 v[20:21], 3, v[20:21]
	s_delay_alu instid0(VALU_DEP_4) | instskip(NEXT) | instid1(VALU_DEP_4)
	v_lshlrev_b64 v[22:23], 3, v[22:23]
	v_add_co_u32 v5, vcc_lo, s6, v5
	v_add_co_ci_u32_e32 v6, vcc_lo, s7, v6, vcc_lo
	global_load_b32 v3, v[5:6], off
	v_dual_mov_b32 v5, v7 :: v_dual_add_nc_u32 v6, -5, v4
	s_delay_alu instid0(VALU_DEP_1) | instskip(SKIP_1) | instid1(VALU_DEP_3)
	v_lshlrev_b64 v[26:27], 3, v[6:7]
	v_add_nc_u32_e32 v6, -2, v4
	v_lshlrev_b64 v[28:29], 3, v[4:5]
	s_delay_alu instid0(VALU_DEP_2) | instskip(NEXT) | instid1(VALU_DEP_4)
	v_lshlrev_b64 v[5:6], 3, v[6:7]
	v_add_co_u32 v26, vcc_lo, s8, v26
	v_add_co_ci_u32_e32 v27, vcc_lo, s9, v27, vcc_lo
	v_add_co_u32 v30, vcc_lo, s8, v20
	v_add_co_ci_u32_e32 v31, vcc_lo, s9, v21, vcc_lo
	;; [unrolled: 2-line block ×3, first 2 shown]
	s_clause 0x2
	global_load_b128 v[20:23], v[26:27], off
	global_load_b64 v[30:31], v[30:31], off
	global_load_b64 v[32:33], v[32:33], off
	v_add_co_u32 v28, vcc_lo, s8, v28
	v_add_co_ci_u32_e32 v29, vcc_lo, s9, v29, vcc_lo
	v_add_co_u32 v5, vcc_lo, s8, v5
	v_add_co_ci_u32_e32 v6, vcc_lo, s9, v6, vcc_lo
	s_waitcnt vmcnt(3)
	v_subrev_nc_u32_e32 v3, s12, v3
	s_delay_alu instid0(VALU_DEP_1) | instskip(NEXT) | instid1(VALU_DEP_1)
	v_lshlrev_b32_e32 v24, 1, v3
	v_lshlrev_b64 v[24:25], 3, v[24:25]
	s_delay_alu instid0(VALU_DEP_1) | instskip(NEXT) | instid1(VALU_DEP_1)
	v_add_co_u32 v24, s2, s10, v24
	v_add_co_ci_u32_e64 v25, s2, s11, v25, s2
	global_load_b128 v[24:27], v[24:25], off
	s_clause 0x1
	global_load_b64 v[5:6], v[5:6], off
	global_load_b64 v[28:29], v[28:29], off
	s_waitcnt vmcnt(2)
	v_dual_fmac_f32 v13, v21, v24 :: v_dual_add_nc_u32 v2, 64, v2
	v_fmac_f32_e32 v16, v20, v24
	v_fmac_f32_e32 v14, v33, v24
	;; [unrolled: 1-line block ×3, first 2 shown]
	s_delay_alu instid0(VALU_DEP_4) | instskip(SKIP_4) | instid1(VALU_DEP_4)
	v_cmp_ge_i32_e32 vcc_lo, v2, v19
	v_dual_fmac_f32 v13, v20, v25 :: v_dual_fmac_f32 v18, v30, v24
	v_fma_f32 v3, -v21, v25, v16
	v_fmac_f32_e32 v14, v32, v25
	v_dual_fmac_f32 v15, v30, v25 :: v_dual_add_nc_u32 v4, 0x180, v4
	v_fmac_f32_e32 v13, v23, v26
	v_fma_f32 v8, -v31, v25, v18
	v_fmac_f32_e32 v17, v32, v24
	v_fmac_f32_e32 v3, v22, v26
	s_waitcnt vmcnt(1)
	v_fmac_f32_e32 v15, v6, v26
	s_waitcnt vmcnt(0)
	v_dual_fmac_f32 v14, v29, v26 :: v_dual_fmac_f32 v13, v22, v27
	v_fmac_f32_e32 v8, v5, v26
	v_fma_f32 v17, -v33, v25, v17
	v_fma_f32 v16, -v23, v27, v3
	v_fmac_f32_e32 v15, v5, v27
	v_fmac_f32_e32 v14, v28, v27
	v_fma_f32 v18, -v6, v27, v8
	v_fmac_f32_e32 v17, v28, v26
	s_or_b32 s4, vcc_lo, s4
	s_delay_alu instid0(VALU_DEP_1)
	v_fma_f32 v17, -v29, v27, v17
	s_and_not1_b32 exec_lo, exec_lo, s4
	s_cbranch_execnz .LBB83_21
; %bb.22:
	s_or_b32 exec_lo, exec_lo, s4
.LBB83_23:
	s_delay_alu instid0(SALU_CYCLE_1)
	s_or_b32 exec_lo, exec_lo, s3
.LBB83_24:
	v_mbcnt_lo_u32_b32 v2, -1, 0
	s_delay_alu instid0(VALU_DEP_1) | instskip(SKIP_1) | instid1(VALU_DEP_2)
	v_or_b32_e32 v3, 32, v2
	v_xor_b32_e32 v19, 16, v2
	v_cmp_gt_i32_e32 vcc_lo, 32, v3
	v_cndmask_b32_e32 v3, v2, v3, vcc_lo
	s_delay_alu instid0(VALU_DEP_3) | instskip(NEXT) | instid1(VALU_DEP_2)
	v_cmp_gt_i32_e32 vcc_lo, 32, v19
	v_lshlrev_b32_e32 v3, 2, v3
	ds_bpermute_b32 v6, v3, v18
	s_waitcnt lgkmcnt(0)
	v_add_f32_e32 v6, v18, v6
	ds_bpermute_b32 v4, v3, v16
	ds_bpermute_b32 v8, v3, v17
	;; [unrolled: 1-line block ×3, first 2 shown]
	v_cndmask_b32_e32 v19, v2, v19, vcc_lo
	ds_bpermute_b32 v7, v3, v15
	ds_bpermute_b32 v3, v3, v14
	s_waitcnt lgkmcnt(4)
	v_add_f32_e32 v4, v16, v4
	s_waitcnt lgkmcnt(3)
	v_dual_add_f32 v8, v17, v8 :: v_dual_lshlrev_b32 v19, 2, v19
	s_waitcnt lgkmcnt(2)
	v_add_f32_e32 v5, v13, v5
	ds_bpermute_b32 v13, v19, v4
	s_waitcnt lgkmcnt(0)
	v_add_f32_e32 v4, v4, v13
	ds_bpermute_b32 v17, v19, v8
	v_add_f32_e32 v7, v15, v7
	ds_bpermute_b32 v15, v19, v6
	;; [unrolled: 2-line block ×3, first 2 shown]
	s_waitcnt lgkmcnt(2)
	v_add_f32_e32 v8, v8, v17
	ds_bpermute_b32 v16, v19, v7
	s_waitcnt lgkmcnt(2)
	v_add_f32_e32 v6, v6, v15
	ds_bpermute_b32 v14, v19, v5
	v_xor_b32_e32 v19, 8, v2
	s_delay_alu instid0(VALU_DEP_1) | instskip(SKIP_1) | instid1(VALU_DEP_1)
	v_cmp_gt_i32_e32 vcc_lo, 32, v19
	v_cndmask_b32_e32 v19, v2, v19, vcc_lo
	v_lshlrev_b32_e32 v19, 2, v19
	ds_bpermute_b32 v13, v19, v4
	ds_bpermute_b32 v15, v19, v6
	;; [unrolled: 1-line block ×3, first 2 shown]
	s_waitcnt lgkmcnt(2)
	v_dual_add_f32 v5, v5, v14 :: v_dual_add_f32 v4, v4, v13
	s_waitcnt lgkmcnt(1)
	v_dual_add_f32 v6, v6, v15 :: v_dual_add_f32 v7, v7, v16
	ds_bpermute_b32 v14, v19, v5
	s_waitcnt lgkmcnt(1)
	v_dual_add_f32 v8, v8, v17 :: v_dual_add_f32 v3, v3, v18
	ds_bpermute_b32 v16, v19, v7
	ds_bpermute_b32 v18, v19, v3
	v_xor_b32_e32 v19, 4, v2
	s_delay_alu instid0(VALU_DEP_1) | instskip(SKIP_3) | instid1(VALU_DEP_2)
	v_cmp_gt_i32_e32 vcc_lo, 32, v19
	v_cndmask_b32_e32 v19, v2, v19, vcc_lo
	s_waitcnt lgkmcnt(2)
	v_add_f32_e32 v5, v5, v14
	v_lshlrev_b32_e32 v19, 2, v19
	ds_bpermute_b32 v13, v19, v4
	ds_bpermute_b32 v14, v19, v5
	;; [unrolled: 1-line block ×4, first 2 shown]
	s_waitcnt lgkmcnt(2)
	v_dual_add_f32 v4, v4, v13 :: v_dual_add_f32 v5, v5, v14
	s_waitcnt lgkmcnt(1)
	v_dual_add_f32 v6, v6, v15 :: v_dual_add_f32 v7, v7, v16
	;; [unrolled: 2-line block ×3, first 2 shown]
	ds_bpermute_b32 v16, v19, v7
	ds_bpermute_b32 v18, v19, v3
	v_xor_b32_e32 v19, 2, v2
	s_delay_alu instid0(VALU_DEP_1) | instskip(SKIP_1) | instid1(VALU_DEP_1)
	v_cmp_gt_i32_e32 vcc_lo, 32, v19
	v_cndmask_b32_e32 v19, v2, v19, vcc_lo
	v_lshlrev_b32_e32 v19, 2, v19
	s_waitcnt lgkmcnt(1)
	v_add_f32_e32 v13, v7, v16
	s_waitcnt lgkmcnt(0)
	v_add_f32_e32 v15, v3, v18
	ds_bpermute_b32 v3, v19, v4
	ds_bpermute_b32 v7, v19, v5
	;; [unrolled: 1-line block ×6, first 2 shown]
	v_xor_b32_e32 v19, 1, v2
	s_delay_alu instid0(VALU_DEP_1) | instskip(SKIP_3) | instid1(VALU_DEP_2)
	v_cmp_gt_i32_e32 vcc_lo, 32, v19
	v_cndmask_b32_e32 v2, v2, v19, vcc_lo
	v_cmp_eq_u32_e32 vcc_lo, 63, v0
	s_waitcnt lgkmcnt(5)
	v_dual_add_f32 v2, v4, v3 :: v_dual_lshlrev_b32 v19, 2, v2
	s_waitcnt lgkmcnt(4)
	v_add_f32_e32 v5, v5, v7
	s_waitcnt lgkmcnt(3)
	v_add_f32_e32 v7, v6, v8
	s_waitcnt lgkmcnt(1)
	v_dual_add_f32 v8, v13, v16 :: v_dual_add_f32 v3, v14, v17
	s_waitcnt lgkmcnt(0)
	v_add_f32_e32 v4, v15, v18
	ds_bpermute_b32 v6, v19, v2
	ds_bpermute_b32 v15, v19, v5
	;; [unrolled: 1-line block ×6, first 2 shown]
	s_and_b32 exec_lo, exec_lo, vcc_lo
	s_cbranch_execz .LBB83_29
; %bb.25:
	s_load_b64 s[2:3], s[0:1], 0x38
	v_cmp_eq_f32_e32 vcc_lo, 0, v11
	v_cmp_eq_f32_e64 s0, 0, v12
	s_waitcnt lgkmcnt(0)
	v_add_f32_e32 v0, v2, v6
	v_dual_add_f32 v6, v5, v15 :: v_dual_add_f32 v3, v3, v13
	v_dual_add_f32 v2, v7, v16 :: v_dual_add_f32 v5, v8, v17
	v_add_f32_e32 v4, v4, v14
	s_and_b32 s0, vcc_lo, s0
	s_delay_alu instid0(SALU_CYCLE_1) | instskip(NEXT) | instid1(SALU_CYCLE_1)
	s_and_saveexec_b32 s1, s0
	s_xor_b32 s0, exec_lo, s1
	s_cbranch_execz .LBB83_27
; %bb.26:
	v_lshl_add_u32 v7, v1, 1, v1
	v_mul_f32_e64 v11, v6, -v10
	v_mul_f32_e32 v12, v6, v9
	v_mul_f32_e64 v13, v5, -v10
	v_mul_f32_e32 v14, v5, v9
	v_ashrrev_i32_e32 v8, 31, v7
	v_fmac_f32_e32 v11, v9, v0
	v_mul_f32_e64 v5, v4, -v10
	v_dual_mul_f32 v6, v4, v9 :: v_dual_fmac_f32 v13, v9, v2
	s_delay_alu instid0(VALU_DEP_4) | instskip(NEXT) | instid1(VALU_DEP_3)
	v_lshlrev_b64 v[7:8], 3, v[7:8]
	v_dual_fmac_f32 v12, v10, v0 :: v_dual_fmac_f32 v5, v9, v3
	v_fmac_f32_e32 v14, v10, v2
	s_delay_alu instid0(VALU_DEP_4) | instskip(NEXT) | instid1(VALU_DEP_4)
	v_fmac_f32_e32 v6, v10, v3
                                        ; implicit-def: $vgpr9
                                        ; implicit-def: $vgpr10
                                        ; implicit-def: $vgpr2
                                        ; implicit-def: $vgpr3
                                        ; implicit-def: $vgpr4
	v_add_co_u32 v0, vcc_lo, s2, v7
	v_add_co_ci_u32_e32 v1, vcc_lo, s3, v8, vcc_lo
	s_clause 0x1
	global_store_b128 v[0:1], v[11:14], off
	global_store_b64 v[0:1], v[5:6], off offset:16
                                        ; implicit-def: $vgpr11
                                        ; implicit-def: $vgpr12
                                        ; implicit-def: $vgpr1
                                        ; implicit-def: $vgpr0
                                        ; implicit-def: $vgpr6
                                        ; implicit-def: $vgpr5
.LBB83_27:
	s_and_not1_saveexec_b32 s0, s0
	s_cbranch_execz .LBB83_29
; %bb.28:
	v_lshl_add_u32 v7, v1, 1, v1
	v_mul_f32_e64 v21, v5, -v10
	v_mul_f32_e64 v22, v4, -v10
	s_delay_alu instid0(VALU_DEP_3) | instskip(NEXT) | instid1(VALU_DEP_1)
	v_ashrrev_i32_e32 v8, 31, v7
	v_lshlrev_b64 v[7:8], 3, v[7:8]
	s_delay_alu instid0(VALU_DEP_1) | instskip(NEXT) | instid1(VALU_DEP_2)
	v_add_co_u32 v17, vcc_lo, s2, v7
	v_add_co_ci_u32_e32 v18, vcc_lo, s3, v8, vcc_lo
	v_mul_f32_e64 v7, v6, -v10
	v_mul_f32_e32 v6, v6, v9
	s_clause 0x1
	global_load_b128 v[13:16], v[17:18], off
	global_load_b64 v[19:20], v[17:18], off offset:16
	v_fmac_f32_e32 v7, v9, v0
	v_dual_mul_f32 v1, v4, v9 :: v_dual_fmac_f32 v6, v10, v0
	v_mul_f32_e32 v8, v5, v9
	v_fmac_f32_e32 v21, v9, v2
	s_delay_alu instid0(VALU_DEP_3) | instskip(SKIP_1) | instid1(VALU_DEP_3)
	v_fmac_f32_e32 v1, v10, v3
	s_waitcnt vmcnt(1)
	v_dual_fmac_f32 v8, v10, v2 :: v_dual_fmac_f32 v7, v11, v13
	v_fmac_f32_e32 v6, v12, v13
	s_waitcnt vmcnt(0)
	v_fmac_f32_e32 v1, v12, v19
	v_fmac_f32_e32 v21, v11, v15
	;; [unrolled: 1-line block ×3, first 2 shown]
	v_fma_f32 v5, -v12, v14, v7
	v_fmac_f32_e32 v6, v11, v14
	v_dual_fmac_f32 v22, v9, v3 :: v_dual_fmac_f32 v1, v11, v20
	v_fma_f32 v7, -v12, v16, v21
	v_fmac_f32_e32 v8, v11, v16
	s_delay_alu instid0(VALU_DEP_3) | instskip(NEXT) | instid1(VALU_DEP_1)
	v_fmac_f32_e32 v22, v11, v19
	v_fma_f32 v0, -v12, v20, v22
	s_clause 0x1
	global_store_b128 v[17:18], v[5:8], off
	global_store_b64 v[17:18], v[0:1], off offset:16
.LBB83_29:
	s_nop 0
	s_sendmsg sendmsg(MSG_DEALLOC_VGPRS)
	s_endpgm
	.section	.rodata,"a",@progbits
	.p2align	6, 0x0
	.amdhsa_kernel _ZN9rocsparseL19gebsrmvn_3xn_kernelILj128ELj2ELj64E21rocsparse_complex_numIfEEEvi20rocsparse_direction_NS_24const_host_device_scalarIT2_EEPKiS8_PKS5_SA_S6_PS5_21rocsparse_index_base_b
		.amdhsa_group_segment_fixed_size 0
		.amdhsa_private_segment_fixed_size 0
		.amdhsa_kernarg_size 72
		.amdhsa_user_sgpr_count 15
		.amdhsa_user_sgpr_dispatch_ptr 0
		.amdhsa_user_sgpr_queue_ptr 0
		.amdhsa_user_sgpr_kernarg_segment_ptr 1
		.amdhsa_user_sgpr_dispatch_id 0
		.amdhsa_user_sgpr_private_segment_size 0
		.amdhsa_wavefront_size32 1
		.amdhsa_uses_dynamic_stack 0
		.amdhsa_enable_private_segment 0
		.amdhsa_system_sgpr_workgroup_id_x 1
		.amdhsa_system_sgpr_workgroup_id_y 0
		.amdhsa_system_sgpr_workgroup_id_z 0
		.amdhsa_system_sgpr_workgroup_info 0
		.amdhsa_system_vgpr_workitem_id 0
		.amdhsa_next_free_vgpr 34
		.amdhsa_next_free_sgpr 16
		.amdhsa_reserve_vcc 1
		.amdhsa_float_round_mode_32 0
		.amdhsa_float_round_mode_16_64 0
		.amdhsa_float_denorm_mode_32 3
		.amdhsa_float_denorm_mode_16_64 3
		.amdhsa_dx10_clamp 1
		.amdhsa_ieee_mode 1
		.amdhsa_fp16_overflow 0
		.amdhsa_workgroup_processor_mode 1
		.amdhsa_memory_ordered 1
		.amdhsa_forward_progress 0
		.amdhsa_shared_vgpr_count 0
		.amdhsa_exception_fp_ieee_invalid_op 0
		.amdhsa_exception_fp_denorm_src 0
		.amdhsa_exception_fp_ieee_div_zero 0
		.amdhsa_exception_fp_ieee_overflow 0
		.amdhsa_exception_fp_ieee_underflow 0
		.amdhsa_exception_fp_ieee_inexact 0
		.amdhsa_exception_int_div_zero 0
	.end_amdhsa_kernel
	.section	.text._ZN9rocsparseL19gebsrmvn_3xn_kernelILj128ELj2ELj64E21rocsparse_complex_numIfEEEvi20rocsparse_direction_NS_24const_host_device_scalarIT2_EEPKiS8_PKS5_SA_S6_PS5_21rocsparse_index_base_b,"axG",@progbits,_ZN9rocsparseL19gebsrmvn_3xn_kernelILj128ELj2ELj64E21rocsparse_complex_numIfEEEvi20rocsparse_direction_NS_24const_host_device_scalarIT2_EEPKiS8_PKS5_SA_S6_PS5_21rocsparse_index_base_b,comdat
.Lfunc_end83:
	.size	_ZN9rocsparseL19gebsrmvn_3xn_kernelILj128ELj2ELj64E21rocsparse_complex_numIfEEEvi20rocsparse_direction_NS_24const_host_device_scalarIT2_EEPKiS8_PKS5_SA_S6_PS5_21rocsparse_index_base_b, .Lfunc_end83-_ZN9rocsparseL19gebsrmvn_3xn_kernelILj128ELj2ELj64E21rocsparse_complex_numIfEEEvi20rocsparse_direction_NS_24const_host_device_scalarIT2_EEPKiS8_PKS5_SA_S6_PS5_21rocsparse_index_base_b
                                        ; -- End function
	.section	.AMDGPU.csdata,"",@progbits
; Kernel info:
; codeLenInByte = 2568
; NumSgprs: 18
; NumVgprs: 34
; ScratchSize: 0
; MemoryBound: 0
; FloatMode: 240
; IeeeMode: 1
; LDSByteSize: 0 bytes/workgroup (compile time only)
; SGPRBlocks: 2
; VGPRBlocks: 4
; NumSGPRsForWavesPerEU: 18
; NumVGPRsForWavesPerEU: 34
; Occupancy: 16
; WaveLimiterHint : 1
; COMPUTE_PGM_RSRC2:SCRATCH_EN: 0
; COMPUTE_PGM_RSRC2:USER_SGPR: 15
; COMPUTE_PGM_RSRC2:TRAP_HANDLER: 0
; COMPUTE_PGM_RSRC2:TGID_X_EN: 1
; COMPUTE_PGM_RSRC2:TGID_Y_EN: 0
; COMPUTE_PGM_RSRC2:TGID_Z_EN: 0
; COMPUTE_PGM_RSRC2:TIDIG_COMP_CNT: 0
	.section	.text._ZN9rocsparseL19gebsrmvn_3xn_kernelILj128ELj4ELj4E21rocsparse_complex_numIfEEEvi20rocsparse_direction_NS_24const_host_device_scalarIT2_EEPKiS8_PKS5_SA_S6_PS5_21rocsparse_index_base_b,"axG",@progbits,_ZN9rocsparseL19gebsrmvn_3xn_kernelILj128ELj4ELj4E21rocsparse_complex_numIfEEEvi20rocsparse_direction_NS_24const_host_device_scalarIT2_EEPKiS8_PKS5_SA_S6_PS5_21rocsparse_index_base_b,comdat
	.globl	_ZN9rocsparseL19gebsrmvn_3xn_kernelILj128ELj4ELj4E21rocsparse_complex_numIfEEEvi20rocsparse_direction_NS_24const_host_device_scalarIT2_EEPKiS8_PKS5_SA_S6_PS5_21rocsparse_index_base_b ; -- Begin function _ZN9rocsparseL19gebsrmvn_3xn_kernelILj128ELj4ELj4E21rocsparse_complex_numIfEEEvi20rocsparse_direction_NS_24const_host_device_scalarIT2_EEPKiS8_PKS5_SA_S6_PS5_21rocsparse_index_base_b
	.p2align	8
	.type	_ZN9rocsparseL19gebsrmvn_3xn_kernelILj128ELj4ELj4E21rocsparse_complex_numIfEEEvi20rocsparse_direction_NS_24const_host_device_scalarIT2_EEPKiS8_PKS5_SA_S6_PS5_21rocsparse_index_base_b,@function
_ZN9rocsparseL19gebsrmvn_3xn_kernelILj128ELj4ELj4E21rocsparse_complex_numIfEEEvi20rocsparse_direction_NS_24const_host_device_scalarIT2_EEPKiS8_PKS5_SA_S6_PS5_21rocsparse_index_base_b: ; @_ZN9rocsparseL19gebsrmvn_3xn_kernelILj128ELj4ELj4E21rocsparse_complex_numIfEEEvi20rocsparse_direction_NS_24const_host_device_scalarIT2_EEPKiS8_PKS5_SA_S6_PS5_21rocsparse_index_base_b
; %bb.0:
	s_clause 0x2
	s_load_b64 s[12:13], s[0:1], 0x40
	s_load_b64 s[4:5], s[0:1], 0x8
	;; [unrolled: 1-line block ×3, first 2 shown]
	s_waitcnt lgkmcnt(0)
	s_bitcmp1_b32 s13, 0
	v_mov_b32_e32 v9, s4
	s_cselect_b32 s6, -1, 0
	s_delay_alu instid0(SALU_CYCLE_1)
	s_and_b32 vcc_lo, exec_lo, s6
	s_xor_b32 s6, s6, -1
	s_cbranch_vccz .LBB84_15
; %bb.1:
	v_cndmask_b32_e64 v1, 0, 1, s6
	v_mov_b32_e32 v10, s5
	s_and_not1_b32 vcc_lo, exec_lo, s6
	s_cbranch_vccz .LBB84_16
.LBB84_2:
	s_delay_alu instid0(VALU_DEP_2)
	v_cmp_ne_u32_e32 vcc_lo, 1, v1
	v_mov_b32_e32 v11, s2
	s_cbranch_vccz .LBB84_17
.LBB84_3:
	v_cmp_ne_u32_e32 vcc_lo, 1, v1
	v_mov_b32_e32 v12, s3
	s_cbranch_vccnz .LBB84_5
.LBB84_4:
	v_dual_mov_b32 v1, s2 :: v_dual_mov_b32 v2, s3
	flat_load_b32 v12, v[1:2] offset:4
.LBB84_5:
	s_waitcnt vmcnt(0) lgkmcnt(0)
	v_cmp_eq_f32_e32 vcc_lo, 0, v9
	v_cmp_eq_f32_e64 s2, 0, v10
	s_delay_alu instid0(VALU_DEP_1)
	s_and_b32 s4, vcc_lo, s2
	s_mov_b32 s2, -1
	s_and_saveexec_b32 s3, s4
; %bb.6:
	v_cmp_neq_f32_e32 vcc_lo, 1.0, v11
	v_cmp_neq_f32_e64 s2, 0, v12
	s_delay_alu instid0(VALU_DEP_1) | instskip(NEXT) | instid1(SALU_CYCLE_1)
	s_or_b32 s2, vcc_lo, s2
	s_or_not1_b32 s2, s2, exec_lo
; %bb.7:
	s_or_b32 exec_lo, exec_lo, s3
	s_and_saveexec_b32 s3, s2
	s_cbranch_execz .LBB84_29
; %bb.8:
	s_load_b64 s[2:3], s[0:1], 0x0
	v_lshrrev_b32_e32 v1, 2, v0
	s_delay_alu instid0(VALU_DEP_1) | instskip(SKIP_1) | instid1(VALU_DEP_1)
	v_lshl_or_b32 v1, s15, 5, v1
	s_waitcnt lgkmcnt(0)
	v_cmp_gt_i32_e32 vcc_lo, s2, v1
	s_and_b32 exec_lo, exec_lo, vcc_lo
	s_cbranch_execz .LBB84_29
; %bb.9:
	s_load_b256 s[4:11], s[0:1], 0x10
	v_ashrrev_i32_e32 v2, 31, v1
	v_and_b32_e32 v0, 3, v0
	s_cmp_lg_u32 s3, 0
	s_delay_alu instid0(VALU_DEP_2) | instskip(SKIP_1) | instid1(VALU_DEP_1)
	v_lshlrev_b64 v[2:3], 2, v[1:2]
	s_waitcnt lgkmcnt(0)
	v_add_co_u32 v2, vcc_lo, s4, v2
	s_delay_alu instid0(VALU_DEP_2) | instskip(SKIP_4) | instid1(VALU_DEP_2)
	v_add_co_ci_u32_e32 v3, vcc_lo, s5, v3, vcc_lo
	global_load_b64 v[2:3], v[2:3], off
	s_waitcnt vmcnt(0)
	v_subrev_nc_u32_e32 v2, s12, v2
	v_subrev_nc_u32_e32 v16, s12, v3
	v_add_nc_u32_e32 v2, v2, v0
	s_delay_alu instid0(VALU_DEP_1)
	v_cmp_lt_i32_e64 s2, v2, v16
	s_cbranch_scc0 .LBB84_18
; %bb.10:
	v_dual_mov_b32 v13, 0 :: v_dual_mov_b32 v18, 0
	v_dual_mov_b32 v17, 0 :: v_dual_mov_b32 v14, 0
	v_mov_b32_e32 v19, 0
	v_mov_b32_e32 v15, 0
	s_mov_b32 s4, 0
	s_and_saveexec_b32 s5, s2
	s_cbranch_execz .LBB84_14
; %bb.11:
	v_mad_u64_u32 v[3:4], null, v2, 12, 11
	v_dual_mov_b32 v6, 0 :: v_dual_mov_b32 v7, v2
	v_dual_mov_b32 v13, 0 :: v_dual_mov_b32 v18, 0
	;; [unrolled: 1-line block ×3, first 2 shown]
	v_mov_b32_e32 v19, 0
	v_mov_b32_e32 v15, 0
	s_mov_b32 s13, 0
.LBB84_12:                              ; =>This Inner Loop Header: Depth=1
	v_ashrrev_i32_e32 v8, 31, v7
	s_delay_alu instid0(VALU_DEP_1) | instskip(NEXT) | instid1(VALU_DEP_1)
	v_lshlrev_b64 v[4:5], 2, v[7:8]
	v_add_co_u32 v4, vcc_lo, s6, v4
	s_delay_alu instid0(VALU_DEP_2) | instskip(SKIP_2) | instid1(VALU_DEP_1)
	v_add_co_ci_u32_e32 v5, vcc_lo, s7, v5, vcc_lo
	global_load_b32 v8, v[4:5], off
	v_dual_mov_b32 v4, v6 :: v_dual_add_nc_u32 v5, -11, v3
	v_lshlrev_b64 v[20:21], 3, v[5:6]
	v_add_nc_u32_e32 v5, -7, v3
	s_delay_alu instid0(VALU_DEP_3) | instskip(NEXT) | instid1(VALU_DEP_2)
	v_lshlrev_b64 v[22:23], 3, v[3:4]
	v_lshlrev_b64 v[24:25], 3, v[5:6]
	s_delay_alu instid0(VALU_DEP_4) | instskip(SKIP_1) | instid1(VALU_DEP_4)
	v_add_co_u32 v26, vcc_lo, s8, v20
	v_add_co_ci_u32_e32 v27, vcc_lo, s9, v21, vcc_lo
	v_add_co_u32 v36, vcc_lo, s8, v22
	v_add_co_ci_u32_e32 v37, vcc_lo, s9, v23, vcc_lo
	;; [unrolled: 2-line block ×3, first 2 shown]
	s_clause 0x1
	global_load_b128 v[20:23], v[26:27], off offset:16
	global_load_b128 v[24:27], v[26:27], off
	v_add_nc_u32_e32 v5, -6, v3
	global_load_b64 v[38:39], v[32:33], off
	v_lshlrev_b64 v[30:31], 3, v[5:6]
	v_add_nc_u32_e32 v5, -5, v3
	s_delay_alu instid0(VALU_DEP_2) | instskip(NEXT) | instid1(VALU_DEP_2)
	v_add_co_u32 v30, vcc_lo, s8, v30
	v_lshlrev_b64 v[34:35], 3, v[5:6]
	s_delay_alu instid0(VALU_DEP_4)
	v_add_co_ci_u32_e32 v31, vcc_lo, s9, v31, vcc_lo
	global_load_b64 v[42:43], v[30:31], off
	v_add_co_u32 v32, vcc_lo, s8, v34
	v_add_co_ci_u32_e32 v33, vcc_lo, s9, v35, vcc_lo
	global_load_b64 v[46:47], v[32:33], off
	s_waitcnt vmcnt(5)
	v_subrev_nc_u32_e32 v4, s12, v8
	s_delay_alu instid0(VALU_DEP_1) | instskip(NEXT) | instid1(VALU_DEP_1)
	v_dual_mov_b32 v29, v6 :: v_dual_lshlrev_b32 v28, 2, v4
	v_lshlrev_b64 v[28:29], 3, v[28:29]
	s_delay_alu instid0(VALU_DEP_1) | instskip(NEXT) | instid1(VALU_DEP_1)
	v_add_co_u32 v32, s3, s10, v28
	v_add_co_ci_u32_e64 v33, s3, s11, v29, s3
	s_clause 0x1
	global_load_b128 v[28:31], v[32:33], off
	global_load_b128 v[32:35], v[32:33], off offset:16
	s_waitcnt vmcnt(1)
	v_fmac_f32_e32 v17, v24, v28
	v_fmac_f32_e32 v18, v20, v28
	;; [unrolled: 1-line block ×3, first 2 shown]
	s_delay_alu instid0(VALU_DEP_3) | instskip(SKIP_1) | instid1(VALU_DEP_4)
	v_fma_f32 v8, -v25, v29, v17
	v_add_nc_u32_e32 v5, -4, v3
	v_fma_f32 v18, -v21, v29, v18
	s_delay_alu instid0(VALU_DEP_4) | instskip(NEXT) | instid1(VALU_DEP_4)
	v_fmac_f32_e32 v14, v20, v29
	v_fmac_f32_e32 v8, v22, v30
	s_delay_alu instid0(VALU_DEP_4) | instskip(NEXT) | instid1(VALU_DEP_4)
	v_lshlrev_b64 v[40:41], 3, v[5:6]
	v_dual_fmac_f32 v18, v42, v30 :: v_dual_add_nc_u32 v5, -3, v3
	s_delay_alu instid0(VALU_DEP_4) | instskip(NEXT) | instid1(VALU_DEP_4)
	v_fmac_f32_e32 v14, v43, v30
	v_fma_f32 v8, -v23, v31, v8
	s_delay_alu instid0(VALU_DEP_3) | instskip(SKIP_3) | instid1(VALU_DEP_3)
	v_lshlrev_b64 v[44:45], 3, v[5:6]
	v_add_nc_u32_e32 v5, -2, v3
	v_add_co_u32 v40, vcc_lo, s8, v40
	v_add_co_ci_u32_e32 v41, vcc_lo, s9, v41, vcc_lo
	v_lshlrev_b64 v[48:49], 3, v[5:6]
	s_waitcnt vmcnt(0)
	v_dual_fmac_f32 v8, v46, v32 :: v_dual_add_nc_u32 v5, -1, v3
	v_add_co_u32 v44, vcc_lo, s8, v44
	v_add_co_ci_u32_e32 v45, vcc_lo, s9, v45, vcc_lo
	s_delay_alu instid0(VALU_DEP_3)
	v_lshlrev_b64 v[4:5], 3, v[5:6]
	global_load_b64 v[40:41], v[40:41], off
	v_add_co_u32 v48, vcc_lo, s8, v48
	global_load_b64 v[44:45], v[44:45], off
	v_add_co_ci_u32_e32 v49, vcc_lo, s9, v49, vcc_lo
	v_add_co_u32 v4, vcc_lo, s8, v4
	v_add_co_ci_u32_e32 v5, vcc_lo, s9, v5, vcc_lo
	s_clause 0x2
	global_load_b64 v[48:49], v[48:49], off
	global_load_b64 v[4:5], v[4:5], off
	;; [unrolled: 1-line block ×3, first 2 shown]
	v_fma_f32 v18, -v43, v31, v18
	v_fmac_f32_e32 v14, v42, v31
	v_add_nc_u32_e32 v7, 4, v7
	v_add_nc_u32_e32 v3, 48, v3
	v_fma_f32 v8, -v47, v33, v8
	v_fmac_f32_e32 v19, v26, v28
	s_waitcnt vmcnt(3)
	v_fmac_f32_e32 v18, v44, v32
	v_fmac_f32_e32 v14, v45, v32
	;; [unrolled: 1-line block ×3, first 2 shown]
	v_cmp_ge_i32_e32 vcc_lo, v7, v16
	s_delay_alu instid0(VALU_DEP_4) | instskip(NEXT) | instid1(VALU_DEP_4)
	v_fma_f32 v18, -v45, v33, v18
	v_dual_fmac_f32 v14, v44, v33 :: v_dual_fmac_f32 v15, v27, v28
	s_delay_alu instid0(VALU_DEP_4)
	v_fmac_f32_e32 v13, v24, v29
	s_waitcnt vmcnt(2)
	v_fmac_f32_e32 v8, v48, v34
	v_fma_f32 v17, -v27, v29, v19
	s_waitcnt vmcnt(0)
	v_fmac_f32_e32 v14, v37, v34
	v_dual_fmac_f32 v18, v36, v34 :: v_dual_fmac_f32 v15, v26, v29
	v_fmac_f32_e32 v13, v23, v30
	s_delay_alu instid0(VALU_DEP_3) | instskip(NEXT) | instid1(VALU_DEP_3)
	v_dual_fmac_f32 v17, v38, v30 :: v_dual_fmac_f32 v14, v36, v35
	v_fma_f32 v18, -v37, v35, v18
	s_delay_alu instid0(VALU_DEP_4) | instskip(NEXT) | instid1(VALU_DEP_4)
	v_fmac_f32_e32 v15, v39, v30
	v_fmac_f32_e32 v13, v22, v31
	s_delay_alu instid0(VALU_DEP_4) | instskip(SKIP_1) | instid1(VALU_DEP_3)
	v_fma_f32 v17, -v39, v31, v17
	s_or_b32 s13, vcc_lo, s13
	v_fmac_f32_e32 v15, v38, v31
	s_delay_alu instid0(VALU_DEP_3) | instskip(NEXT) | instid1(VALU_DEP_3)
	v_fmac_f32_e32 v13, v47, v32
	v_fmac_f32_e32 v17, v40, v32
	s_delay_alu instid0(VALU_DEP_3) | instskip(NEXT) | instid1(VALU_DEP_3)
	v_fmac_f32_e32 v15, v41, v32
	v_fmac_f32_e32 v13, v46, v33
	s_delay_alu instid0(VALU_DEP_3) | instskip(SKIP_1) | instid1(VALU_DEP_4)
	v_fma_f32 v19, -v41, v33, v17
	v_fma_f32 v17, -v49, v35, v8
	v_fmac_f32_e32 v15, v40, v33
	s_delay_alu instid0(VALU_DEP_4) | instskip(NEXT) | instid1(VALU_DEP_4)
	v_fmac_f32_e32 v13, v49, v34
	v_fmac_f32_e32 v19, v4, v34
	s_delay_alu instid0(VALU_DEP_3) | instskip(NEXT) | instid1(VALU_DEP_3)
	v_fmac_f32_e32 v15, v5, v34
	v_fmac_f32_e32 v13, v48, v35
	s_delay_alu instid0(VALU_DEP_3) | instskip(NEXT) | instid1(VALU_DEP_3)
	v_fma_f32 v19, -v5, v35, v19
	v_fmac_f32_e32 v15, v4, v35
	s_and_not1_b32 exec_lo, exec_lo, s13
	s_cbranch_execnz .LBB84_12
; %bb.13:
	s_or_b32 exec_lo, exec_lo, s13
.LBB84_14:
	s_delay_alu instid0(SALU_CYCLE_1) | instskip(NEXT) | instid1(SALU_CYCLE_1)
	s_or_b32 exec_lo, exec_lo, s5
	s_and_not1_b32 vcc_lo, exec_lo, s4
	s_cbranch_vccz .LBB84_19
	s_branch .LBB84_24
.LBB84_15:
	v_dual_mov_b32 v1, s4 :: v_dual_mov_b32 v2, s5
	flat_load_b32 v9, v[1:2]
	v_cndmask_b32_e64 v1, 0, 1, s6
	v_mov_b32_e32 v10, s5
	s_and_not1_b32 vcc_lo, exec_lo, s6
	s_cbranch_vccnz .LBB84_2
.LBB84_16:
	v_dual_mov_b32 v2, s4 :: v_dual_mov_b32 v3, s5
	flat_load_b32 v10, v[2:3] offset:4
	v_cmp_ne_u32_e32 vcc_lo, 1, v1
	v_mov_b32_e32 v11, s2
	s_cbranch_vccnz .LBB84_3
.LBB84_17:
	v_dual_mov_b32 v2, s2 :: v_dual_mov_b32 v3, s3
	flat_load_b32 v11, v[2:3]
	v_cmp_ne_u32_e32 vcc_lo, 1, v1
	v_mov_b32_e32 v12, s3
	s_cbranch_vccz .LBB84_4
	s_branch .LBB84_5
.LBB84_18:
                                        ; implicit-def: $vgpr13
                                        ; implicit-def: $vgpr17
                                        ; implicit-def: $vgpr18
                                        ; implicit-def: $vgpr14
                                        ; implicit-def: $vgpr19
                                        ; implicit-def: $vgpr15
.LBB84_19:
	v_dual_mov_b32 v13, 0 :: v_dual_mov_b32 v18, 0
	v_dual_mov_b32 v17, 0 :: v_dual_mov_b32 v14, 0
	v_mov_b32_e32 v19, 0
	v_mov_b32_e32 v15, 0
	s_and_saveexec_b32 s3, s2
	s_cbranch_execz .LBB84_23
; %bb.20:
	v_mad_u64_u32 v[4:5], null, v2, 12, 11
	v_dual_mov_b32 v7, 0 :: v_dual_mov_b32 v18, 0
	v_dual_mov_b32 v13, 0 :: v_dual_mov_b32 v14, 0
	v_mov_b32_e32 v17, 0
	v_mov_b32_e32 v19, 0
	;; [unrolled: 1-line block ×3, first 2 shown]
	s_mov_b32 s2, 0
.LBB84_21:                              ; =>This Inner Loop Header: Depth=1
	v_ashrrev_i32_e32 v3, 31, v2
	v_dual_mov_b32 v21, v7 :: v_dual_add_nc_u32 v20, -7, v4
	v_dual_mov_b32 v23, v7 :: v_dual_add_nc_u32 v22, -3, v4
	s_delay_alu instid0(VALU_DEP_3) | instskip(SKIP_1) | instid1(VALU_DEP_4)
	v_lshlrev_b64 v[5:6], 2, v[2:3]
	v_mov_b32_e32 v29, v7
	v_lshlrev_b64 v[20:21], 3, v[20:21]
	s_delay_alu instid0(VALU_DEP_4) | instskip(NEXT) | instid1(VALU_DEP_4)
	v_lshlrev_b64 v[22:23], 3, v[22:23]
	v_add_co_u32 v5, vcc_lo, s6, v5
	v_add_co_ci_u32_e32 v6, vcc_lo, s7, v6, vcc_lo
	global_load_b32 v3, v[5:6], off
	v_dual_mov_b32 v5, v7 :: v_dual_add_nc_u32 v6, -11, v4
	s_delay_alu instid0(VALU_DEP_1) | instskip(SKIP_1) | instid1(VALU_DEP_3)
	v_lshlrev_b64 v[24:25], 3, v[6:7]
	v_add_nc_u32_e32 v6, -6, v4
	v_lshlrev_b64 v[26:27], 3, v[4:5]
	s_delay_alu instid0(VALU_DEP_2) | instskip(NEXT) | instid1(VALU_DEP_4)
	v_lshlrev_b64 v[30:31], 3, v[6:7]
	v_add_co_u32 v24, vcc_lo, s8, v24
	v_add_co_ci_u32_e32 v25, vcc_lo, s9, v25, vcc_lo
	v_add_co_u32 v32, vcc_lo, s8, v20
	v_add_co_ci_u32_e32 v33, vcc_lo, s9, v21, vcc_lo
	;; [unrolled: 2-line block ×4, first 2 shown]
	s_clause 0x1
	global_load_b128 v[20:23], v[24:25], off offset:16
	global_load_b128 v[24:27], v[24:25], off
	v_add_nc_u32_e32 v6, -2, v4
	s_clause 0x1
	global_load_b64 v[40:41], v[32:33], off
	global_load_b64 v[42:43], v[34:35], off
	v_add_co_u32 v30, vcc_lo, s8, v30
	v_add_co_ci_u32_e32 v31, vcc_lo, s9, v31, vcc_lo
	v_lshlrev_b64 v[38:39], 3, v[6:7]
	v_add_nc_u32_e32 v6, -5, v4
	global_load_b64 v[46:47], v[30:31], off
	v_lshlrev_b64 v[44:45], 3, v[6:7]
	v_add_nc_u32_e32 v6, -1, v4
	v_add_co_u32 v38, vcc_lo, s8, v38
	v_add_co_ci_u32_e32 v39, vcc_lo, s9, v39, vcc_lo
	s_delay_alu instid0(VALU_DEP_3) | instskip(SKIP_2) | instid1(VALU_DEP_1)
	v_lshlrev_b64 v[48:49], 3, v[6:7]
	s_waitcnt vmcnt(5)
	v_subrev_nc_u32_e32 v3, s12, v3
	v_lshlrev_b32_e32 v28, 2, v3
	s_delay_alu instid0(VALU_DEP_1) | instskip(NEXT) | instid1(VALU_DEP_1)
	v_lshlrev_b64 v[5:6], 3, v[28:29]
	v_add_co_u32 v5, vcc_lo, s10, v5
	s_delay_alu instid0(VALU_DEP_2)
	v_add_co_ci_u32_e32 v6, vcc_lo, s11, v6, vcc_lo
	v_add_co_u32 v44, vcc_lo, s8, v44
	v_add_co_ci_u32_e32 v45, vcc_lo, s9, v45, vcc_lo
	s_clause 0x1
	global_load_b128 v[28:31], v[5:6], off
	global_load_b128 v[32:35], v[5:6], off offset:16
	global_load_b64 v[38:39], v[38:39], off
	v_add_co_u32 v48, vcc_lo, s8, v48
	v_add_co_ci_u32_e32 v49, vcc_lo, s9, v49, vcc_lo
	s_clause 0x1
	global_load_b64 v[44:45], v[44:45], off
	global_load_b64 v[48:49], v[48:49], off
	s_waitcnt vmcnt(4)
	v_dual_fmac_f32 v17, v24, v28 :: v_dual_add_nc_u32 v2, 4, v2
	v_fmac_f32_e32 v14, v43, v28
	v_fmac_f32_e32 v13, v25, v28
	;; [unrolled: 1-line block ×3, first 2 shown]
	s_delay_alu instid0(VALU_DEP_4) | instskip(NEXT) | instid1(VALU_DEP_4)
	v_fma_f32 v3, -v25, v29, v17
	v_dual_fmac_f32 v14, v42, v29 :: v_dual_fmac_f32 v15, v41, v28
	s_delay_alu instid0(VALU_DEP_4) | instskip(NEXT) | instid1(VALU_DEP_4)
	v_fmac_f32_e32 v13, v24, v29
	v_fma_f32 v8, -v41, v29, v19
	s_delay_alu instid0(VALU_DEP_4) | instskip(SKIP_3) | instid1(VALU_DEP_3)
	v_fmac_f32_e32 v3, v26, v30
	s_waitcnt vmcnt(2)
	v_dual_fmac_f32 v14, v39, v30 :: v_dual_fmac_f32 v15, v40, v29
	v_dual_fmac_f32 v13, v27, v30 :: v_dual_add_nc_u32 v6, -4, v4
	v_fma_f32 v3, -v27, v31, v3
	s_delay_alu instid0(VALU_DEP_3) | instskip(NEXT) | instid1(VALU_DEP_3)
	v_dual_fmac_f32 v14, v38, v31 :: v_dual_fmac_f32 v15, v47, v30
	v_lshlrev_b64 v[5:6], 3, v[6:7]
	s_delay_alu instid0(VALU_DEP_4) | instskip(NEXT) | instid1(VALU_DEP_4)
	v_fmac_f32_e32 v13, v26, v31
	v_fmac_f32_e32 v3, v20, v32
	s_waitcnt vmcnt(0)
	v_fmac_f32_e32 v14, v49, v32
	v_fmac_f32_e32 v8, v46, v30
	v_add_co_u32 v5, vcc_lo, s8, v5
	v_add_co_ci_u32_e32 v6, vcc_lo, s9, v6, vcc_lo
	s_clause 0x1
	global_load_b64 v[5:6], v[5:6], off
	global_load_b64 v[36:37], v[36:37], off
	v_dual_fmac_f32 v13, v21, v32 :: v_dual_fmac_f32 v14, v48, v33
	v_fmac_f32_e32 v18, v42, v28
	v_fma_f32 v8, -v47, v31, v8
	v_fmac_f32_e32 v15, v46, v31
	s_delay_alu instid0(VALU_DEP_4) | instskip(SKIP_3) | instid1(VALU_DEP_4)
	v_fmac_f32_e32 v13, v20, v33
	v_fma_f32 v3, -v21, v33, v3
	v_fma_f32 v17, -v43, v29, v18
	v_fmac_f32_e32 v8, v44, v32
	v_dual_fmac_f32 v13, v23, v34 :: v_dual_add_nc_u32 v4, 48, v4
	v_cmp_ge_i32_e32 vcc_lo, v2, v16
	s_delay_alu instid0(VALU_DEP_4) | instskip(NEXT) | instid1(VALU_DEP_4)
	v_fmac_f32_e32 v17, v38, v30
	v_fma_f32 v8, -v45, v33, v8
	s_delay_alu instid0(VALU_DEP_4) | instskip(SKIP_1) | instid1(VALU_DEP_3)
	v_fmac_f32_e32 v13, v22, v35
	s_or_b32 s2, vcc_lo, s2
	v_fma_f32 v17, -v39, v31, v17
	s_waitcnt vmcnt(1)
	s_delay_alu instid0(VALU_DEP_1) | instskip(NEXT) | instid1(VALU_DEP_1)
	v_dual_fmac_f32 v17, v48, v32 :: v_dual_fmac_f32 v8, v5, v34
	v_fma_f32 v18, -v49, v33, v17
	v_fmac_f32_e32 v15, v45, v32
	s_waitcnt vmcnt(0)
	v_fmac_f32_e32 v14, v37, v34
	v_fmac_f32_e32 v3, v22, v34
	v_fma_f32 v19, -v6, v35, v8
	v_fmac_f32_e32 v18, v36, v34
	v_fmac_f32_e32 v15, v44, v33
	;; [unrolled: 1-line block ×3, first 2 shown]
	v_fma_f32 v17, -v23, v35, v3
	s_delay_alu instid0(VALU_DEP_4) | instskip(NEXT) | instid1(VALU_DEP_4)
	v_fma_f32 v18, -v37, v35, v18
	v_fmac_f32_e32 v15, v6, v34
	s_delay_alu instid0(VALU_DEP_1)
	v_fmac_f32_e32 v15, v5, v35
	s_and_not1_b32 exec_lo, exec_lo, s2
	s_cbranch_execnz .LBB84_21
; %bb.22:
	s_or_b32 exec_lo, exec_lo, s2
.LBB84_23:
	s_delay_alu instid0(SALU_CYCLE_1)
	s_or_b32 exec_lo, exec_lo, s3
.LBB84_24:
	v_mbcnt_lo_u32_b32 v2, -1, 0
	s_delay_alu instid0(VALU_DEP_1) | instskip(NEXT) | instid1(VALU_DEP_1)
	v_xor_b32_e32 v3, 2, v2
	v_cmp_gt_i32_e32 vcc_lo, 32, v3
	v_cndmask_b32_e32 v3, v2, v3, vcc_lo
	s_delay_alu instid0(VALU_DEP_1)
	v_lshlrev_b32_e32 v3, 2, v3
	ds_bpermute_b32 v8, v3, v15
	s_waitcnt lgkmcnt(0)
	v_add_f32_e32 v8, v15, v8
	ds_bpermute_b32 v4, v3, v17
	ds_bpermute_b32 v5, v3, v13
	ds_bpermute_b32 v6, v3, v19
	ds_bpermute_b32 v16, v3, v18
	ds_bpermute_b32 v20, v3, v14
	v_xor_b32_e32 v3, 1, v2
	s_delay_alu instid0(VALU_DEP_1) | instskip(SKIP_4) | instid1(VALU_DEP_3)
	v_cmp_gt_i32_e32 vcc_lo, 32, v3
	v_cndmask_b32_e32 v2, v2, v3, vcc_lo
	v_cmp_eq_u32_e32 vcc_lo, 3, v0
	s_waitcnt lgkmcnt(3)
	v_add_f32_e32 v5, v13, v5
	v_dual_add_f32 v2, v17, v4 :: v_dual_lshlrev_b32 v21, 2, v2
	s_waitcnt lgkmcnt(0)
	v_dual_add_f32 v4, v14, v20 :: v_dual_add_f32 v7, v19, v6
	v_add_f32_e32 v3, v18, v16
	ds_bpermute_b32 v15, v21, v5
	ds_bpermute_b32 v6, v21, v2
	;; [unrolled: 1-line block ×6, first 2 shown]
	s_and_b32 exec_lo, exec_lo, vcc_lo
	s_cbranch_execz .LBB84_29
; %bb.25:
	s_load_b64 s[2:3], s[0:1], 0x38
	v_cmp_eq_f32_e32 vcc_lo, 0, v11
	v_cmp_eq_f32_e64 s0, 0, v12
	s_waitcnt lgkmcnt(0)
	v_add_f32_e32 v0, v2, v6
	v_dual_add_f32 v6, v5, v15 :: v_dual_add_f32 v3, v3, v13
	v_dual_add_f32 v2, v7, v16 :: v_dual_add_f32 v5, v8, v17
	v_add_f32_e32 v4, v4, v14
	s_and_b32 s0, vcc_lo, s0
	s_delay_alu instid0(SALU_CYCLE_1) | instskip(NEXT) | instid1(SALU_CYCLE_1)
	s_and_saveexec_b32 s1, s0
	s_xor_b32 s0, exec_lo, s1
	s_cbranch_execz .LBB84_27
; %bb.26:
	v_lshl_add_u32 v7, v1, 1, v1
	v_mul_f32_e64 v11, v6, -v10
	v_mul_f32_e32 v12, v6, v9
	v_mul_f32_e64 v13, v5, -v10
	v_mul_f32_e32 v14, v5, v9
	v_ashrrev_i32_e32 v8, 31, v7
	v_fmac_f32_e32 v11, v9, v0
	v_mul_f32_e64 v5, v4, -v10
	v_dual_mul_f32 v6, v4, v9 :: v_dual_fmac_f32 v13, v9, v2
	s_delay_alu instid0(VALU_DEP_4) | instskip(NEXT) | instid1(VALU_DEP_3)
	v_lshlrev_b64 v[7:8], 3, v[7:8]
	v_dual_fmac_f32 v12, v10, v0 :: v_dual_fmac_f32 v5, v9, v3
	v_fmac_f32_e32 v14, v10, v2
	s_delay_alu instid0(VALU_DEP_4) | instskip(NEXT) | instid1(VALU_DEP_4)
	v_fmac_f32_e32 v6, v10, v3
                                        ; implicit-def: $vgpr9
                                        ; implicit-def: $vgpr10
                                        ; implicit-def: $vgpr2
                                        ; implicit-def: $vgpr3
                                        ; implicit-def: $vgpr4
	v_add_co_u32 v0, vcc_lo, s2, v7
	v_add_co_ci_u32_e32 v1, vcc_lo, s3, v8, vcc_lo
	s_clause 0x1
	global_store_b128 v[0:1], v[11:14], off
	global_store_b64 v[0:1], v[5:6], off offset:16
                                        ; implicit-def: $vgpr11
                                        ; implicit-def: $vgpr12
                                        ; implicit-def: $vgpr1
                                        ; implicit-def: $vgpr0
                                        ; implicit-def: $vgpr6
                                        ; implicit-def: $vgpr5
.LBB84_27:
	s_and_not1_saveexec_b32 s0, s0
	s_cbranch_execz .LBB84_29
; %bb.28:
	v_lshl_add_u32 v7, v1, 1, v1
	v_mul_f32_e64 v21, v5, -v10
	v_mul_f32_e64 v22, v4, -v10
	s_delay_alu instid0(VALU_DEP_3) | instskip(NEXT) | instid1(VALU_DEP_1)
	v_ashrrev_i32_e32 v8, 31, v7
	v_lshlrev_b64 v[7:8], 3, v[7:8]
	s_delay_alu instid0(VALU_DEP_1) | instskip(NEXT) | instid1(VALU_DEP_2)
	v_add_co_u32 v17, vcc_lo, s2, v7
	v_add_co_ci_u32_e32 v18, vcc_lo, s3, v8, vcc_lo
	v_mul_f32_e64 v7, v6, -v10
	v_mul_f32_e32 v6, v6, v9
	s_clause 0x1
	global_load_b128 v[13:16], v[17:18], off
	global_load_b64 v[19:20], v[17:18], off offset:16
	v_fmac_f32_e32 v7, v9, v0
	v_dual_mul_f32 v1, v4, v9 :: v_dual_fmac_f32 v6, v10, v0
	v_mul_f32_e32 v8, v5, v9
	v_fmac_f32_e32 v21, v9, v2
	s_delay_alu instid0(VALU_DEP_3) | instskip(SKIP_1) | instid1(VALU_DEP_3)
	v_fmac_f32_e32 v1, v10, v3
	s_waitcnt vmcnt(1)
	v_dual_fmac_f32 v8, v10, v2 :: v_dual_fmac_f32 v7, v11, v13
	v_fmac_f32_e32 v6, v12, v13
	s_waitcnt vmcnt(0)
	v_fmac_f32_e32 v1, v12, v19
	v_fmac_f32_e32 v21, v11, v15
	;; [unrolled: 1-line block ×3, first 2 shown]
	v_fma_f32 v5, -v12, v14, v7
	v_fmac_f32_e32 v6, v11, v14
	v_dual_fmac_f32 v22, v9, v3 :: v_dual_fmac_f32 v1, v11, v20
	v_fma_f32 v7, -v12, v16, v21
	v_fmac_f32_e32 v8, v11, v16
	s_delay_alu instid0(VALU_DEP_3) | instskip(NEXT) | instid1(VALU_DEP_1)
	v_fmac_f32_e32 v22, v11, v19
	v_fma_f32 v0, -v12, v20, v22
	s_clause 0x1
	global_store_b128 v[17:18], v[5:8], off
	global_store_b64 v[17:18], v[0:1], off offset:16
.LBB84_29:
	s_nop 0
	s_sendmsg sendmsg(MSG_DEALLOC_VGPRS)
	s_endpgm
	.section	.rodata,"a",@progbits
	.p2align	6, 0x0
	.amdhsa_kernel _ZN9rocsparseL19gebsrmvn_3xn_kernelILj128ELj4ELj4E21rocsparse_complex_numIfEEEvi20rocsparse_direction_NS_24const_host_device_scalarIT2_EEPKiS8_PKS5_SA_S6_PS5_21rocsparse_index_base_b
		.amdhsa_group_segment_fixed_size 0
		.amdhsa_private_segment_fixed_size 0
		.amdhsa_kernarg_size 72
		.amdhsa_user_sgpr_count 15
		.amdhsa_user_sgpr_dispatch_ptr 0
		.amdhsa_user_sgpr_queue_ptr 0
		.amdhsa_user_sgpr_kernarg_segment_ptr 1
		.amdhsa_user_sgpr_dispatch_id 0
		.amdhsa_user_sgpr_private_segment_size 0
		.amdhsa_wavefront_size32 1
		.amdhsa_uses_dynamic_stack 0
		.amdhsa_enable_private_segment 0
		.amdhsa_system_sgpr_workgroup_id_x 1
		.amdhsa_system_sgpr_workgroup_id_y 0
		.amdhsa_system_sgpr_workgroup_id_z 0
		.amdhsa_system_sgpr_workgroup_info 0
		.amdhsa_system_vgpr_workitem_id 0
		.amdhsa_next_free_vgpr 50
		.amdhsa_next_free_sgpr 16
		.amdhsa_reserve_vcc 1
		.amdhsa_float_round_mode_32 0
		.amdhsa_float_round_mode_16_64 0
		.amdhsa_float_denorm_mode_32 3
		.amdhsa_float_denorm_mode_16_64 3
		.amdhsa_dx10_clamp 1
		.amdhsa_ieee_mode 1
		.amdhsa_fp16_overflow 0
		.amdhsa_workgroup_processor_mode 1
		.amdhsa_memory_ordered 1
		.amdhsa_forward_progress 0
		.amdhsa_shared_vgpr_count 0
		.amdhsa_exception_fp_ieee_invalid_op 0
		.amdhsa_exception_fp_denorm_src 0
		.amdhsa_exception_fp_ieee_div_zero 0
		.amdhsa_exception_fp_ieee_overflow 0
		.amdhsa_exception_fp_ieee_underflow 0
		.amdhsa_exception_fp_ieee_inexact 0
		.amdhsa_exception_int_div_zero 0
	.end_amdhsa_kernel
	.section	.text._ZN9rocsparseL19gebsrmvn_3xn_kernelILj128ELj4ELj4E21rocsparse_complex_numIfEEEvi20rocsparse_direction_NS_24const_host_device_scalarIT2_EEPKiS8_PKS5_SA_S6_PS5_21rocsparse_index_base_b,"axG",@progbits,_ZN9rocsparseL19gebsrmvn_3xn_kernelILj128ELj4ELj4E21rocsparse_complex_numIfEEEvi20rocsparse_direction_NS_24const_host_device_scalarIT2_EEPKiS8_PKS5_SA_S6_PS5_21rocsparse_index_base_b,comdat
.Lfunc_end84:
	.size	_ZN9rocsparseL19gebsrmvn_3xn_kernelILj128ELj4ELj4E21rocsparse_complex_numIfEEEvi20rocsparse_direction_NS_24const_host_device_scalarIT2_EEPKiS8_PKS5_SA_S6_PS5_21rocsparse_index_base_b, .Lfunc_end84-_ZN9rocsparseL19gebsrmvn_3xn_kernelILj128ELj4ELj4E21rocsparse_complex_numIfEEEvi20rocsparse_direction_NS_24const_host_device_scalarIT2_EEPKiS8_PKS5_SA_S6_PS5_21rocsparse_index_base_b
                                        ; -- End function
	.section	.AMDGPU.csdata,"",@progbits
; Kernel info:
; codeLenInByte = 2772
; NumSgprs: 18
; NumVgprs: 50
; ScratchSize: 0
; MemoryBound: 0
; FloatMode: 240
; IeeeMode: 1
; LDSByteSize: 0 bytes/workgroup (compile time only)
; SGPRBlocks: 2
; VGPRBlocks: 6
; NumSGPRsForWavesPerEU: 18
; NumVGPRsForWavesPerEU: 50
; Occupancy: 16
; WaveLimiterHint : 1
; COMPUTE_PGM_RSRC2:SCRATCH_EN: 0
; COMPUTE_PGM_RSRC2:USER_SGPR: 15
; COMPUTE_PGM_RSRC2:TRAP_HANDLER: 0
; COMPUTE_PGM_RSRC2:TGID_X_EN: 1
; COMPUTE_PGM_RSRC2:TGID_Y_EN: 0
; COMPUTE_PGM_RSRC2:TGID_Z_EN: 0
; COMPUTE_PGM_RSRC2:TIDIG_COMP_CNT: 0
	.section	.text._ZN9rocsparseL19gebsrmvn_3xn_kernelILj128ELj4ELj8E21rocsparse_complex_numIfEEEvi20rocsparse_direction_NS_24const_host_device_scalarIT2_EEPKiS8_PKS5_SA_S6_PS5_21rocsparse_index_base_b,"axG",@progbits,_ZN9rocsparseL19gebsrmvn_3xn_kernelILj128ELj4ELj8E21rocsparse_complex_numIfEEEvi20rocsparse_direction_NS_24const_host_device_scalarIT2_EEPKiS8_PKS5_SA_S6_PS5_21rocsparse_index_base_b,comdat
	.globl	_ZN9rocsparseL19gebsrmvn_3xn_kernelILj128ELj4ELj8E21rocsparse_complex_numIfEEEvi20rocsparse_direction_NS_24const_host_device_scalarIT2_EEPKiS8_PKS5_SA_S6_PS5_21rocsparse_index_base_b ; -- Begin function _ZN9rocsparseL19gebsrmvn_3xn_kernelILj128ELj4ELj8E21rocsparse_complex_numIfEEEvi20rocsparse_direction_NS_24const_host_device_scalarIT2_EEPKiS8_PKS5_SA_S6_PS5_21rocsparse_index_base_b
	.p2align	8
	.type	_ZN9rocsparseL19gebsrmvn_3xn_kernelILj128ELj4ELj8E21rocsparse_complex_numIfEEEvi20rocsparse_direction_NS_24const_host_device_scalarIT2_EEPKiS8_PKS5_SA_S6_PS5_21rocsparse_index_base_b,@function
_ZN9rocsparseL19gebsrmvn_3xn_kernelILj128ELj4ELj8E21rocsparse_complex_numIfEEEvi20rocsparse_direction_NS_24const_host_device_scalarIT2_EEPKiS8_PKS5_SA_S6_PS5_21rocsparse_index_base_b: ; @_ZN9rocsparseL19gebsrmvn_3xn_kernelILj128ELj4ELj8E21rocsparse_complex_numIfEEEvi20rocsparse_direction_NS_24const_host_device_scalarIT2_EEPKiS8_PKS5_SA_S6_PS5_21rocsparse_index_base_b
; %bb.0:
	s_clause 0x2
	s_load_b64 s[12:13], s[0:1], 0x40
	s_load_b64 s[4:5], s[0:1], 0x8
	;; [unrolled: 1-line block ×3, first 2 shown]
	s_waitcnt lgkmcnt(0)
	s_bitcmp1_b32 s13, 0
	v_mov_b32_e32 v9, s4
	s_cselect_b32 s6, -1, 0
	s_delay_alu instid0(SALU_CYCLE_1)
	s_and_b32 vcc_lo, exec_lo, s6
	s_xor_b32 s6, s6, -1
	s_cbranch_vccz .LBB85_15
; %bb.1:
	v_cndmask_b32_e64 v1, 0, 1, s6
	v_mov_b32_e32 v10, s5
	s_and_not1_b32 vcc_lo, exec_lo, s6
	s_cbranch_vccz .LBB85_16
.LBB85_2:
	s_delay_alu instid0(VALU_DEP_2)
	v_cmp_ne_u32_e32 vcc_lo, 1, v1
	v_mov_b32_e32 v11, s2
	s_cbranch_vccz .LBB85_17
.LBB85_3:
	v_cmp_ne_u32_e32 vcc_lo, 1, v1
	v_mov_b32_e32 v12, s3
	s_cbranch_vccnz .LBB85_5
.LBB85_4:
	v_dual_mov_b32 v1, s2 :: v_dual_mov_b32 v2, s3
	flat_load_b32 v12, v[1:2] offset:4
.LBB85_5:
	s_waitcnt vmcnt(0) lgkmcnt(0)
	v_cmp_eq_f32_e32 vcc_lo, 0, v9
	v_cmp_eq_f32_e64 s2, 0, v10
	s_delay_alu instid0(VALU_DEP_1)
	s_and_b32 s4, vcc_lo, s2
	s_mov_b32 s2, -1
	s_and_saveexec_b32 s3, s4
; %bb.6:
	v_cmp_neq_f32_e32 vcc_lo, 1.0, v11
	v_cmp_neq_f32_e64 s2, 0, v12
	s_delay_alu instid0(VALU_DEP_1) | instskip(NEXT) | instid1(SALU_CYCLE_1)
	s_or_b32 s2, vcc_lo, s2
	s_or_not1_b32 s2, s2, exec_lo
; %bb.7:
	s_or_b32 exec_lo, exec_lo, s3
	s_and_saveexec_b32 s3, s2
	s_cbranch_execz .LBB85_29
; %bb.8:
	s_load_b64 s[2:3], s[0:1], 0x0
	v_lshrrev_b32_e32 v1, 3, v0
	s_delay_alu instid0(VALU_DEP_1) | instskip(SKIP_1) | instid1(VALU_DEP_1)
	v_lshl_or_b32 v1, s15, 4, v1
	s_waitcnt lgkmcnt(0)
	v_cmp_gt_i32_e32 vcc_lo, s2, v1
	s_and_b32 exec_lo, exec_lo, vcc_lo
	s_cbranch_execz .LBB85_29
; %bb.9:
	s_load_b256 s[4:11], s[0:1], 0x10
	v_ashrrev_i32_e32 v2, 31, v1
	v_and_b32_e32 v0, 7, v0
	s_cmp_lg_u32 s3, 0
	s_delay_alu instid0(VALU_DEP_2) | instskip(SKIP_1) | instid1(VALU_DEP_1)
	v_lshlrev_b64 v[2:3], 2, v[1:2]
	s_waitcnt lgkmcnt(0)
	v_add_co_u32 v2, vcc_lo, s4, v2
	s_delay_alu instid0(VALU_DEP_2) | instskip(SKIP_4) | instid1(VALU_DEP_2)
	v_add_co_ci_u32_e32 v3, vcc_lo, s5, v3, vcc_lo
	global_load_b64 v[2:3], v[2:3], off
	s_waitcnt vmcnt(0)
	v_subrev_nc_u32_e32 v2, s12, v2
	v_subrev_nc_u32_e32 v16, s12, v3
	v_add_nc_u32_e32 v2, v2, v0
	s_delay_alu instid0(VALU_DEP_1)
	v_cmp_lt_i32_e64 s2, v2, v16
	s_cbranch_scc0 .LBB85_18
; %bb.10:
	v_dual_mov_b32 v13, 0 :: v_dual_mov_b32 v18, 0
	v_dual_mov_b32 v17, 0 :: v_dual_mov_b32 v14, 0
	v_mov_b32_e32 v19, 0
	v_mov_b32_e32 v15, 0
	s_mov_b32 s4, 0
	s_and_saveexec_b32 s5, s2
	s_cbranch_execz .LBB85_14
; %bb.11:
	v_mad_u64_u32 v[3:4], null, v2, 12, 11
	v_dual_mov_b32 v6, 0 :: v_dual_mov_b32 v7, v2
	v_dual_mov_b32 v13, 0 :: v_dual_mov_b32 v18, 0
	;; [unrolled: 1-line block ×3, first 2 shown]
	v_mov_b32_e32 v19, 0
	v_mov_b32_e32 v15, 0
	s_mov_b32 s13, 0
.LBB85_12:                              ; =>This Inner Loop Header: Depth=1
	v_ashrrev_i32_e32 v8, 31, v7
	s_delay_alu instid0(VALU_DEP_1) | instskip(NEXT) | instid1(VALU_DEP_1)
	v_lshlrev_b64 v[4:5], 2, v[7:8]
	v_add_co_u32 v4, vcc_lo, s6, v4
	s_delay_alu instid0(VALU_DEP_2) | instskip(SKIP_2) | instid1(VALU_DEP_1)
	v_add_co_ci_u32_e32 v5, vcc_lo, s7, v5, vcc_lo
	global_load_b32 v8, v[4:5], off
	v_dual_mov_b32 v4, v6 :: v_dual_add_nc_u32 v5, -11, v3
	v_lshlrev_b64 v[20:21], 3, v[5:6]
	v_add_nc_u32_e32 v5, -7, v3
	s_delay_alu instid0(VALU_DEP_3) | instskip(NEXT) | instid1(VALU_DEP_2)
	v_lshlrev_b64 v[22:23], 3, v[3:4]
	v_lshlrev_b64 v[24:25], 3, v[5:6]
	s_delay_alu instid0(VALU_DEP_4) | instskip(SKIP_1) | instid1(VALU_DEP_4)
	v_add_co_u32 v26, vcc_lo, s8, v20
	v_add_co_ci_u32_e32 v27, vcc_lo, s9, v21, vcc_lo
	v_add_co_u32 v36, vcc_lo, s8, v22
	v_add_co_ci_u32_e32 v37, vcc_lo, s9, v23, vcc_lo
	;; [unrolled: 2-line block ×3, first 2 shown]
	s_clause 0x1
	global_load_b128 v[20:23], v[26:27], off offset:16
	global_load_b128 v[24:27], v[26:27], off
	v_add_nc_u32_e32 v5, -6, v3
	global_load_b64 v[38:39], v[32:33], off
	v_lshlrev_b64 v[30:31], 3, v[5:6]
	v_add_nc_u32_e32 v5, -5, v3
	s_delay_alu instid0(VALU_DEP_2) | instskip(NEXT) | instid1(VALU_DEP_2)
	v_add_co_u32 v30, vcc_lo, s8, v30
	v_lshlrev_b64 v[34:35], 3, v[5:6]
	s_delay_alu instid0(VALU_DEP_4)
	v_add_co_ci_u32_e32 v31, vcc_lo, s9, v31, vcc_lo
	global_load_b64 v[42:43], v[30:31], off
	v_add_co_u32 v32, vcc_lo, s8, v34
	v_add_co_ci_u32_e32 v33, vcc_lo, s9, v35, vcc_lo
	global_load_b64 v[46:47], v[32:33], off
	s_waitcnt vmcnt(5)
	v_subrev_nc_u32_e32 v4, s12, v8
	s_delay_alu instid0(VALU_DEP_1) | instskip(NEXT) | instid1(VALU_DEP_1)
	v_dual_mov_b32 v29, v6 :: v_dual_lshlrev_b32 v28, 2, v4
	v_lshlrev_b64 v[28:29], 3, v[28:29]
	s_delay_alu instid0(VALU_DEP_1) | instskip(NEXT) | instid1(VALU_DEP_1)
	v_add_co_u32 v32, s3, s10, v28
	v_add_co_ci_u32_e64 v33, s3, s11, v29, s3
	s_clause 0x1
	global_load_b128 v[28:31], v[32:33], off
	global_load_b128 v[32:35], v[32:33], off offset:16
	s_waitcnt vmcnt(1)
	v_fmac_f32_e32 v17, v24, v28
	v_fmac_f32_e32 v18, v20, v28
	;; [unrolled: 1-line block ×3, first 2 shown]
	s_delay_alu instid0(VALU_DEP_3) | instskip(SKIP_1) | instid1(VALU_DEP_4)
	v_fma_f32 v8, -v25, v29, v17
	v_add_nc_u32_e32 v5, -4, v3
	v_fma_f32 v18, -v21, v29, v18
	s_delay_alu instid0(VALU_DEP_4) | instskip(NEXT) | instid1(VALU_DEP_4)
	v_fmac_f32_e32 v14, v20, v29
	v_fmac_f32_e32 v8, v22, v30
	s_delay_alu instid0(VALU_DEP_4) | instskip(NEXT) | instid1(VALU_DEP_4)
	v_lshlrev_b64 v[40:41], 3, v[5:6]
	v_dual_fmac_f32 v18, v42, v30 :: v_dual_add_nc_u32 v5, -3, v3
	s_delay_alu instid0(VALU_DEP_4) | instskip(NEXT) | instid1(VALU_DEP_4)
	v_fmac_f32_e32 v14, v43, v30
	v_fma_f32 v8, -v23, v31, v8
	s_delay_alu instid0(VALU_DEP_3) | instskip(SKIP_3) | instid1(VALU_DEP_3)
	v_lshlrev_b64 v[44:45], 3, v[5:6]
	v_add_nc_u32_e32 v5, -2, v3
	v_add_co_u32 v40, vcc_lo, s8, v40
	v_add_co_ci_u32_e32 v41, vcc_lo, s9, v41, vcc_lo
	v_lshlrev_b64 v[48:49], 3, v[5:6]
	s_waitcnt vmcnt(0)
	v_dual_fmac_f32 v8, v46, v32 :: v_dual_add_nc_u32 v5, -1, v3
	v_add_co_u32 v44, vcc_lo, s8, v44
	v_add_co_ci_u32_e32 v45, vcc_lo, s9, v45, vcc_lo
	s_delay_alu instid0(VALU_DEP_3)
	v_lshlrev_b64 v[4:5], 3, v[5:6]
	global_load_b64 v[40:41], v[40:41], off
	v_add_co_u32 v48, vcc_lo, s8, v48
	global_load_b64 v[44:45], v[44:45], off
	v_add_co_ci_u32_e32 v49, vcc_lo, s9, v49, vcc_lo
	v_add_co_u32 v4, vcc_lo, s8, v4
	v_add_co_ci_u32_e32 v5, vcc_lo, s9, v5, vcc_lo
	s_clause 0x2
	global_load_b64 v[48:49], v[48:49], off
	global_load_b64 v[4:5], v[4:5], off
	;; [unrolled: 1-line block ×3, first 2 shown]
	v_fma_f32 v18, -v43, v31, v18
	v_fmac_f32_e32 v14, v42, v31
	v_add_nc_u32_e32 v7, 8, v7
	v_add_nc_u32_e32 v3, 0x60, v3
	v_fma_f32 v8, -v47, v33, v8
	v_fmac_f32_e32 v19, v26, v28
	s_waitcnt vmcnt(3)
	v_fmac_f32_e32 v18, v44, v32
	v_fmac_f32_e32 v14, v45, v32
	;; [unrolled: 1-line block ×3, first 2 shown]
	v_cmp_ge_i32_e32 vcc_lo, v7, v16
	s_delay_alu instid0(VALU_DEP_4) | instskip(NEXT) | instid1(VALU_DEP_4)
	v_fma_f32 v18, -v45, v33, v18
	v_dual_fmac_f32 v14, v44, v33 :: v_dual_fmac_f32 v15, v27, v28
	s_delay_alu instid0(VALU_DEP_4)
	v_fmac_f32_e32 v13, v24, v29
	s_waitcnt vmcnt(2)
	v_fmac_f32_e32 v8, v48, v34
	v_fma_f32 v17, -v27, v29, v19
	s_waitcnt vmcnt(0)
	v_fmac_f32_e32 v14, v37, v34
	v_dual_fmac_f32 v18, v36, v34 :: v_dual_fmac_f32 v15, v26, v29
	v_fmac_f32_e32 v13, v23, v30
	s_delay_alu instid0(VALU_DEP_3) | instskip(NEXT) | instid1(VALU_DEP_3)
	v_dual_fmac_f32 v17, v38, v30 :: v_dual_fmac_f32 v14, v36, v35
	v_fma_f32 v18, -v37, v35, v18
	s_delay_alu instid0(VALU_DEP_4) | instskip(NEXT) | instid1(VALU_DEP_4)
	v_fmac_f32_e32 v15, v39, v30
	v_fmac_f32_e32 v13, v22, v31
	s_delay_alu instid0(VALU_DEP_4) | instskip(SKIP_1) | instid1(VALU_DEP_3)
	v_fma_f32 v17, -v39, v31, v17
	s_or_b32 s13, vcc_lo, s13
	v_fmac_f32_e32 v15, v38, v31
	s_delay_alu instid0(VALU_DEP_3) | instskip(NEXT) | instid1(VALU_DEP_3)
	v_fmac_f32_e32 v13, v47, v32
	v_fmac_f32_e32 v17, v40, v32
	s_delay_alu instid0(VALU_DEP_3) | instskip(NEXT) | instid1(VALU_DEP_3)
	v_fmac_f32_e32 v15, v41, v32
	v_fmac_f32_e32 v13, v46, v33
	s_delay_alu instid0(VALU_DEP_3) | instskip(SKIP_1) | instid1(VALU_DEP_4)
	v_fma_f32 v19, -v41, v33, v17
	v_fma_f32 v17, -v49, v35, v8
	v_fmac_f32_e32 v15, v40, v33
	s_delay_alu instid0(VALU_DEP_4) | instskip(NEXT) | instid1(VALU_DEP_4)
	v_fmac_f32_e32 v13, v49, v34
	v_fmac_f32_e32 v19, v4, v34
	s_delay_alu instid0(VALU_DEP_3) | instskip(NEXT) | instid1(VALU_DEP_3)
	v_fmac_f32_e32 v15, v5, v34
	v_fmac_f32_e32 v13, v48, v35
	s_delay_alu instid0(VALU_DEP_3) | instskip(NEXT) | instid1(VALU_DEP_3)
	v_fma_f32 v19, -v5, v35, v19
	v_fmac_f32_e32 v15, v4, v35
	s_and_not1_b32 exec_lo, exec_lo, s13
	s_cbranch_execnz .LBB85_12
; %bb.13:
	s_or_b32 exec_lo, exec_lo, s13
.LBB85_14:
	s_delay_alu instid0(SALU_CYCLE_1) | instskip(NEXT) | instid1(SALU_CYCLE_1)
	s_or_b32 exec_lo, exec_lo, s5
	s_and_not1_b32 vcc_lo, exec_lo, s4
	s_cbranch_vccz .LBB85_19
	s_branch .LBB85_24
.LBB85_15:
	v_dual_mov_b32 v1, s4 :: v_dual_mov_b32 v2, s5
	flat_load_b32 v9, v[1:2]
	v_cndmask_b32_e64 v1, 0, 1, s6
	v_mov_b32_e32 v10, s5
	s_and_not1_b32 vcc_lo, exec_lo, s6
	s_cbranch_vccnz .LBB85_2
.LBB85_16:
	v_dual_mov_b32 v2, s4 :: v_dual_mov_b32 v3, s5
	flat_load_b32 v10, v[2:3] offset:4
	v_cmp_ne_u32_e32 vcc_lo, 1, v1
	v_mov_b32_e32 v11, s2
	s_cbranch_vccnz .LBB85_3
.LBB85_17:
	v_dual_mov_b32 v2, s2 :: v_dual_mov_b32 v3, s3
	flat_load_b32 v11, v[2:3]
	v_cmp_ne_u32_e32 vcc_lo, 1, v1
	v_mov_b32_e32 v12, s3
	s_cbranch_vccz .LBB85_4
	s_branch .LBB85_5
.LBB85_18:
                                        ; implicit-def: $vgpr13
                                        ; implicit-def: $vgpr17
                                        ; implicit-def: $vgpr18
                                        ; implicit-def: $vgpr14
                                        ; implicit-def: $vgpr19
                                        ; implicit-def: $vgpr15
.LBB85_19:
	v_dual_mov_b32 v13, 0 :: v_dual_mov_b32 v18, 0
	v_dual_mov_b32 v17, 0 :: v_dual_mov_b32 v14, 0
	v_mov_b32_e32 v19, 0
	v_mov_b32_e32 v15, 0
	s_and_saveexec_b32 s3, s2
	s_cbranch_execz .LBB85_23
; %bb.20:
	v_mad_u64_u32 v[4:5], null, v2, 12, 11
	v_dual_mov_b32 v7, 0 :: v_dual_mov_b32 v18, 0
	v_dual_mov_b32 v13, 0 :: v_dual_mov_b32 v14, 0
	v_mov_b32_e32 v17, 0
	v_mov_b32_e32 v19, 0
	;; [unrolled: 1-line block ×3, first 2 shown]
	s_mov_b32 s2, 0
.LBB85_21:                              ; =>This Inner Loop Header: Depth=1
	v_ashrrev_i32_e32 v3, 31, v2
	v_dual_mov_b32 v21, v7 :: v_dual_add_nc_u32 v20, -7, v4
	v_dual_mov_b32 v23, v7 :: v_dual_add_nc_u32 v22, -3, v4
	s_delay_alu instid0(VALU_DEP_3) | instskip(SKIP_1) | instid1(VALU_DEP_4)
	v_lshlrev_b64 v[5:6], 2, v[2:3]
	v_mov_b32_e32 v29, v7
	v_lshlrev_b64 v[20:21], 3, v[20:21]
	s_delay_alu instid0(VALU_DEP_4) | instskip(NEXT) | instid1(VALU_DEP_4)
	v_lshlrev_b64 v[22:23], 3, v[22:23]
	v_add_co_u32 v5, vcc_lo, s6, v5
	v_add_co_ci_u32_e32 v6, vcc_lo, s7, v6, vcc_lo
	global_load_b32 v3, v[5:6], off
	v_dual_mov_b32 v5, v7 :: v_dual_add_nc_u32 v6, -11, v4
	s_delay_alu instid0(VALU_DEP_1) | instskip(SKIP_1) | instid1(VALU_DEP_3)
	v_lshlrev_b64 v[24:25], 3, v[6:7]
	v_add_nc_u32_e32 v6, -6, v4
	v_lshlrev_b64 v[26:27], 3, v[4:5]
	s_delay_alu instid0(VALU_DEP_2) | instskip(NEXT) | instid1(VALU_DEP_4)
	v_lshlrev_b64 v[30:31], 3, v[6:7]
	v_add_co_u32 v24, vcc_lo, s8, v24
	v_add_co_ci_u32_e32 v25, vcc_lo, s9, v25, vcc_lo
	v_add_co_u32 v32, vcc_lo, s8, v20
	v_add_co_ci_u32_e32 v33, vcc_lo, s9, v21, vcc_lo
	;; [unrolled: 2-line block ×4, first 2 shown]
	s_clause 0x1
	global_load_b128 v[20:23], v[24:25], off offset:16
	global_load_b128 v[24:27], v[24:25], off
	v_add_nc_u32_e32 v6, -2, v4
	s_clause 0x1
	global_load_b64 v[40:41], v[32:33], off
	global_load_b64 v[42:43], v[34:35], off
	v_add_co_u32 v30, vcc_lo, s8, v30
	v_add_co_ci_u32_e32 v31, vcc_lo, s9, v31, vcc_lo
	v_lshlrev_b64 v[38:39], 3, v[6:7]
	v_add_nc_u32_e32 v6, -5, v4
	global_load_b64 v[46:47], v[30:31], off
	v_lshlrev_b64 v[44:45], 3, v[6:7]
	v_add_nc_u32_e32 v6, -1, v4
	v_add_co_u32 v38, vcc_lo, s8, v38
	v_add_co_ci_u32_e32 v39, vcc_lo, s9, v39, vcc_lo
	s_delay_alu instid0(VALU_DEP_3) | instskip(SKIP_2) | instid1(VALU_DEP_1)
	v_lshlrev_b64 v[48:49], 3, v[6:7]
	s_waitcnt vmcnt(5)
	v_subrev_nc_u32_e32 v3, s12, v3
	v_lshlrev_b32_e32 v28, 2, v3
	s_delay_alu instid0(VALU_DEP_1) | instskip(NEXT) | instid1(VALU_DEP_1)
	v_lshlrev_b64 v[5:6], 3, v[28:29]
	v_add_co_u32 v5, vcc_lo, s10, v5
	s_delay_alu instid0(VALU_DEP_2)
	v_add_co_ci_u32_e32 v6, vcc_lo, s11, v6, vcc_lo
	v_add_co_u32 v44, vcc_lo, s8, v44
	v_add_co_ci_u32_e32 v45, vcc_lo, s9, v45, vcc_lo
	s_clause 0x1
	global_load_b128 v[28:31], v[5:6], off
	global_load_b128 v[32:35], v[5:6], off offset:16
	global_load_b64 v[38:39], v[38:39], off
	v_add_co_u32 v48, vcc_lo, s8, v48
	v_add_co_ci_u32_e32 v49, vcc_lo, s9, v49, vcc_lo
	s_clause 0x1
	global_load_b64 v[44:45], v[44:45], off
	global_load_b64 v[48:49], v[48:49], off
	s_waitcnt vmcnt(4)
	v_dual_fmac_f32 v17, v24, v28 :: v_dual_add_nc_u32 v2, 8, v2
	v_fmac_f32_e32 v14, v43, v28
	v_fmac_f32_e32 v13, v25, v28
	;; [unrolled: 1-line block ×3, first 2 shown]
	s_delay_alu instid0(VALU_DEP_4) | instskip(NEXT) | instid1(VALU_DEP_4)
	v_fma_f32 v3, -v25, v29, v17
	v_dual_fmac_f32 v14, v42, v29 :: v_dual_fmac_f32 v15, v41, v28
	s_delay_alu instid0(VALU_DEP_4) | instskip(NEXT) | instid1(VALU_DEP_4)
	v_fmac_f32_e32 v13, v24, v29
	v_fma_f32 v8, -v41, v29, v19
	s_delay_alu instid0(VALU_DEP_4) | instskip(SKIP_3) | instid1(VALU_DEP_3)
	v_fmac_f32_e32 v3, v26, v30
	s_waitcnt vmcnt(2)
	v_dual_fmac_f32 v14, v39, v30 :: v_dual_fmac_f32 v15, v40, v29
	v_dual_fmac_f32 v13, v27, v30 :: v_dual_add_nc_u32 v6, -4, v4
	v_fma_f32 v3, -v27, v31, v3
	s_delay_alu instid0(VALU_DEP_3) | instskip(NEXT) | instid1(VALU_DEP_3)
	v_dual_fmac_f32 v14, v38, v31 :: v_dual_fmac_f32 v15, v47, v30
	v_lshlrev_b64 v[5:6], 3, v[6:7]
	s_delay_alu instid0(VALU_DEP_4) | instskip(NEXT) | instid1(VALU_DEP_4)
	v_fmac_f32_e32 v13, v26, v31
	v_fmac_f32_e32 v3, v20, v32
	s_waitcnt vmcnt(0)
	v_fmac_f32_e32 v14, v49, v32
	v_fmac_f32_e32 v8, v46, v30
	v_add_co_u32 v5, vcc_lo, s8, v5
	v_add_co_ci_u32_e32 v6, vcc_lo, s9, v6, vcc_lo
	s_clause 0x1
	global_load_b64 v[5:6], v[5:6], off
	global_load_b64 v[36:37], v[36:37], off
	v_dual_fmac_f32 v13, v21, v32 :: v_dual_fmac_f32 v14, v48, v33
	v_fmac_f32_e32 v18, v42, v28
	v_fma_f32 v8, -v47, v31, v8
	v_fmac_f32_e32 v15, v46, v31
	s_delay_alu instid0(VALU_DEP_4) | instskip(SKIP_3) | instid1(VALU_DEP_4)
	v_fmac_f32_e32 v13, v20, v33
	v_fma_f32 v3, -v21, v33, v3
	v_fma_f32 v17, -v43, v29, v18
	v_fmac_f32_e32 v8, v44, v32
	v_dual_fmac_f32 v13, v23, v34 :: v_dual_add_nc_u32 v4, 0x60, v4
	v_cmp_ge_i32_e32 vcc_lo, v2, v16
	s_delay_alu instid0(VALU_DEP_4) | instskip(NEXT) | instid1(VALU_DEP_4)
	v_fmac_f32_e32 v17, v38, v30
	v_fma_f32 v8, -v45, v33, v8
	s_delay_alu instid0(VALU_DEP_4) | instskip(SKIP_1) | instid1(VALU_DEP_3)
	v_fmac_f32_e32 v13, v22, v35
	s_or_b32 s2, vcc_lo, s2
	v_fma_f32 v17, -v39, v31, v17
	s_waitcnt vmcnt(1)
	s_delay_alu instid0(VALU_DEP_1) | instskip(NEXT) | instid1(VALU_DEP_1)
	v_dual_fmac_f32 v17, v48, v32 :: v_dual_fmac_f32 v8, v5, v34
	v_fma_f32 v18, -v49, v33, v17
	v_fmac_f32_e32 v15, v45, v32
	s_waitcnt vmcnt(0)
	v_fmac_f32_e32 v14, v37, v34
	v_fmac_f32_e32 v3, v22, v34
	v_fma_f32 v19, -v6, v35, v8
	v_fmac_f32_e32 v18, v36, v34
	v_fmac_f32_e32 v15, v44, v33
	;; [unrolled: 1-line block ×3, first 2 shown]
	v_fma_f32 v17, -v23, v35, v3
	s_delay_alu instid0(VALU_DEP_4) | instskip(NEXT) | instid1(VALU_DEP_4)
	v_fma_f32 v18, -v37, v35, v18
	v_fmac_f32_e32 v15, v6, v34
	s_delay_alu instid0(VALU_DEP_1)
	v_fmac_f32_e32 v15, v5, v35
	s_and_not1_b32 exec_lo, exec_lo, s2
	s_cbranch_execnz .LBB85_21
; %bb.22:
	s_or_b32 exec_lo, exec_lo, s2
.LBB85_23:
	s_delay_alu instid0(SALU_CYCLE_1)
	s_or_b32 exec_lo, exec_lo, s3
.LBB85_24:
	v_mbcnt_lo_u32_b32 v2, -1, 0
	s_delay_alu instid0(VALU_DEP_1) | instskip(SKIP_1) | instid1(VALU_DEP_2)
	v_xor_b32_e32 v3, 4, v2
	v_xor_b32_e32 v16, 2, v2
	v_cmp_gt_i32_e32 vcc_lo, 32, v3
	v_cndmask_b32_e32 v3, v2, v3, vcc_lo
	s_delay_alu instid0(VALU_DEP_3) | instskip(SKIP_1) | instid1(VALU_DEP_1)
	v_cmp_gt_i32_e32 vcc_lo, 32, v16
	v_cndmask_b32_e32 v16, v2, v16, vcc_lo
	v_lshlrev_b32_e32 v16, 2, v16
	s_delay_alu instid0(VALU_DEP_4)
	v_lshlrev_b32_e32 v3, 2, v3
	ds_bpermute_b32 v4, v3, v17
	s_waitcnt lgkmcnt(0)
	v_add_f32_e32 v4, v17, v4
	ds_bpermute_b32 v6, v3, v19
	ds_bpermute_b32 v5, v3, v13
	;; [unrolled: 1-line block ×5, first 2 shown]
	s_waitcnt lgkmcnt(4)
	v_add_f32_e32 v6, v19, v6
	v_xor_b32_e32 v19, 1, v2
	s_waitcnt lgkmcnt(3)
	v_add_f32_e32 v5, v13, v5
	s_delay_alu instid0(VALU_DEP_2)
	v_cmp_gt_i32_e32 vcc_lo, 32, v19
	v_cndmask_b32_e32 v2, v2, v19, vcc_lo
	s_waitcnt lgkmcnt(0)
	v_add_f32_e32 v14, v14, v3
	ds_bpermute_b32 v3, v16, v4
	v_cmp_eq_u32_e32 vcc_lo, 7, v0
	v_lshlrev_b32_e32 v19, 2, v2
	v_add_f32_e32 v13, v15, v7
	v_add_f32_e32 v15, v18, v8
	ds_bpermute_b32 v7, v16, v5
	ds_bpermute_b32 v8, v16, v6
	;; [unrolled: 1-line block ×5, first 2 shown]
	s_waitcnt lgkmcnt(5)
	v_add_f32_e32 v2, v4, v3
	s_waitcnt lgkmcnt(4)
	v_add_f32_e32 v5, v5, v7
	;; [unrolled: 2-line block ×3, first 2 shown]
	ds_bpermute_b32 v6, v19, v2
	s_waitcnt lgkmcnt(1)
	v_dual_add_f32 v3, v15, v18 :: v_dual_add_f32 v4, v14, v16
	v_add_f32_e32 v8, v13, v17
	ds_bpermute_b32 v15, v19, v5
	ds_bpermute_b32 v16, v19, v7
	;; [unrolled: 1-line block ×5, first 2 shown]
	s_and_b32 exec_lo, exec_lo, vcc_lo
	s_cbranch_execz .LBB85_29
; %bb.25:
	s_load_b64 s[2:3], s[0:1], 0x38
	v_cmp_eq_f32_e32 vcc_lo, 0, v11
	v_cmp_eq_f32_e64 s0, 0, v12
	s_waitcnt lgkmcnt(0)
	v_add_f32_e32 v0, v2, v6
	v_dual_add_f32 v6, v5, v15 :: v_dual_add_f32 v3, v3, v13
	v_dual_add_f32 v2, v7, v16 :: v_dual_add_f32 v5, v8, v17
	v_add_f32_e32 v4, v4, v14
	s_and_b32 s0, vcc_lo, s0
	s_delay_alu instid0(SALU_CYCLE_1) | instskip(NEXT) | instid1(SALU_CYCLE_1)
	s_and_saveexec_b32 s1, s0
	s_xor_b32 s0, exec_lo, s1
	s_cbranch_execz .LBB85_27
; %bb.26:
	v_lshl_add_u32 v7, v1, 1, v1
	v_mul_f32_e64 v11, v6, -v10
	v_mul_f32_e32 v12, v6, v9
	v_mul_f32_e64 v13, v5, -v10
	v_mul_f32_e32 v14, v5, v9
	v_ashrrev_i32_e32 v8, 31, v7
	v_fmac_f32_e32 v11, v9, v0
	v_mul_f32_e64 v5, v4, -v10
	v_dual_mul_f32 v6, v4, v9 :: v_dual_fmac_f32 v13, v9, v2
	s_delay_alu instid0(VALU_DEP_4) | instskip(NEXT) | instid1(VALU_DEP_3)
	v_lshlrev_b64 v[7:8], 3, v[7:8]
	v_dual_fmac_f32 v12, v10, v0 :: v_dual_fmac_f32 v5, v9, v3
	v_fmac_f32_e32 v14, v10, v2
	s_delay_alu instid0(VALU_DEP_4) | instskip(NEXT) | instid1(VALU_DEP_4)
	v_fmac_f32_e32 v6, v10, v3
                                        ; implicit-def: $vgpr9
                                        ; implicit-def: $vgpr10
                                        ; implicit-def: $vgpr2
                                        ; implicit-def: $vgpr3
                                        ; implicit-def: $vgpr4
	v_add_co_u32 v0, vcc_lo, s2, v7
	v_add_co_ci_u32_e32 v1, vcc_lo, s3, v8, vcc_lo
	s_clause 0x1
	global_store_b128 v[0:1], v[11:14], off
	global_store_b64 v[0:1], v[5:6], off offset:16
                                        ; implicit-def: $vgpr11
                                        ; implicit-def: $vgpr12
                                        ; implicit-def: $vgpr1
                                        ; implicit-def: $vgpr0
                                        ; implicit-def: $vgpr6
                                        ; implicit-def: $vgpr5
.LBB85_27:
	s_and_not1_saveexec_b32 s0, s0
	s_cbranch_execz .LBB85_29
; %bb.28:
	v_lshl_add_u32 v7, v1, 1, v1
	v_mul_f32_e64 v21, v5, -v10
	v_mul_f32_e64 v22, v4, -v10
	s_delay_alu instid0(VALU_DEP_3) | instskip(NEXT) | instid1(VALU_DEP_1)
	v_ashrrev_i32_e32 v8, 31, v7
	v_lshlrev_b64 v[7:8], 3, v[7:8]
	s_delay_alu instid0(VALU_DEP_1) | instskip(NEXT) | instid1(VALU_DEP_2)
	v_add_co_u32 v17, vcc_lo, s2, v7
	v_add_co_ci_u32_e32 v18, vcc_lo, s3, v8, vcc_lo
	v_mul_f32_e64 v7, v6, -v10
	v_mul_f32_e32 v6, v6, v9
	s_clause 0x1
	global_load_b128 v[13:16], v[17:18], off
	global_load_b64 v[19:20], v[17:18], off offset:16
	v_fmac_f32_e32 v7, v9, v0
	v_dual_mul_f32 v1, v4, v9 :: v_dual_fmac_f32 v6, v10, v0
	v_mul_f32_e32 v8, v5, v9
	v_fmac_f32_e32 v21, v9, v2
	s_delay_alu instid0(VALU_DEP_3) | instskip(SKIP_1) | instid1(VALU_DEP_3)
	v_fmac_f32_e32 v1, v10, v3
	s_waitcnt vmcnt(1)
	v_dual_fmac_f32 v8, v10, v2 :: v_dual_fmac_f32 v7, v11, v13
	v_fmac_f32_e32 v6, v12, v13
	s_waitcnt vmcnt(0)
	v_fmac_f32_e32 v1, v12, v19
	v_fmac_f32_e32 v21, v11, v15
	;; [unrolled: 1-line block ×3, first 2 shown]
	v_fma_f32 v5, -v12, v14, v7
	v_fmac_f32_e32 v6, v11, v14
	v_dual_fmac_f32 v22, v9, v3 :: v_dual_fmac_f32 v1, v11, v20
	v_fma_f32 v7, -v12, v16, v21
	v_fmac_f32_e32 v8, v11, v16
	s_delay_alu instid0(VALU_DEP_3) | instskip(NEXT) | instid1(VALU_DEP_1)
	v_fmac_f32_e32 v22, v11, v19
	v_fma_f32 v0, -v12, v20, v22
	s_clause 0x1
	global_store_b128 v[17:18], v[5:8], off
	global_store_b64 v[17:18], v[0:1], off offset:16
.LBB85_29:
	s_nop 0
	s_sendmsg sendmsg(MSG_DEALLOC_VGPRS)
	s_endpgm
	.section	.rodata,"a",@progbits
	.p2align	6, 0x0
	.amdhsa_kernel _ZN9rocsparseL19gebsrmvn_3xn_kernelILj128ELj4ELj8E21rocsparse_complex_numIfEEEvi20rocsparse_direction_NS_24const_host_device_scalarIT2_EEPKiS8_PKS5_SA_S6_PS5_21rocsparse_index_base_b
		.amdhsa_group_segment_fixed_size 0
		.amdhsa_private_segment_fixed_size 0
		.amdhsa_kernarg_size 72
		.amdhsa_user_sgpr_count 15
		.amdhsa_user_sgpr_dispatch_ptr 0
		.amdhsa_user_sgpr_queue_ptr 0
		.amdhsa_user_sgpr_kernarg_segment_ptr 1
		.amdhsa_user_sgpr_dispatch_id 0
		.amdhsa_user_sgpr_private_segment_size 0
		.amdhsa_wavefront_size32 1
		.amdhsa_uses_dynamic_stack 0
		.amdhsa_enable_private_segment 0
		.amdhsa_system_sgpr_workgroup_id_x 1
		.amdhsa_system_sgpr_workgroup_id_y 0
		.amdhsa_system_sgpr_workgroup_id_z 0
		.amdhsa_system_sgpr_workgroup_info 0
		.amdhsa_system_vgpr_workitem_id 0
		.amdhsa_next_free_vgpr 50
		.amdhsa_next_free_sgpr 16
		.amdhsa_reserve_vcc 1
		.amdhsa_float_round_mode_32 0
		.amdhsa_float_round_mode_16_64 0
		.amdhsa_float_denorm_mode_32 3
		.amdhsa_float_denorm_mode_16_64 3
		.amdhsa_dx10_clamp 1
		.amdhsa_ieee_mode 1
		.amdhsa_fp16_overflow 0
		.amdhsa_workgroup_processor_mode 1
		.amdhsa_memory_ordered 1
		.amdhsa_forward_progress 0
		.amdhsa_shared_vgpr_count 0
		.amdhsa_exception_fp_ieee_invalid_op 0
		.amdhsa_exception_fp_denorm_src 0
		.amdhsa_exception_fp_ieee_div_zero 0
		.amdhsa_exception_fp_ieee_overflow 0
		.amdhsa_exception_fp_ieee_underflow 0
		.amdhsa_exception_fp_ieee_inexact 0
		.amdhsa_exception_int_div_zero 0
	.end_amdhsa_kernel
	.section	.text._ZN9rocsparseL19gebsrmvn_3xn_kernelILj128ELj4ELj8E21rocsparse_complex_numIfEEEvi20rocsparse_direction_NS_24const_host_device_scalarIT2_EEPKiS8_PKS5_SA_S6_PS5_21rocsparse_index_base_b,"axG",@progbits,_ZN9rocsparseL19gebsrmvn_3xn_kernelILj128ELj4ELj8E21rocsparse_complex_numIfEEEvi20rocsparse_direction_NS_24const_host_device_scalarIT2_EEPKiS8_PKS5_SA_S6_PS5_21rocsparse_index_base_b,comdat
.Lfunc_end85:
	.size	_ZN9rocsparseL19gebsrmvn_3xn_kernelILj128ELj4ELj8E21rocsparse_complex_numIfEEEvi20rocsparse_direction_NS_24const_host_device_scalarIT2_EEPKiS8_PKS5_SA_S6_PS5_21rocsparse_index_base_b, .Lfunc_end85-_ZN9rocsparseL19gebsrmvn_3xn_kernelILj128ELj4ELj8E21rocsparse_complex_numIfEEEvi20rocsparse_direction_NS_24const_host_device_scalarIT2_EEPKiS8_PKS5_SA_S6_PS5_21rocsparse_index_base_b
                                        ; -- End function
	.section	.AMDGPU.csdata,"",@progbits
; Kernel info:
; codeLenInByte = 2892
; NumSgprs: 18
; NumVgprs: 50
; ScratchSize: 0
; MemoryBound: 0
; FloatMode: 240
; IeeeMode: 1
; LDSByteSize: 0 bytes/workgroup (compile time only)
; SGPRBlocks: 2
; VGPRBlocks: 6
; NumSGPRsForWavesPerEU: 18
; NumVGPRsForWavesPerEU: 50
; Occupancy: 16
; WaveLimiterHint : 1
; COMPUTE_PGM_RSRC2:SCRATCH_EN: 0
; COMPUTE_PGM_RSRC2:USER_SGPR: 15
; COMPUTE_PGM_RSRC2:TRAP_HANDLER: 0
; COMPUTE_PGM_RSRC2:TGID_X_EN: 1
; COMPUTE_PGM_RSRC2:TGID_Y_EN: 0
; COMPUTE_PGM_RSRC2:TGID_Z_EN: 0
; COMPUTE_PGM_RSRC2:TIDIG_COMP_CNT: 0
	.section	.text._ZN9rocsparseL19gebsrmvn_3xn_kernelILj128ELj4ELj16E21rocsparse_complex_numIfEEEvi20rocsparse_direction_NS_24const_host_device_scalarIT2_EEPKiS8_PKS5_SA_S6_PS5_21rocsparse_index_base_b,"axG",@progbits,_ZN9rocsparseL19gebsrmvn_3xn_kernelILj128ELj4ELj16E21rocsparse_complex_numIfEEEvi20rocsparse_direction_NS_24const_host_device_scalarIT2_EEPKiS8_PKS5_SA_S6_PS5_21rocsparse_index_base_b,comdat
	.globl	_ZN9rocsparseL19gebsrmvn_3xn_kernelILj128ELj4ELj16E21rocsparse_complex_numIfEEEvi20rocsparse_direction_NS_24const_host_device_scalarIT2_EEPKiS8_PKS5_SA_S6_PS5_21rocsparse_index_base_b ; -- Begin function _ZN9rocsparseL19gebsrmvn_3xn_kernelILj128ELj4ELj16E21rocsparse_complex_numIfEEEvi20rocsparse_direction_NS_24const_host_device_scalarIT2_EEPKiS8_PKS5_SA_S6_PS5_21rocsparse_index_base_b
	.p2align	8
	.type	_ZN9rocsparseL19gebsrmvn_3xn_kernelILj128ELj4ELj16E21rocsparse_complex_numIfEEEvi20rocsparse_direction_NS_24const_host_device_scalarIT2_EEPKiS8_PKS5_SA_S6_PS5_21rocsparse_index_base_b,@function
_ZN9rocsparseL19gebsrmvn_3xn_kernelILj128ELj4ELj16E21rocsparse_complex_numIfEEEvi20rocsparse_direction_NS_24const_host_device_scalarIT2_EEPKiS8_PKS5_SA_S6_PS5_21rocsparse_index_base_b: ; @_ZN9rocsparseL19gebsrmvn_3xn_kernelILj128ELj4ELj16E21rocsparse_complex_numIfEEEvi20rocsparse_direction_NS_24const_host_device_scalarIT2_EEPKiS8_PKS5_SA_S6_PS5_21rocsparse_index_base_b
; %bb.0:
	s_clause 0x2
	s_load_b64 s[12:13], s[0:1], 0x40
	s_load_b64 s[4:5], s[0:1], 0x8
	;; [unrolled: 1-line block ×3, first 2 shown]
	s_waitcnt lgkmcnt(0)
	s_bitcmp1_b32 s13, 0
	v_mov_b32_e32 v9, s4
	s_cselect_b32 s6, -1, 0
	s_delay_alu instid0(SALU_CYCLE_1)
	s_and_b32 vcc_lo, exec_lo, s6
	s_xor_b32 s6, s6, -1
	s_cbranch_vccz .LBB86_15
; %bb.1:
	v_cndmask_b32_e64 v1, 0, 1, s6
	v_mov_b32_e32 v10, s5
	s_and_not1_b32 vcc_lo, exec_lo, s6
	s_cbranch_vccz .LBB86_16
.LBB86_2:
	s_delay_alu instid0(VALU_DEP_2)
	v_cmp_ne_u32_e32 vcc_lo, 1, v1
	v_mov_b32_e32 v11, s2
	s_cbranch_vccz .LBB86_17
.LBB86_3:
	v_cmp_ne_u32_e32 vcc_lo, 1, v1
	v_mov_b32_e32 v12, s3
	s_cbranch_vccnz .LBB86_5
.LBB86_4:
	v_dual_mov_b32 v1, s2 :: v_dual_mov_b32 v2, s3
	flat_load_b32 v12, v[1:2] offset:4
.LBB86_5:
	s_waitcnt vmcnt(0) lgkmcnt(0)
	v_cmp_eq_f32_e32 vcc_lo, 0, v9
	v_cmp_eq_f32_e64 s2, 0, v10
	s_delay_alu instid0(VALU_DEP_1)
	s_and_b32 s4, vcc_lo, s2
	s_mov_b32 s2, -1
	s_and_saveexec_b32 s3, s4
; %bb.6:
	v_cmp_neq_f32_e32 vcc_lo, 1.0, v11
	v_cmp_neq_f32_e64 s2, 0, v12
	s_delay_alu instid0(VALU_DEP_1) | instskip(NEXT) | instid1(SALU_CYCLE_1)
	s_or_b32 s2, vcc_lo, s2
	s_or_not1_b32 s2, s2, exec_lo
; %bb.7:
	s_or_b32 exec_lo, exec_lo, s3
	s_and_saveexec_b32 s3, s2
	s_cbranch_execz .LBB86_29
; %bb.8:
	s_load_b64 s[2:3], s[0:1], 0x0
	v_lshrrev_b32_e32 v1, 4, v0
	s_delay_alu instid0(VALU_DEP_1) | instskip(SKIP_1) | instid1(VALU_DEP_1)
	v_lshl_or_b32 v1, s15, 3, v1
	s_waitcnt lgkmcnt(0)
	v_cmp_gt_i32_e32 vcc_lo, s2, v1
	s_and_b32 exec_lo, exec_lo, vcc_lo
	s_cbranch_execz .LBB86_29
; %bb.9:
	s_load_b256 s[4:11], s[0:1], 0x10
	v_ashrrev_i32_e32 v2, 31, v1
	v_and_b32_e32 v0, 15, v0
	s_cmp_lg_u32 s3, 0
	s_delay_alu instid0(VALU_DEP_2) | instskip(SKIP_1) | instid1(VALU_DEP_1)
	v_lshlrev_b64 v[2:3], 2, v[1:2]
	s_waitcnt lgkmcnt(0)
	v_add_co_u32 v2, vcc_lo, s4, v2
	s_delay_alu instid0(VALU_DEP_2) | instskip(SKIP_4) | instid1(VALU_DEP_2)
	v_add_co_ci_u32_e32 v3, vcc_lo, s5, v3, vcc_lo
	global_load_b64 v[2:3], v[2:3], off
	s_waitcnt vmcnt(0)
	v_subrev_nc_u32_e32 v2, s12, v2
	v_subrev_nc_u32_e32 v16, s12, v3
	v_add_nc_u32_e32 v2, v2, v0
	s_delay_alu instid0(VALU_DEP_1)
	v_cmp_lt_i32_e64 s2, v2, v16
	s_cbranch_scc0 .LBB86_18
; %bb.10:
	v_dual_mov_b32 v13, 0 :: v_dual_mov_b32 v18, 0
	v_dual_mov_b32 v17, 0 :: v_dual_mov_b32 v14, 0
	v_mov_b32_e32 v19, 0
	v_mov_b32_e32 v15, 0
	s_mov_b32 s4, 0
	s_and_saveexec_b32 s5, s2
	s_cbranch_execz .LBB86_14
; %bb.11:
	v_mad_u64_u32 v[3:4], null, v2, 12, 11
	v_dual_mov_b32 v6, 0 :: v_dual_mov_b32 v7, v2
	v_dual_mov_b32 v13, 0 :: v_dual_mov_b32 v18, 0
	;; [unrolled: 1-line block ×3, first 2 shown]
	v_mov_b32_e32 v19, 0
	v_mov_b32_e32 v15, 0
	s_mov_b32 s13, 0
.LBB86_12:                              ; =>This Inner Loop Header: Depth=1
	v_ashrrev_i32_e32 v8, 31, v7
	s_delay_alu instid0(VALU_DEP_1) | instskip(NEXT) | instid1(VALU_DEP_1)
	v_lshlrev_b64 v[4:5], 2, v[7:8]
	v_add_co_u32 v4, vcc_lo, s6, v4
	s_delay_alu instid0(VALU_DEP_2) | instskip(SKIP_2) | instid1(VALU_DEP_1)
	v_add_co_ci_u32_e32 v5, vcc_lo, s7, v5, vcc_lo
	global_load_b32 v8, v[4:5], off
	v_dual_mov_b32 v4, v6 :: v_dual_add_nc_u32 v5, -11, v3
	v_lshlrev_b64 v[20:21], 3, v[5:6]
	v_add_nc_u32_e32 v5, -7, v3
	s_delay_alu instid0(VALU_DEP_3) | instskip(NEXT) | instid1(VALU_DEP_2)
	v_lshlrev_b64 v[22:23], 3, v[3:4]
	v_lshlrev_b64 v[24:25], 3, v[5:6]
	s_delay_alu instid0(VALU_DEP_4) | instskip(SKIP_1) | instid1(VALU_DEP_4)
	v_add_co_u32 v26, vcc_lo, s8, v20
	v_add_co_ci_u32_e32 v27, vcc_lo, s9, v21, vcc_lo
	v_add_co_u32 v36, vcc_lo, s8, v22
	v_add_co_ci_u32_e32 v37, vcc_lo, s9, v23, vcc_lo
	v_add_co_u32 v32, vcc_lo, s8, v24
	v_add_co_ci_u32_e32 v33, vcc_lo, s9, v25, vcc_lo
	s_clause 0x1
	global_load_b128 v[20:23], v[26:27], off offset:16
	global_load_b128 v[24:27], v[26:27], off
	v_add_nc_u32_e32 v5, -6, v3
	global_load_b64 v[38:39], v[32:33], off
	v_lshlrev_b64 v[30:31], 3, v[5:6]
	v_add_nc_u32_e32 v5, -5, v3
	s_delay_alu instid0(VALU_DEP_2) | instskip(NEXT) | instid1(VALU_DEP_2)
	v_add_co_u32 v30, vcc_lo, s8, v30
	v_lshlrev_b64 v[34:35], 3, v[5:6]
	s_delay_alu instid0(VALU_DEP_4)
	v_add_co_ci_u32_e32 v31, vcc_lo, s9, v31, vcc_lo
	global_load_b64 v[42:43], v[30:31], off
	v_add_co_u32 v32, vcc_lo, s8, v34
	v_add_co_ci_u32_e32 v33, vcc_lo, s9, v35, vcc_lo
	global_load_b64 v[46:47], v[32:33], off
	s_waitcnt vmcnt(5)
	v_subrev_nc_u32_e32 v4, s12, v8
	s_delay_alu instid0(VALU_DEP_1) | instskip(NEXT) | instid1(VALU_DEP_1)
	v_dual_mov_b32 v29, v6 :: v_dual_lshlrev_b32 v28, 2, v4
	v_lshlrev_b64 v[28:29], 3, v[28:29]
	s_delay_alu instid0(VALU_DEP_1) | instskip(NEXT) | instid1(VALU_DEP_1)
	v_add_co_u32 v32, s3, s10, v28
	v_add_co_ci_u32_e64 v33, s3, s11, v29, s3
	s_clause 0x1
	global_load_b128 v[28:31], v[32:33], off
	global_load_b128 v[32:35], v[32:33], off offset:16
	s_waitcnt vmcnt(1)
	v_fmac_f32_e32 v17, v24, v28
	v_fmac_f32_e32 v18, v20, v28
	v_fmac_f32_e32 v14, v21, v28
	s_delay_alu instid0(VALU_DEP_3) | instskip(SKIP_1) | instid1(VALU_DEP_4)
	v_fma_f32 v8, -v25, v29, v17
	v_add_nc_u32_e32 v5, -4, v3
	v_fma_f32 v18, -v21, v29, v18
	s_delay_alu instid0(VALU_DEP_4) | instskip(NEXT) | instid1(VALU_DEP_4)
	v_fmac_f32_e32 v14, v20, v29
	v_fmac_f32_e32 v8, v22, v30
	s_delay_alu instid0(VALU_DEP_4) | instskip(NEXT) | instid1(VALU_DEP_4)
	v_lshlrev_b64 v[40:41], 3, v[5:6]
	v_dual_fmac_f32 v18, v42, v30 :: v_dual_add_nc_u32 v5, -3, v3
	s_delay_alu instid0(VALU_DEP_4) | instskip(NEXT) | instid1(VALU_DEP_4)
	v_fmac_f32_e32 v14, v43, v30
	v_fma_f32 v8, -v23, v31, v8
	s_delay_alu instid0(VALU_DEP_3) | instskip(SKIP_3) | instid1(VALU_DEP_3)
	v_lshlrev_b64 v[44:45], 3, v[5:6]
	v_add_nc_u32_e32 v5, -2, v3
	v_add_co_u32 v40, vcc_lo, s8, v40
	v_add_co_ci_u32_e32 v41, vcc_lo, s9, v41, vcc_lo
	v_lshlrev_b64 v[48:49], 3, v[5:6]
	s_waitcnt vmcnt(0)
	v_dual_fmac_f32 v8, v46, v32 :: v_dual_add_nc_u32 v5, -1, v3
	v_add_co_u32 v44, vcc_lo, s8, v44
	v_add_co_ci_u32_e32 v45, vcc_lo, s9, v45, vcc_lo
	s_delay_alu instid0(VALU_DEP_3)
	v_lshlrev_b64 v[4:5], 3, v[5:6]
	global_load_b64 v[40:41], v[40:41], off
	v_add_co_u32 v48, vcc_lo, s8, v48
	global_load_b64 v[44:45], v[44:45], off
	v_add_co_ci_u32_e32 v49, vcc_lo, s9, v49, vcc_lo
	v_add_co_u32 v4, vcc_lo, s8, v4
	v_add_co_ci_u32_e32 v5, vcc_lo, s9, v5, vcc_lo
	s_clause 0x2
	global_load_b64 v[48:49], v[48:49], off
	global_load_b64 v[4:5], v[4:5], off
	;; [unrolled: 1-line block ×3, first 2 shown]
	v_fma_f32 v18, -v43, v31, v18
	v_fmac_f32_e32 v14, v42, v31
	v_add_nc_u32_e32 v7, 16, v7
	v_add_nc_u32_e32 v3, 0xc0, v3
	v_fma_f32 v8, -v47, v33, v8
	v_fmac_f32_e32 v19, v26, v28
	s_waitcnt vmcnt(3)
	v_fmac_f32_e32 v18, v44, v32
	v_fmac_f32_e32 v14, v45, v32
	v_fmac_f32_e32 v13, v25, v28
	v_cmp_ge_i32_e32 vcc_lo, v7, v16
	s_delay_alu instid0(VALU_DEP_4) | instskip(NEXT) | instid1(VALU_DEP_4)
	v_fma_f32 v18, -v45, v33, v18
	v_dual_fmac_f32 v14, v44, v33 :: v_dual_fmac_f32 v15, v27, v28
	s_delay_alu instid0(VALU_DEP_4)
	v_fmac_f32_e32 v13, v24, v29
	s_waitcnt vmcnt(2)
	v_fmac_f32_e32 v8, v48, v34
	v_fma_f32 v17, -v27, v29, v19
	s_waitcnt vmcnt(0)
	v_fmac_f32_e32 v14, v37, v34
	v_dual_fmac_f32 v18, v36, v34 :: v_dual_fmac_f32 v15, v26, v29
	v_fmac_f32_e32 v13, v23, v30
	s_delay_alu instid0(VALU_DEP_3) | instskip(NEXT) | instid1(VALU_DEP_3)
	v_dual_fmac_f32 v17, v38, v30 :: v_dual_fmac_f32 v14, v36, v35
	v_fma_f32 v18, -v37, v35, v18
	s_delay_alu instid0(VALU_DEP_4) | instskip(NEXT) | instid1(VALU_DEP_4)
	v_fmac_f32_e32 v15, v39, v30
	v_fmac_f32_e32 v13, v22, v31
	s_delay_alu instid0(VALU_DEP_4) | instskip(SKIP_1) | instid1(VALU_DEP_3)
	v_fma_f32 v17, -v39, v31, v17
	s_or_b32 s13, vcc_lo, s13
	v_fmac_f32_e32 v15, v38, v31
	s_delay_alu instid0(VALU_DEP_3) | instskip(NEXT) | instid1(VALU_DEP_3)
	v_fmac_f32_e32 v13, v47, v32
	v_fmac_f32_e32 v17, v40, v32
	s_delay_alu instid0(VALU_DEP_3) | instskip(NEXT) | instid1(VALU_DEP_3)
	v_fmac_f32_e32 v15, v41, v32
	v_fmac_f32_e32 v13, v46, v33
	s_delay_alu instid0(VALU_DEP_3) | instskip(SKIP_1) | instid1(VALU_DEP_4)
	v_fma_f32 v19, -v41, v33, v17
	v_fma_f32 v17, -v49, v35, v8
	v_fmac_f32_e32 v15, v40, v33
	s_delay_alu instid0(VALU_DEP_4) | instskip(NEXT) | instid1(VALU_DEP_4)
	v_fmac_f32_e32 v13, v49, v34
	v_fmac_f32_e32 v19, v4, v34
	s_delay_alu instid0(VALU_DEP_3) | instskip(NEXT) | instid1(VALU_DEP_3)
	v_fmac_f32_e32 v15, v5, v34
	v_fmac_f32_e32 v13, v48, v35
	s_delay_alu instid0(VALU_DEP_3) | instskip(NEXT) | instid1(VALU_DEP_3)
	v_fma_f32 v19, -v5, v35, v19
	v_fmac_f32_e32 v15, v4, v35
	s_and_not1_b32 exec_lo, exec_lo, s13
	s_cbranch_execnz .LBB86_12
; %bb.13:
	s_or_b32 exec_lo, exec_lo, s13
.LBB86_14:
	s_delay_alu instid0(SALU_CYCLE_1) | instskip(NEXT) | instid1(SALU_CYCLE_1)
	s_or_b32 exec_lo, exec_lo, s5
	s_and_not1_b32 vcc_lo, exec_lo, s4
	s_cbranch_vccz .LBB86_19
	s_branch .LBB86_24
.LBB86_15:
	v_dual_mov_b32 v1, s4 :: v_dual_mov_b32 v2, s5
	flat_load_b32 v9, v[1:2]
	v_cndmask_b32_e64 v1, 0, 1, s6
	v_mov_b32_e32 v10, s5
	s_and_not1_b32 vcc_lo, exec_lo, s6
	s_cbranch_vccnz .LBB86_2
.LBB86_16:
	v_dual_mov_b32 v2, s4 :: v_dual_mov_b32 v3, s5
	flat_load_b32 v10, v[2:3] offset:4
	v_cmp_ne_u32_e32 vcc_lo, 1, v1
	v_mov_b32_e32 v11, s2
	s_cbranch_vccnz .LBB86_3
.LBB86_17:
	v_dual_mov_b32 v2, s2 :: v_dual_mov_b32 v3, s3
	flat_load_b32 v11, v[2:3]
	v_cmp_ne_u32_e32 vcc_lo, 1, v1
	v_mov_b32_e32 v12, s3
	s_cbranch_vccz .LBB86_4
	s_branch .LBB86_5
.LBB86_18:
                                        ; implicit-def: $vgpr13
                                        ; implicit-def: $vgpr17
                                        ; implicit-def: $vgpr18
                                        ; implicit-def: $vgpr14
                                        ; implicit-def: $vgpr19
                                        ; implicit-def: $vgpr15
.LBB86_19:
	v_dual_mov_b32 v13, 0 :: v_dual_mov_b32 v18, 0
	v_dual_mov_b32 v17, 0 :: v_dual_mov_b32 v14, 0
	v_mov_b32_e32 v19, 0
	v_mov_b32_e32 v15, 0
	s_and_saveexec_b32 s3, s2
	s_cbranch_execz .LBB86_23
; %bb.20:
	v_mad_u64_u32 v[4:5], null, v2, 12, 11
	v_dual_mov_b32 v7, 0 :: v_dual_mov_b32 v18, 0
	v_dual_mov_b32 v13, 0 :: v_dual_mov_b32 v14, 0
	v_mov_b32_e32 v17, 0
	v_mov_b32_e32 v19, 0
	;; [unrolled: 1-line block ×3, first 2 shown]
	s_mov_b32 s2, 0
.LBB86_21:                              ; =>This Inner Loop Header: Depth=1
	v_ashrrev_i32_e32 v3, 31, v2
	v_dual_mov_b32 v21, v7 :: v_dual_add_nc_u32 v20, -7, v4
	v_dual_mov_b32 v23, v7 :: v_dual_add_nc_u32 v22, -3, v4
	s_delay_alu instid0(VALU_DEP_3) | instskip(SKIP_1) | instid1(VALU_DEP_4)
	v_lshlrev_b64 v[5:6], 2, v[2:3]
	v_mov_b32_e32 v29, v7
	v_lshlrev_b64 v[20:21], 3, v[20:21]
	s_delay_alu instid0(VALU_DEP_4) | instskip(NEXT) | instid1(VALU_DEP_4)
	v_lshlrev_b64 v[22:23], 3, v[22:23]
	v_add_co_u32 v5, vcc_lo, s6, v5
	v_add_co_ci_u32_e32 v6, vcc_lo, s7, v6, vcc_lo
	global_load_b32 v3, v[5:6], off
	v_dual_mov_b32 v5, v7 :: v_dual_add_nc_u32 v6, -11, v4
	s_delay_alu instid0(VALU_DEP_1) | instskip(SKIP_1) | instid1(VALU_DEP_3)
	v_lshlrev_b64 v[24:25], 3, v[6:7]
	v_add_nc_u32_e32 v6, -6, v4
	v_lshlrev_b64 v[26:27], 3, v[4:5]
	s_delay_alu instid0(VALU_DEP_2) | instskip(NEXT) | instid1(VALU_DEP_4)
	v_lshlrev_b64 v[30:31], 3, v[6:7]
	v_add_co_u32 v24, vcc_lo, s8, v24
	v_add_co_ci_u32_e32 v25, vcc_lo, s9, v25, vcc_lo
	v_add_co_u32 v32, vcc_lo, s8, v20
	v_add_co_ci_u32_e32 v33, vcc_lo, s9, v21, vcc_lo
	v_add_co_u32 v34, vcc_lo, s8, v22
	v_add_co_ci_u32_e32 v35, vcc_lo, s9, v23, vcc_lo
	v_add_co_u32 v36, vcc_lo, s8, v26
	v_add_co_ci_u32_e32 v37, vcc_lo, s9, v27, vcc_lo
	s_clause 0x1
	global_load_b128 v[20:23], v[24:25], off offset:16
	global_load_b128 v[24:27], v[24:25], off
	v_add_nc_u32_e32 v6, -2, v4
	s_clause 0x1
	global_load_b64 v[40:41], v[32:33], off
	global_load_b64 v[42:43], v[34:35], off
	v_add_co_u32 v30, vcc_lo, s8, v30
	v_add_co_ci_u32_e32 v31, vcc_lo, s9, v31, vcc_lo
	v_lshlrev_b64 v[38:39], 3, v[6:7]
	v_add_nc_u32_e32 v6, -5, v4
	global_load_b64 v[46:47], v[30:31], off
	v_lshlrev_b64 v[44:45], 3, v[6:7]
	v_add_nc_u32_e32 v6, -1, v4
	v_add_co_u32 v38, vcc_lo, s8, v38
	v_add_co_ci_u32_e32 v39, vcc_lo, s9, v39, vcc_lo
	s_delay_alu instid0(VALU_DEP_3) | instskip(SKIP_2) | instid1(VALU_DEP_1)
	v_lshlrev_b64 v[48:49], 3, v[6:7]
	s_waitcnt vmcnt(5)
	v_subrev_nc_u32_e32 v3, s12, v3
	v_lshlrev_b32_e32 v28, 2, v3
	s_delay_alu instid0(VALU_DEP_1) | instskip(NEXT) | instid1(VALU_DEP_1)
	v_lshlrev_b64 v[5:6], 3, v[28:29]
	v_add_co_u32 v5, vcc_lo, s10, v5
	s_delay_alu instid0(VALU_DEP_2)
	v_add_co_ci_u32_e32 v6, vcc_lo, s11, v6, vcc_lo
	v_add_co_u32 v44, vcc_lo, s8, v44
	v_add_co_ci_u32_e32 v45, vcc_lo, s9, v45, vcc_lo
	s_clause 0x1
	global_load_b128 v[28:31], v[5:6], off
	global_load_b128 v[32:35], v[5:6], off offset:16
	global_load_b64 v[38:39], v[38:39], off
	v_add_co_u32 v48, vcc_lo, s8, v48
	v_add_co_ci_u32_e32 v49, vcc_lo, s9, v49, vcc_lo
	s_clause 0x1
	global_load_b64 v[44:45], v[44:45], off
	global_load_b64 v[48:49], v[48:49], off
	s_waitcnt vmcnt(4)
	v_dual_fmac_f32 v17, v24, v28 :: v_dual_add_nc_u32 v2, 16, v2
	v_fmac_f32_e32 v14, v43, v28
	v_fmac_f32_e32 v13, v25, v28
	;; [unrolled: 1-line block ×3, first 2 shown]
	s_delay_alu instid0(VALU_DEP_4) | instskip(NEXT) | instid1(VALU_DEP_4)
	v_fma_f32 v3, -v25, v29, v17
	v_dual_fmac_f32 v14, v42, v29 :: v_dual_fmac_f32 v15, v41, v28
	s_delay_alu instid0(VALU_DEP_4) | instskip(NEXT) | instid1(VALU_DEP_4)
	v_fmac_f32_e32 v13, v24, v29
	v_fma_f32 v8, -v41, v29, v19
	s_delay_alu instid0(VALU_DEP_4) | instskip(SKIP_3) | instid1(VALU_DEP_3)
	v_fmac_f32_e32 v3, v26, v30
	s_waitcnt vmcnt(2)
	v_dual_fmac_f32 v14, v39, v30 :: v_dual_fmac_f32 v15, v40, v29
	v_dual_fmac_f32 v13, v27, v30 :: v_dual_add_nc_u32 v6, -4, v4
	v_fma_f32 v3, -v27, v31, v3
	s_delay_alu instid0(VALU_DEP_3) | instskip(NEXT) | instid1(VALU_DEP_3)
	v_dual_fmac_f32 v14, v38, v31 :: v_dual_fmac_f32 v15, v47, v30
	v_lshlrev_b64 v[5:6], 3, v[6:7]
	s_delay_alu instid0(VALU_DEP_4) | instskip(NEXT) | instid1(VALU_DEP_4)
	v_fmac_f32_e32 v13, v26, v31
	v_fmac_f32_e32 v3, v20, v32
	s_waitcnt vmcnt(0)
	v_fmac_f32_e32 v14, v49, v32
	v_fmac_f32_e32 v8, v46, v30
	v_add_co_u32 v5, vcc_lo, s8, v5
	v_add_co_ci_u32_e32 v6, vcc_lo, s9, v6, vcc_lo
	s_clause 0x1
	global_load_b64 v[5:6], v[5:6], off
	global_load_b64 v[36:37], v[36:37], off
	v_dual_fmac_f32 v13, v21, v32 :: v_dual_fmac_f32 v14, v48, v33
	v_fmac_f32_e32 v18, v42, v28
	v_fma_f32 v8, -v47, v31, v8
	v_fmac_f32_e32 v15, v46, v31
	s_delay_alu instid0(VALU_DEP_4) | instskip(SKIP_3) | instid1(VALU_DEP_4)
	v_fmac_f32_e32 v13, v20, v33
	v_fma_f32 v3, -v21, v33, v3
	v_fma_f32 v17, -v43, v29, v18
	v_fmac_f32_e32 v8, v44, v32
	v_dual_fmac_f32 v13, v23, v34 :: v_dual_add_nc_u32 v4, 0xc0, v4
	v_cmp_ge_i32_e32 vcc_lo, v2, v16
	s_delay_alu instid0(VALU_DEP_4) | instskip(NEXT) | instid1(VALU_DEP_4)
	v_fmac_f32_e32 v17, v38, v30
	v_fma_f32 v8, -v45, v33, v8
	s_delay_alu instid0(VALU_DEP_4) | instskip(SKIP_1) | instid1(VALU_DEP_3)
	v_fmac_f32_e32 v13, v22, v35
	s_or_b32 s2, vcc_lo, s2
	v_fma_f32 v17, -v39, v31, v17
	s_waitcnt vmcnt(1)
	s_delay_alu instid0(VALU_DEP_1) | instskip(NEXT) | instid1(VALU_DEP_1)
	v_dual_fmac_f32 v17, v48, v32 :: v_dual_fmac_f32 v8, v5, v34
	v_fma_f32 v18, -v49, v33, v17
	v_fmac_f32_e32 v15, v45, v32
	s_waitcnt vmcnt(0)
	v_fmac_f32_e32 v14, v37, v34
	v_fmac_f32_e32 v3, v22, v34
	v_fma_f32 v19, -v6, v35, v8
	v_fmac_f32_e32 v18, v36, v34
	v_fmac_f32_e32 v15, v44, v33
	;; [unrolled: 1-line block ×3, first 2 shown]
	v_fma_f32 v17, -v23, v35, v3
	s_delay_alu instid0(VALU_DEP_4) | instskip(NEXT) | instid1(VALU_DEP_4)
	v_fma_f32 v18, -v37, v35, v18
	v_fmac_f32_e32 v15, v6, v34
	s_delay_alu instid0(VALU_DEP_1)
	v_fmac_f32_e32 v15, v5, v35
	s_and_not1_b32 exec_lo, exec_lo, s2
	s_cbranch_execnz .LBB86_21
; %bb.22:
	s_or_b32 exec_lo, exec_lo, s2
.LBB86_23:
	s_delay_alu instid0(SALU_CYCLE_1)
	s_or_b32 exec_lo, exec_lo, s3
.LBB86_24:
	v_mbcnt_lo_u32_b32 v2, -1, 0
	s_delay_alu instid0(VALU_DEP_1) | instskip(SKIP_1) | instid1(VALU_DEP_2)
	v_xor_b32_e32 v3, 8, v2
	v_xor_b32_e32 v16, 4, v2
	v_cmp_gt_i32_e32 vcc_lo, 32, v3
	v_cndmask_b32_e32 v3, v2, v3, vcc_lo
	s_delay_alu instid0(VALU_DEP_3) | instskip(SKIP_1) | instid1(VALU_DEP_1)
	v_cmp_gt_i32_e32 vcc_lo, 32, v16
	v_cndmask_b32_e32 v16, v2, v16, vcc_lo
	v_lshlrev_b32_e32 v16, 2, v16
	s_delay_alu instid0(VALU_DEP_4)
	v_lshlrev_b32_e32 v3, 2, v3
	ds_bpermute_b32 v4, v3, v17
	s_waitcnt lgkmcnt(0)
	v_add_f32_e32 v4, v17, v4
	ds_bpermute_b32 v5, v3, v13
	ds_bpermute_b32 v6, v3, v19
	;; [unrolled: 1-line block ×5, first 2 shown]
	s_waitcnt lgkmcnt(3)
	v_dual_add_f32 v5, v13, v5 :: v_dual_add_f32 v6, v19, v6
	s_waitcnt lgkmcnt(1)
	v_dual_add_f32 v7, v15, v7 :: v_dual_add_f32 v8, v18, v8
	s_waitcnt lgkmcnt(0)
	v_add_f32_e32 v3, v14, v3
	ds_bpermute_b32 v13, v16, v4
	ds_bpermute_b32 v14, v16, v5
	;; [unrolled: 1-line block ×6, first 2 shown]
	v_xor_b32_e32 v19, 2, v2
	s_delay_alu instid0(VALU_DEP_1) | instskip(SKIP_2) | instid1(VALU_DEP_1)
	v_cmp_gt_i32_e32 vcc_lo, 32, v19
	s_waitcnt lgkmcnt(5)
	v_dual_cndmask_b32 v19, v2, v19 :: v_dual_add_f32 v4, v4, v13
	v_lshlrev_b32_e32 v19, 2, v19
	s_waitcnt lgkmcnt(3)
	v_dual_add_f32 v5, v5, v14 :: v_dual_add_f32 v6, v6, v15
	s_waitcnt lgkmcnt(1)
	v_dual_add_f32 v13, v7, v17 :: v_dual_add_f32 v14, v8, v18
	s_waitcnt lgkmcnt(0)
	v_add_f32_e32 v15, v3, v16
	ds_bpermute_b32 v3, v19, v4
	ds_bpermute_b32 v7, v19, v5
	;; [unrolled: 1-line block ×6, first 2 shown]
	v_xor_b32_e32 v19, 1, v2
	s_delay_alu instid0(VALU_DEP_1) | instskip(SKIP_3) | instid1(VALU_DEP_2)
	v_cmp_gt_i32_e32 vcc_lo, 32, v19
	v_cndmask_b32_e32 v2, v2, v19, vcc_lo
	v_cmp_eq_u32_e32 vcc_lo, 15, v0
	s_waitcnt lgkmcnt(5)
	v_dual_add_f32 v2, v4, v3 :: v_dual_lshlrev_b32 v19, 2, v2
	s_waitcnt lgkmcnt(4)
	v_add_f32_e32 v5, v5, v7
	s_waitcnt lgkmcnt(0)
	v_dual_add_f32 v7, v6, v8 :: v_dual_add_f32 v4, v15, v18
	v_dual_add_f32 v8, v13, v16 :: v_dual_add_f32 v3, v14, v17
	ds_bpermute_b32 v6, v19, v2
	ds_bpermute_b32 v15, v19, v5
	;; [unrolled: 1-line block ×6, first 2 shown]
	s_and_b32 exec_lo, exec_lo, vcc_lo
	s_cbranch_execz .LBB86_29
; %bb.25:
	s_load_b64 s[2:3], s[0:1], 0x38
	v_cmp_eq_f32_e32 vcc_lo, 0, v11
	v_cmp_eq_f32_e64 s0, 0, v12
	s_waitcnt lgkmcnt(0)
	v_add_f32_e32 v0, v2, v6
	v_dual_add_f32 v6, v5, v15 :: v_dual_add_f32 v3, v3, v13
	v_dual_add_f32 v2, v7, v16 :: v_dual_add_f32 v5, v8, v17
	v_add_f32_e32 v4, v4, v14
	s_and_b32 s0, vcc_lo, s0
	s_delay_alu instid0(SALU_CYCLE_1) | instskip(NEXT) | instid1(SALU_CYCLE_1)
	s_and_saveexec_b32 s1, s0
	s_xor_b32 s0, exec_lo, s1
	s_cbranch_execz .LBB86_27
; %bb.26:
	v_lshl_add_u32 v7, v1, 1, v1
	v_mul_f32_e64 v11, v6, -v10
	v_mul_f32_e32 v12, v6, v9
	v_mul_f32_e64 v13, v5, -v10
	v_mul_f32_e32 v14, v5, v9
	v_ashrrev_i32_e32 v8, 31, v7
	v_fmac_f32_e32 v11, v9, v0
	v_mul_f32_e64 v5, v4, -v10
	v_dual_mul_f32 v6, v4, v9 :: v_dual_fmac_f32 v13, v9, v2
	s_delay_alu instid0(VALU_DEP_4) | instskip(NEXT) | instid1(VALU_DEP_3)
	v_lshlrev_b64 v[7:8], 3, v[7:8]
	v_dual_fmac_f32 v12, v10, v0 :: v_dual_fmac_f32 v5, v9, v3
	v_fmac_f32_e32 v14, v10, v2
	s_delay_alu instid0(VALU_DEP_4) | instskip(NEXT) | instid1(VALU_DEP_4)
	v_fmac_f32_e32 v6, v10, v3
                                        ; implicit-def: $vgpr9
                                        ; implicit-def: $vgpr10
                                        ; implicit-def: $vgpr2
                                        ; implicit-def: $vgpr3
                                        ; implicit-def: $vgpr4
	v_add_co_u32 v0, vcc_lo, s2, v7
	v_add_co_ci_u32_e32 v1, vcc_lo, s3, v8, vcc_lo
	s_clause 0x1
	global_store_b128 v[0:1], v[11:14], off
	global_store_b64 v[0:1], v[5:6], off offset:16
                                        ; implicit-def: $vgpr11
                                        ; implicit-def: $vgpr12
                                        ; implicit-def: $vgpr1
                                        ; implicit-def: $vgpr0
                                        ; implicit-def: $vgpr6
                                        ; implicit-def: $vgpr5
.LBB86_27:
	s_and_not1_saveexec_b32 s0, s0
	s_cbranch_execz .LBB86_29
; %bb.28:
	v_lshl_add_u32 v7, v1, 1, v1
	v_mul_f32_e64 v21, v5, -v10
	v_mul_f32_e64 v22, v4, -v10
	s_delay_alu instid0(VALU_DEP_3) | instskip(NEXT) | instid1(VALU_DEP_1)
	v_ashrrev_i32_e32 v8, 31, v7
	v_lshlrev_b64 v[7:8], 3, v[7:8]
	s_delay_alu instid0(VALU_DEP_1) | instskip(NEXT) | instid1(VALU_DEP_2)
	v_add_co_u32 v17, vcc_lo, s2, v7
	v_add_co_ci_u32_e32 v18, vcc_lo, s3, v8, vcc_lo
	v_mul_f32_e64 v7, v6, -v10
	v_mul_f32_e32 v6, v6, v9
	s_clause 0x1
	global_load_b128 v[13:16], v[17:18], off
	global_load_b64 v[19:20], v[17:18], off offset:16
	v_fmac_f32_e32 v7, v9, v0
	v_dual_mul_f32 v1, v4, v9 :: v_dual_fmac_f32 v6, v10, v0
	v_mul_f32_e32 v8, v5, v9
	v_fmac_f32_e32 v21, v9, v2
	s_delay_alu instid0(VALU_DEP_3) | instskip(SKIP_1) | instid1(VALU_DEP_3)
	v_fmac_f32_e32 v1, v10, v3
	s_waitcnt vmcnt(1)
	v_dual_fmac_f32 v8, v10, v2 :: v_dual_fmac_f32 v7, v11, v13
	v_fmac_f32_e32 v6, v12, v13
	s_waitcnt vmcnt(0)
	v_fmac_f32_e32 v1, v12, v19
	v_fmac_f32_e32 v21, v11, v15
	v_fmac_f32_e32 v8, v12, v15
	v_fma_f32 v5, -v12, v14, v7
	v_fmac_f32_e32 v6, v11, v14
	v_dual_fmac_f32 v22, v9, v3 :: v_dual_fmac_f32 v1, v11, v20
	v_fma_f32 v7, -v12, v16, v21
	v_fmac_f32_e32 v8, v11, v16
	s_delay_alu instid0(VALU_DEP_3) | instskip(NEXT) | instid1(VALU_DEP_1)
	v_fmac_f32_e32 v22, v11, v19
	v_fma_f32 v0, -v12, v20, v22
	s_clause 0x1
	global_store_b128 v[17:18], v[5:8], off
	global_store_b64 v[17:18], v[0:1], off offset:16
.LBB86_29:
	s_nop 0
	s_sendmsg sendmsg(MSG_DEALLOC_VGPRS)
	s_endpgm
	.section	.rodata,"a",@progbits
	.p2align	6, 0x0
	.amdhsa_kernel _ZN9rocsparseL19gebsrmvn_3xn_kernelILj128ELj4ELj16E21rocsparse_complex_numIfEEEvi20rocsparse_direction_NS_24const_host_device_scalarIT2_EEPKiS8_PKS5_SA_S6_PS5_21rocsparse_index_base_b
		.amdhsa_group_segment_fixed_size 0
		.amdhsa_private_segment_fixed_size 0
		.amdhsa_kernarg_size 72
		.amdhsa_user_sgpr_count 15
		.amdhsa_user_sgpr_dispatch_ptr 0
		.amdhsa_user_sgpr_queue_ptr 0
		.amdhsa_user_sgpr_kernarg_segment_ptr 1
		.amdhsa_user_sgpr_dispatch_id 0
		.amdhsa_user_sgpr_private_segment_size 0
		.amdhsa_wavefront_size32 1
		.amdhsa_uses_dynamic_stack 0
		.amdhsa_enable_private_segment 0
		.amdhsa_system_sgpr_workgroup_id_x 1
		.amdhsa_system_sgpr_workgroup_id_y 0
		.amdhsa_system_sgpr_workgroup_id_z 0
		.amdhsa_system_sgpr_workgroup_info 0
		.amdhsa_system_vgpr_workitem_id 0
		.amdhsa_next_free_vgpr 50
		.amdhsa_next_free_sgpr 16
		.amdhsa_reserve_vcc 1
		.amdhsa_float_round_mode_32 0
		.amdhsa_float_round_mode_16_64 0
		.amdhsa_float_denorm_mode_32 3
		.amdhsa_float_denorm_mode_16_64 3
		.amdhsa_dx10_clamp 1
		.amdhsa_ieee_mode 1
		.amdhsa_fp16_overflow 0
		.amdhsa_workgroup_processor_mode 1
		.amdhsa_memory_ordered 1
		.amdhsa_forward_progress 0
		.amdhsa_shared_vgpr_count 0
		.amdhsa_exception_fp_ieee_invalid_op 0
		.amdhsa_exception_fp_denorm_src 0
		.amdhsa_exception_fp_ieee_div_zero 0
		.amdhsa_exception_fp_ieee_overflow 0
		.amdhsa_exception_fp_ieee_underflow 0
		.amdhsa_exception_fp_ieee_inexact 0
		.amdhsa_exception_int_div_zero 0
	.end_amdhsa_kernel
	.section	.text._ZN9rocsparseL19gebsrmvn_3xn_kernelILj128ELj4ELj16E21rocsparse_complex_numIfEEEvi20rocsparse_direction_NS_24const_host_device_scalarIT2_EEPKiS8_PKS5_SA_S6_PS5_21rocsparse_index_base_b,"axG",@progbits,_ZN9rocsparseL19gebsrmvn_3xn_kernelILj128ELj4ELj16E21rocsparse_complex_numIfEEEvi20rocsparse_direction_NS_24const_host_device_scalarIT2_EEPKiS8_PKS5_SA_S6_PS5_21rocsparse_index_base_b,comdat
.Lfunc_end86:
	.size	_ZN9rocsparseL19gebsrmvn_3xn_kernelILj128ELj4ELj16E21rocsparse_complex_numIfEEEvi20rocsparse_direction_NS_24const_host_device_scalarIT2_EEPKiS8_PKS5_SA_S6_PS5_21rocsparse_index_base_b, .Lfunc_end86-_ZN9rocsparseL19gebsrmvn_3xn_kernelILj128ELj4ELj16E21rocsparse_complex_numIfEEEvi20rocsparse_direction_NS_24const_host_device_scalarIT2_EEPKiS8_PKS5_SA_S6_PS5_21rocsparse_index_base_b
                                        ; -- End function
	.section	.AMDGPU.csdata,"",@progbits
; Kernel info:
; codeLenInByte = 2996
; NumSgprs: 18
; NumVgprs: 50
; ScratchSize: 0
; MemoryBound: 0
; FloatMode: 240
; IeeeMode: 1
; LDSByteSize: 0 bytes/workgroup (compile time only)
; SGPRBlocks: 2
; VGPRBlocks: 6
; NumSGPRsForWavesPerEU: 18
; NumVGPRsForWavesPerEU: 50
; Occupancy: 16
; WaveLimiterHint : 1
; COMPUTE_PGM_RSRC2:SCRATCH_EN: 0
; COMPUTE_PGM_RSRC2:USER_SGPR: 15
; COMPUTE_PGM_RSRC2:TRAP_HANDLER: 0
; COMPUTE_PGM_RSRC2:TGID_X_EN: 1
; COMPUTE_PGM_RSRC2:TGID_Y_EN: 0
; COMPUTE_PGM_RSRC2:TGID_Z_EN: 0
; COMPUTE_PGM_RSRC2:TIDIG_COMP_CNT: 0
	.section	.text._ZN9rocsparseL19gebsrmvn_3xn_kernelILj128ELj4ELj32E21rocsparse_complex_numIfEEEvi20rocsparse_direction_NS_24const_host_device_scalarIT2_EEPKiS8_PKS5_SA_S6_PS5_21rocsparse_index_base_b,"axG",@progbits,_ZN9rocsparseL19gebsrmvn_3xn_kernelILj128ELj4ELj32E21rocsparse_complex_numIfEEEvi20rocsparse_direction_NS_24const_host_device_scalarIT2_EEPKiS8_PKS5_SA_S6_PS5_21rocsparse_index_base_b,comdat
	.globl	_ZN9rocsparseL19gebsrmvn_3xn_kernelILj128ELj4ELj32E21rocsparse_complex_numIfEEEvi20rocsparse_direction_NS_24const_host_device_scalarIT2_EEPKiS8_PKS5_SA_S6_PS5_21rocsparse_index_base_b ; -- Begin function _ZN9rocsparseL19gebsrmvn_3xn_kernelILj128ELj4ELj32E21rocsparse_complex_numIfEEEvi20rocsparse_direction_NS_24const_host_device_scalarIT2_EEPKiS8_PKS5_SA_S6_PS5_21rocsparse_index_base_b
	.p2align	8
	.type	_ZN9rocsparseL19gebsrmvn_3xn_kernelILj128ELj4ELj32E21rocsparse_complex_numIfEEEvi20rocsparse_direction_NS_24const_host_device_scalarIT2_EEPKiS8_PKS5_SA_S6_PS5_21rocsparse_index_base_b,@function
_ZN9rocsparseL19gebsrmvn_3xn_kernelILj128ELj4ELj32E21rocsparse_complex_numIfEEEvi20rocsparse_direction_NS_24const_host_device_scalarIT2_EEPKiS8_PKS5_SA_S6_PS5_21rocsparse_index_base_b: ; @_ZN9rocsparseL19gebsrmvn_3xn_kernelILj128ELj4ELj32E21rocsparse_complex_numIfEEEvi20rocsparse_direction_NS_24const_host_device_scalarIT2_EEPKiS8_PKS5_SA_S6_PS5_21rocsparse_index_base_b
; %bb.0:
	s_clause 0x2
	s_load_b64 s[12:13], s[0:1], 0x40
	s_load_b64 s[4:5], s[0:1], 0x8
	s_load_b64 s[2:3], s[0:1], 0x30
	s_waitcnt lgkmcnt(0)
	s_bitcmp1_b32 s13, 0
	v_mov_b32_e32 v9, s4
	s_cselect_b32 s6, -1, 0
	s_delay_alu instid0(SALU_CYCLE_1)
	s_and_b32 vcc_lo, exec_lo, s6
	s_xor_b32 s6, s6, -1
	s_cbranch_vccz .LBB87_15
; %bb.1:
	v_cndmask_b32_e64 v1, 0, 1, s6
	v_mov_b32_e32 v10, s5
	s_and_not1_b32 vcc_lo, exec_lo, s6
	s_cbranch_vccz .LBB87_16
.LBB87_2:
	s_delay_alu instid0(VALU_DEP_2)
	v_cmp_ne_u32_e32 vcc_lo, 1, v1
	v_mov_b32_e32 v11, s2
	s_cbranch_vccz .LBB87_17
.LBB87_3:
	v_cmp_ne_u32_e32 vcc_lo, 1, v1
	v_mov_b32_e32 v12, s3
	s_cbranch_vccnz .LBB87_5
.LBB87_4:
	v_dual_mov_b32 v1, s2 :: v_dual_mov_b32 v2, s3
	flat_load_b32 v12, v[1:2] offset:4
.LBB87_5:
	s_waitcnt vmcnt(0) lgkmcnt(0)
	v_cmp_eq_f32_e32 vcc_lo, 0, v9
	v_cmp_eq_f32_e64 s2, 0, v10
	s_delay_alu instid0(VALU_DEP_1)
	s_and_b32 s4, vcc_lo, s2
	s_mov_b32 s2, -1
	s_and_saveexec_b32 s3, s4
; %bb.6:
	v_cmp_neq_f32_e32 vcc_lo, 1.0, v11
	v_cmp_neq_f32_e64 s2, 0, v12
	s_delay_alu instid0(VALU_DEP_1) | instskip(NEXT) | instid1(SALU_CYCLE_1)
	s_or_b32 s2, vcc_lo, s2
	s_or_not1_b32 s2, s2, exec_lo
; %bb.7:
	s_or_b32 exec_lo, exec_lo, s3
	s_and_saveexec_b32 s3, s2
	s_cbranch_execz .LBB87_29
; %bb.8:
	s_load_b64 s[2:3], s[0:1], 0x0
	v_lshrrev_b32_e32 v1, 5, v0
	s_delay_alu instid0(VALU_DEP_1) | instskip(SKIP_1) | instid1(VALU_DEP_1)
	v_lshl_or_b32 v1, s15, 2, v1
	s_waitcnt lgkmcnt(0)
	v_cmp_gt_i32_e32 vcc_lo, s2, v1
	s_and_b32 exec_lo, exec_lo, vcc_lo
	s_cbranch_execz .LBB87_29
; %bb.9:
	s_load_b256 s[4:11], s[0:1], 0x10
	v_ashrrev_i32_e32 v2, 31, v1
	v_and_b32_e32 v0, 31, v0
	s_cmp_lg_u32 s3, 0
	s_delay_alu instid0(VALU_DEP_2) | instskip(SKIP_1) | instid1(VALU_DEP_1)
	v_lshlrev_b64 v[2:3], 2, v[1:2]
	s_waitcnt lgkmcnt(0)
	v_add_co_u32 v2, vcc_lo, s4, v2
	s_delay_alu instid0(VALU_DEP_2) | instskip(SKIP_4) | instid1(VALU_DEP_2)
	v_add_co_ci_u32_e32 v3, vcc_lo, s5, v3, vcc_lo
	global_load_b64 v[2:3], v[2:3], off
	s_waitcnt vmcnt(0)
	v_subrev_nc_u32_e32 v2, s12, v2
	v_subrev_nc_u32_e32 v16, s12, v3
	v_add_nc_u32_e32 v2, v2, v0
	s_delay_alu instid0(VALU_DEP_1)
	v_cmp_lt_i32_e64 s2, v2, v16
	s_cbranch_scc0 .LBB87_18
; %bb.10:
	v_dual_mov_b32 v13, 0 :: v_dual_mov_b32 v18, 0
	v_dual_mov_b32 v17, 0 :: v_dual_mov_b32 v14, 0
	v_mov_b32_e32 v19, 0
	v_mov_b32_e32 v15, 0
	s_mov_b32 s4, 0
	s_and_saveexec_b32 s5, s2
	s_cbranch_execz .LBB87_14
; %bb.11:
	v_mad_u64_u32 v[3:4], null, v2, 12, 11
	v_dual_mov_b32 v6, 0 :: v_dual_mov_b32 v7, v2
	v_dual_mov_b32 v13, 0 :: v_dual_mov_b32 v18, 0
	;; [unrolled: 1-line block ×3, first 2 shown]
	v_mov_b32_e32 v19, 0
	v_mov_b32_e32 v15, 0
	s_mov_b32 s13, 0
.LBB87_12:                              ; =>This Inner Loop Header: Depth=1
	v_ashrrev_i32_e32 v8, 31, v7
	s_delay_alu instid0(VALU_DEP_1) | instskip(NEXT) | instid1(VALU_DEP_1)
	v_lshlrev_b64 v[4:5], 2, v[7:8]
	v_add_co_u32 v4, vcc_lo, s6, v4
	s_delay_alu instid0(VALU_DEP_2) | instskip(SKIP_2) | instid1(VALU_DEP_1)
	v_add_co_ci_u32_e32 v5, vcc_lo, s7, v5, vcc_lo
	global_load_b32 v8, v[4:5], off
	v_dual_mov_b32 v4, v6 :: v_dual_add_nc_u32 v5, -11, v3
	v_lshlrev_b64 v[20:21], 3, v[5:6]
	v_add_nc_u32_e32 v5, -7, v3
	s_delay_alu instid0(VALU_DEP_3) | instskip(NEXT) | instid1(VALU_DEP_2)
	v_lshlrev_b64 v[22:23], 3, v[3:4]
	v_lshlrev_b64 v[24:25], 3, v[5:6]
	s_delay_alu instid0(VALU_DEP_4) | instskip(SKIP_1) | instid1(VALU_DEP_4)
	v_add_co_u32 v26, vcc_lo, s8, v20
	v_add_co_ci_u32_e32 v27, vcc_lo, s9, v21, vcc_lo
	v_add_co_u32 v36, vcc_lo, s8, v22
	v_add_co_ci_u32_e32 v37, vcc_lo, s9, v23, vcc_lo
	;; [unrolled: 2-line block ×3, first 2 shown]
	s_clause 0x1
	global_load_b128 v[20:23], v[26:27], off offset:16
	global_load_b128 v[24:27], v[26:27], off
	v_add_nc_u32_e32 v5, -6, v3
	global_load_b64 v[38:39], v[32:33], off
	v_lshlrev_b64 v[30:31], 3, v[5:6]
	v_add_nc_u32_e32 v5, -5, v3
	s_delay_alu instid0(VALU_DEP_2) | instskip(NEXT) | instid1(VALU_DEP_2)
	v_add_co_u32 v30, vcc_lo, s8, v30
	v_lshlrev_b64 v[34:35], 3, v[5:6]
	s_delay_alu instid0(VALU_DEP_4)
	v_add_co_ci_u32_e32 v31, vcc_lo, s9, v31, vcc_lo
	global_load_b64 v[42:43], v[30:31], off
	v_add_co_u32 v32, vcc_lo, s8, v34
	v_add_co_ci_u32_e32 v33, vcc_lo, s9, v35, vcc_lo
	global_load_b64 v[46:47], v[32:33], off
	s_waitcnt vmcnt(5)
	v_subrev_nc_u32_e32 v4, s12, v8
	s_delay_alu instid0(VALU_DEP_1) | instskip(NEXT) | instid1(VALU_DEP_1)
	v_dual_mov_b32 v29, v6 :: v_dual_lshlrev_b32 v28, 2, v4
	v_lshlrev_b64 v[28:29], 3, v[28:29]
	s_delay_alu instid0(VALU_DEP_1) | instskip(NEXT) | instid1(VALU_DEP_1)
	v_add_co_u32 v32, s3, s10, v28
	v_add_co_ci_u32_e64 v33, s3, s11, v29, s3
	s_clause 0x1
	global_load_b128 v[28:31], v[32:33], off
	global_load_b128 v[32:35], v[32:33], off offset:16
	s_waitcnt vmcnt(1)
	v_fmac_f32_e32 v17, v24, v28
	v_fmac_f32_e32 v18, v20, v28
	;; [unrolled: 1-line block ×3, first 2 shown]
	s_delay_alu instid0(VALU_DEP_3) | instskip(SKIP_1) | instid1(VALU_DEP_4)
	v_fma_f32 v8, -v25, v29, v17
	v_add_nc_u32_e32 v5, -4, v3
	v_fma_f32 v18, -v21, v29, v18
	s_delay_alu instid0(VALU_DEP_4) | instskip(NEXT) | instid1(VALU_DEP_4)
	v_fmac_f32_e32 v14, v20, v29
	v_fmac_f32_e32 v8, v22, v30
	s_delay_alu instid0(VALU_DEP_4) | instskip(NEXT) | instid1(VALU_DEP_4)
	v_lshlrev_b64 v[40:41], 3, v[5:6]
	v_dual_fmac_f32 v18, v42, v30 :: v_dual_add_nc_u32 v5, -3, v3
	s_delay_alu instid0(VALU_DEP_4) | instskip(NEXT) | instid1(VALU_DEP_4)
	v_fmac_f32_e32 v14, v43, v30
	v_fma_f32 v8, -v23, v31, v8
	s_delay_alu instid0(VALU_DEP_3) | instskip(SKIP_3) | instid1(VALU_DEP_3)
	v_lshlrev_b64 v[44:45], 3, v[5:6]
	v_add_nc_u32_e32 v5, -2, v3
	v_add_co_u32 v40, vcc_lo, s8, v40
	v_add_co_ci_u32_e32 v41, vcc_lo, s9, v41, vcc_lo
	v_lshlrev_b64 v[48:49], 3, v[5:6]
	s_waitcnt vmcnt(0)
	v_dual_fmac_f32 v8, v46, v32 :: v_dual_add_nc_u32 v5, -1, v3
	v_add_co_u32 v44, vcc_lo, s8, v44
	v_add_co_ci_u32_e32 v45, vcc_lo, s9, v45, vcc_lo
	s_delay_alu instid0(VALU_DEP_3)
	v_lshlrev_b64 v[4:5], 3, v[5:6]
	global_load_b64 v[40:41], v[40:41], off
	v_add_co_u32 v48, vcc_lo, s8, v48
	global_load_b64 v[44:45], v[44:45], off
	v_add_co_ci_u32_e32 v49, vcc_lo, s9, v49, vcc_lo
	v_add_co_u32 v4, vcc_lo, s8, v4
	v_add_co_ci_u32_e32 v5, vcc_lo, s9, v5, vcc_lo
	s_clause 0x2
	global_load_b64 v[48:49], v[48:49], off
	global_load_b64 v[4:5], v[4:5], off
	;; [unrolled: 1-line block ×3, first 2 shown]
	v_fma_f32 v18, -v43, v31, v18
	v_fmac_f32_e32 v14, v42, v31
	v_add_nc_u32_e32 v7, 32, v7
	v_add_nc_u32_e32 v3, 0x180, v3
	v_fma_f32 v8, -v47, v33, v8
	v_fmac_f32_e32 v19, v26, v28
	s_waitcnt vmcnt(3)
	v_fmac_f32_e32 v18, v44, v32
	v_fmac_f32_e32 v14, v45, v32
	v_fmac_f32_e32 v13, v25, v28
	v_cmp_ge_i32_e32 vcc_lo, v7, v16
	s_delay_alu instid0(VALU_DEP_4) | instskip(NEXT) | instid1(VALU_DEP_4)
	v_fma_f32 v18, -v45, v33, v18
	v_dual_fmac_f32 v14, v44, v33 :: v_dual_fmac_f32 v15, v27, v28
	s_delay_alu instid0(VALU_DEP_4)
	v_fmac_f32_e32 v13, v24, v29
	s_waitcnt vmcnt(2)
	v_fmac_f32_e32 v8, v48, v34
	v_fma_f32 v17, -v27, v29, v19
	s_waitcnt vmcnt(0)
	v_fmac_f32_e32 v14, v37, v34
	v_dual_fmac_f32 v18, v36, v34 :: v_dual_fmac_f32 v15, v26, v29
	v_fmac_f32_e32 v13, v23, v30
	s_delay_alu instid0(VALU_DEP_3) | instskip(NEXT) | instid1(VALU_DEP_3)
	v_dual_fmac_f32 v17, v38, v30 :: v_dual_fmac_f32 v14, v36, v35
	v_fma_f32 v18, -v37, v35, v18
	s_delay_alu instid0(VALU_DEP_4) | instskip(NEXT) | instid1(VALU_DEP_4)
	v_fmac_f32_e32 v15, v39, v30
	v_fmac_f32_e32 v13, v22, v31
	s_delay_alu instid0(VALU_DEP_4) | instskip(SKIP_1) | instid1(VALU_DEP_3)
	v_fma_f32 v17, -v39, v31, v17
	s_or_b32 s13, vcc_lo, s13
	v_fmac_f32_e32 v15, v38, v31
	s_delay_alu instid0(VALU_DEP_3) | instskip(NEXT) | instid1(VALU_DEP_3)
	v_fmac_f32_e32 v13, v47, v32
	v_fmac_f32_e32 v17, v40, v32
	s_delay_alu instid0(VALU_DEP_3) | instskip(NEXT) | instid1(VALU_DEP_3)
	v_fmac_f32_e32 v15, v41, v32
	v_fmac_f32_e32 v13, v46, v33
	s_delay_alu instid0(VALU_DEP_3) | instskip(SKIP_1) | instid1(VALU_DEP_4)
	v_fma_f32 v19, -v41, v33, v17
	v_fma_f32 v17, -v49, v35, v8
	v_fmac_f32_e32 v15, v40, v33
	s_delay_alu instid0(VALU_DEP_4) | instskip(NEXT) | instid1(VALU_DEP_4)
	v_fmac_f32_e32 v13, v49, v34
	v_fmac_f32_e32 v19, v4, v34
	s_delay_alu instid0(VALU_DEP_3) | instskip(NEXT) | instid1(VALU_DEP_3)
	v_fmac_f32_e32 v15, v5, v34
	v_fmac_f32_e32 v13, v48, v35
	s_delay_alu instid0(VALU_DEP_3) | instskip(NEXT) | instid1(VALU_DEP_3)
	v_fma_f32 v19, -v5, v35, v19
	v_fmac_f32_e32 v15, v4, v35
	s_and_not1_b32 exec_lo, exec_lo, s13
	s_cbranch_execnz .LBB87_12
; %bb.13:
	s_or_b32 exec_lo, exec_lo, s13
.LBB87_14:
	s_delay_alu instid0(SALU_CYCLE_1) | instskip(NEXT) | instid1(SALU_CYCLE_1)
	s_or_b32 exec_lo, exec_lo, s5
	s_and_not1_b32 vcc_lo, exec_lo, s4
	s_cbranch_vccz .LBB87_19
	s_branch .LBB87_24
.LBB87_15:
	v_dual_mov_b32 v1, s4 :: v_dual_mov_b32 v2, s5
	flat_load_b32 v9, v[1:2]
	v_cndmask_b32_e64 v1, 0, 1, s6
	v_mov_b32_e32 v10, s5
	s_and_not1_b32 vcc_lo, exec_lo, s6
	s_cbranch_vccnz .LBB87_2
.LBB87_16:
	v_dual_mov_b32 v2, s4 :: v_dual_mov_b32 v3, s5
	flat_load_b32 v10, v[2:3] offset:4
	v_cmp_ne_u32_e32 vcc_lo, 1, v1
	v_mov_b32_e32 v11, s2
	s_cbranch_vccnz .LBB87_3
.LBB87_17:
	v_dual_mov_b32 v2, s2 :: v_dual_mov_b32 v3, s3
	flat_load_b32 v11, v[2:3]
	v_cmp_ne_u32_e32 vcc_lo, 1, v1
	v_mov_b32_e32 v12, s3
	s_cbranch_vccz .LBB87_4
	s_branch .LBB87_5
.LBB87_18:
                                        ; implicit-def: $vgpr13
                                        ; implicit-def: $vgpr17
                                        ; implicit-def: $vgpr18
                                        ; implicit-def: $vgpr14
                                        ; implicit-def: $vgpr19
                                        ; implicit-def: $vgpr15
.LBB87_19:
	v_dual_mov_b32 v13, 0 :: v_dual_mov_b32 v18, 0
	v_dual_mov_b32 v17, 0 :: v_dual_mov_b32 v14, 0
	v_mov_b32_e32 v19, 0
	v_mov_b32_e32 v15, 0
	s_and_saveexec_b32 s3, s2
	s_cbranch_execz .LBB87_23
; %bb.20:
	v_mad_u64_u32 v[4:5], null, v2, 12, 11
	v_dual_mov_b32 v7, 0 :: v_dual_mov_b32 v18, 0
	v_dual_mov_b32 v13, 0 :: v_dual_mov_b32 v14, 0
	v_mov_b32_e32 v17, 0
	v_mov_b32_e32 v19, 0
	;; [unrolled: 1-line block ×3, first 2 shown]
	s_mov_b32 s2, 0
.LBB87_21:                              ; =>This Inner Loop Header: Depth=1
	v_ashrrev_i32_e32 v3, 31, v2
	v_dual_mov_b32 v21, v7 :: v_dual_add_nc_u32 v20, -7, v4
	v_dual_mov_b32 v23, v7 :: v_dual_add_nc_u32 v22, -3, v4
	s_delay_alu instid0(VALU_DEP_3) | instskip(SKIP_1) | instid1(VALU_DEP_4)
	v_lshlrev_b64 v[5:6], 2, v[2:3]
	v_mov_b32_e32 v29, v7
	v_lshlrev_b64 v[20:21], 3, v[20:21]
	s_delay_alu instid0(VALU_DEP_4) | instskip(NEXT) | instid1(VALU_DEP_4)
	v_lshlrev_b64 v[22:23], 3, v[22:23]
	v_add_co_u32 v5, vcc_lo, s6, v5
	v_add_co_ci_u32_e32 v6, vcc_lo, s7, v6, vcc_lo
	global_load_b32 v3, v[5:6], off
	v_dual_mov_b32 v5, v7 :: v_dual_add_nc_u32 v6, -11, v4
	s_delay_alu instid0(VALU_DEP_1) | instskip(SKIP_1) | instid1(VALU_DEP_3)
	v_lshlrev_b64 v[24:25], 3, v[6:7]
	v_add_nc_u32_e32 v6, -6, v4
	v_lshlrev_b64 v[26:27], 3, v[4:5]
	s_delay_alu instid0(VALU_DEP_2) | instskip(NEXT) | instid1(VALU_DEP_4)
	v_lshlrev_b64 v[30:31], 3, v[6:7]
	v_add_co_u32 v24, vcc_lo, s8, v24
	v_add_co_ci_u32_e32 v25, vcc_lo, s9, v25, vcc_lo
	v_add_co_u32 v32, vcc_lo, s8, v20
	v_add_co_ci_u32_e32 v33, vcc_lo, s9, v21, vcc_lo
	;; [unrolled: 2-line block ×4, first 2 shown]
	s_clause 0x1
	global_load_b128 v[20:23], v[24:25], off offset:16
	global_load_b128 v[24:27], v[24:25], off
	v_add_nc_u32_e32 v6, -2, v4
	s_clause 0x1
	global_load_b64 v[40:41], v[32:33], off
	global_load_b64 v[42:43], v[34:35], off
	v_add_co_u32 v30, vcc_lo, s8, v30
	v_add_co_ci_u32_e32 v31, vcc_lo, s9, v31, vcc_lo
	v_lshlrev_b64 v[38:39], 3, v[6:7]
	v_add_nc_u32_e32 v6, -5, v4
	global_load_b64 v[46:47], v[30:31], off
	v_lshlrev_b64 v[44:45], 3, v[6:7]
	v_add_nc_u32_e32 v6, -1, v4
	v_add_co_u32 v38, vcc_lo, s8, v38
	v_add_co_ci_u32_e32 v39, vcc_lo, s9, v39, vcc_lo
	s_delay_alu instid0(VALU_DEP_3) | instskip(SKIP_2) | instid1(VALU_DEP_1)
	v_lshlrev_b64 v[48:49], 3, v[6:7]
	s_waitcnt vmcnt(5)
	v_subrev_nc_u32_e32 v3, s12, v3
	v_lshlrev_b32_e32 v28, 2, v3
	s_delay_alu instid0(VALU_DEP_1) | instskip(NEXT) | instid1(VALU_DEP_1)
	v_lshlrev_b64 v[5:6], 3, v[28:29]
	v_add_co_u32 v5, vcc_lo, s10, v5
	s_delay_alu instid0(VALU_DEP_2)
	v_add_co_ci_u32_e32 v6, vcc_lo, s11, v6, vcc_lo
	v_add_co_u32 v44, vcc_lo, s8, v44
	v_add_co_ci_u32_e32 v45, vcc_lo, s9, v45, vcc_lo
	s_clause 0x1
	global_load_b128 v[28:31], v[5:6], off
	global_load_b128 v[32:35], v[5:6], off offset:16
	global_load_b64 v[38:39], v[38:39], off
	v_add_co_u32 v48, vcc_lo, s8, v48
	v_add_co_ci_u32_e32 v49, vcc_lo, s9, v49, vcc_lo
	s_clause 0x1
	global_load_b64 v[44:45], v[44:45], off
	global_load_b64 v[48:49], v[48:49], off
	s_waitcnt vmcnt(4)
	v_dual_fmac_f32 v17, v24, v28 :: v_dual_add_nc_u32 v2, 32, v2
	v_fmac_f32_e32 v14, v43, v28
	v_fmac_f32_e32 v13, v25, v28
	;; [unrolled: 1-line block ×3, first 2 shown]
	s_delay_alu instid0(VALU_DEP_4) | instskip(NEXT) | instid1(VALU_DEP_4)
	v_fma_f32 v3, -v25, v29, v17
	v_dual_fmac_f32 v14, v42, v29 :: v_dual_fmac_f32 v15, v41, v28
	s_delay_alu instid0(VALU_DEP_4) | instskip(NEXT) | instid1(VALU_DEP_4)
	v_fmac_f32_e32 v13, v24, v29
	v_fma_f32 v8, -v41, v29, v19
	s_delay_alu instid0(VALU_DEP_4) | instskip(SKIP_3) | instid1(VALU_DEP_3)
	v_fmac_f32_e32 v3, v26, v30
	s_waitcnt vmcnt(2)
	v_dual_fmac_f32 v14, v39, v30 :: v_dual_fmac_f32 v15, v40, v29
	v_dual_fmac_f32 v13, v27, v30 :: v_dual_add_nc_u32 v6, -4, v4
	v_fma_f32 v3, -v27, v31, v3
	s_delay_alu instid0(VALU_DEP_3) | instskip(NEXT) | instid1(VALU_DEP_3)
	v_dual_fmac_f32 v14, v38, v31 :: v_dual_fmac_f32 v15, v47, v30
	v_lshlrev_b64 v[5:6], 3, v[6:7]
	s_delay_alu instid0(VALU_DEP_4) | instskip(NEXT) | instid1(VALU_DEP_4)
	v_fmac_f32_e32 v13, v26, v31
	v_fmac_f32_e32 v3, v20, v32
	s_waitcnt vmcnt(0)
	v_fmac_f32_e32 v14, v49, v32
	v_fmac_f32_e32 v8, v46, v30
	v_add_co_u32 v5, vcc_lo, s8, v5
	v_add_co_ci_u32_e32 v6, vcc_lo, s9, v6, vcc_lo
	s_clause 0x1
	global_load_b64 v[5:6], v[5:6], off
	global_load_b64 v[36:37], v[36:37], off
	v_dual_fmac_f32 v13, v21, v32 :: v_dual_fmac_f32 v14, v48, v33
	v_fmac_f32_e32 v18, v42, v28
	v_fma_f32 v8, -v47, v31, v8
	v_fmac_f32_e32 v15, v46, v31
	s_delay_alu instid0(VALU_DEP_4) | instskip(SKIP_3) | instid1(VALU_DEP_4)
	v_fmac_f32_e32 v13, v20, v33
	v_fma_f32 v3, -v21, v33, v3
	v_fma_f32 v17, -v43, v29, v18
	v_fmac_f32_e32 v8, v44, v32
	v_dual_fmac_f32 v13, v23, v34 :: v_dual_add_nc_u32 v4, 0x180, v4
	v_cmp_ge_i32_e32 vcc_lo, v2, v16
	s_delay_alu instid0(VALU_DEP_4) | instskip(NEXT) | instid1(VALU_DEP_4)
	v_fmac_f32_e32 v17, v38, v30
	v_fma_f32 v8, -v45, v33, v8
	s_delay_alu instid0(VALU_DEP_4) | instskip(SKIP_1) | instid1(VALU_DEP_3)
	v_fmac_f32_e32 v13, v22, v35
	s_or_b32 s2, vcc_lo, s2
	v_fma_f32 v17, -v39, v31, v17
	s_waitcnt vmcnt(1)
	s_delay_alu instid0(VALU_DEP_1) | instskip(NEXT) | instid1(VALU_DEP_1)
	v_dual_fmac_f32 v17, v48, v32 :: v_dual_fmac_f32 v8, v5, v34
	v_fma_f32 v18, -v49, v33, v17
	v_fmac_f32_e32 v15, v45, v32
	s_waitcnt vmcnt(0)
	v_fmac_f32_e32 v14, v37, v34
	v_fmac_f32_e32 v3, v22, v34
	v_fma_f32 v19, -v6, v35, v8
	v_fmac_f32_e32 v18, v36, v34
	v_fmac_f32_e32 v15, v44, v33
	;; [unrolled: 1-line block ×3, first 2 shown]
	v_fma_f32 v17, -v23, v35, v3
	s_delay_alu instid0(VALU_DEP_4) | instskip(NEXT) | instid1(VALU_DEP_4)
	v_fma_f32 v18, -v37, v35, v18
	v_fmac_f32_e32 v15, v6, v34
	s_delay_alu instid0(VALU_DEP_1)
	v_fmac_f32_e32 v15, v5, v35
	s_and_not1_b32 exec_lo, exec_lo, s2
	s_cbranch_execnz .LBB87_21
; %bb.22:
	s_or_b32 exec_lo, exec_lo, s2
.LBB87_23:
	s_delay_alu instid0(SALU_CYCLE_1)
	s_or_b32 exec_lo, exec_lo, s3
.LBB87_24:
	v_mbcnt_lo_u32_b32 v2, -1, 0
	s_delay_alu instid0(VALU_DEP_1) | instskip(SKIP_1) | instid1(VALU_DEP_2)
	v_xor_b32_e32 v3, 16, v2
	v_xor_b32_e32 v16, 8, v2
	v_cmp_gt_i32_e32 vcc_lo, 32, v3
	v_cndmask_b32_e32 v3, v2, v3, vcc_lo
	s_delay_alu instid0(VALU_DEP_3) | instskip(SKIP_1) | instid1(VALU_DEP_1)
	v_cmp_gt_i32_e32 vcc_lo, 32, v16
	v_cndmask_b32_e32 v16, v2, v16, vcc_lo
	v_lshlrev_b32_e32 v16, 2, v16
	s_delay_alu instid0(VALU_DEP_4)
	v_lshlrev_b32_e32 v3, 2, v3
	ds_bpermute_b32 v4, v3, v17
	s_waitcnt lgkmcnt(0)
	v_add_f32_e32 v4, v17, v4
	ds_bpermute_b32 v5, v3, v13
	ds_bpermute_b32 v6, v3, v19
	;; [unrolled: 1-line block ×5, first 2 shown]
	s_waitcnt lgkmcnt(3)
	v_dual_add_f32 v5, v13, v5 :: v_dual_add_f32 v6, v19, v6
	s_waitcnt lgkmcnt(1)
	v_dual_add_f32 v7, v15, v7 :: v_dual_add_f32 v8, v18, v8
	s_waitcnt lgkmcnt(0)
	v_add_f32_e32 v3, v14, v3
	ds_bpermute_b32 v13, v16, v4
	ds_bpermute_b32 v14, v16, v5
	ds_bpermute_b32 v15, v16, v6
	ds_bpermute_b32 v18, v16, v8
	v_xor_b32_e32 v19, 4, v2
	ds_bpermute_b32 v17, v16, v7
	ds_bpermute_b32 v16, v16, v3
	v_cmp_gt_i32_e32 vcc_lo, 32, v19
	s_waitcnt lgkmcnt(5)
	v_dual_cndmask_b32 v19, v2, v19 :: v_dual_add_f32 v4, v4, v13
	s_delay_alu instid0(VALU_DEP_1)
	v_lshlrev_b32_e32 v19, 2, v19
	s_waitcnt lgkmcnt(3)
	v_dual_add_f32 v5, v5, v14 :: v_dual_add_f32 v6, v6, v15
	s_waitcnt lgkmcnt(2)
	v_add_f32_e32 v8, v8, v18
	ds_bpermute_b32 v13, v19, v4
	s_waitcnt lgkmcnt(1)
	v_add_f32_e32 v3, v3, v16
	ds_bpermute_b32 v15, v19, v6
	v_add_f32_e32 v7, v7, v17
	ds_bpermute_b32 v14, v19, v5
	ds_bpermute_b32 v17, v19, v8
	s_waitcnt lgkmcnt(3)
	v_add_f32_e32 v4, v4, v13
	ds_bpermute_b32 v18, v19, v3
	s_waitcnt lgkmcnt(3)
	v_add_f32_e32 v6, v6, v15
	ds_bpermute_b32 v16, v19, v7
	v_xor_b32_e32 v19, 2, v2
	s_waitcnt lgkmcnt(2)
	v_dual_add_f32 v5, v5, v14 :: v_dual_add_f32 v14, v8, v17
	s_delay_alu instid0(VALU_DEP_2)
	v_cmp_gt_i32_e32 vcc_lo, 32, v19
	v_cndmask_b32_e32 v19, v2, v19, vcc_lo
	s_waitcnt lgkmcnt(1)
	v_add_f32_e32 v15, v3, v18
	s_waitcnt lgkmcnt(0)
	v_add_f32_e32 v13, v7, v16
	v_lshlrev_b32_e32 v19, 2, v19
	ds_bpermute_b32 v7, v19, v5
	ds_bpermute_b32 v8, v19, v6
	ds_bpermute_b32 v16, v19, v13
	s_waitcnt lgkmcnt(2)
	v_add_f32_e32 v5, v5, v7
	s_waitcnt lgkmcnt(1)
	v_add_f32_e32 v7, v6, v8
	s_waitcnt lgkmcnt(0)
	v_add_f32_e32 v8, v13, v16
	ds_bpermute_b32 v3, v19, v4
	ds_bpermute_b32 v17, v19, v14
	;; [unrolled: 1-line block ×3, first 2 shown]
	v_xor_b32_e32 v19, 1, v2
	s_delay_alu instid0(VALU_DEP_1) | instskip(SKIP_3) | instid1(VALU_DEP_2)
	v_cmp_gt_i32_e32 vcc_lo, 32, v19
	v_cndmask_b32_e32 v2, v2, v19, vcc_lo
	v_cmp_eq_u32_e32 vcc_lo, 31, v0
	s_waitcnt lgkmcnt(2)
	v_dual_add_f32 v2, v4, v3 :: v_dual_lshlrev_b32 v19, 2, v2
	s_waitcnt lgkmcnt(0)
	v_dual_add_f32 v3, v14, v17 :: v_dual_add_f32 v4, v15, v18
	ds_bpermute_b32 v15, v19, v5
	ds_bpermute_b32 v16, v19, v7
	;; [unrolled: 1-line block ×6, first 2 shown]
	s_and_b32 exec_lo, exec_lo, vcc_lo
	s_cbranch_execz .LBB87_29
; %bb.25:
	s_load_b64 s[2:3], s[0:1], 0x38
	v_cmp_eq_f32_e32 vcc_lo, 0, v11
	v_cmp_eq_f32_e64 s0, 0, v12
	s_waitcnt lgkmcnt(0)
	v_add_f32_e32 v0, v2, v6
	v_dual_add_f32 v6, v5, v15 :: v_dual_add_f32 v3, v3, v13
	v_dual_add_f32 v2, v7, v16 :: v_dual_add_f32 v5, v8, v17
	v_add_f32_e32 v4, v4, v14
	s_and_b32 s0, vcc_lo, s0
	s_delay_alu instid0(SALU_CYCLE_1) | instskip(NEXT) | instid1(SALU_CYCLE_1)
	s_and_saveexec_b32 s1, s0
	s_xor_b32 s0, exec_lo, s1
	s_cbranch_execz .LBB87_27
; %bb.26:
	v_lshl_add_u32 v7, v1, 1, v1
	v_mul_f32_e64 v11, v6, -v10
	v_mul_f32_e32 v12, v6, v9
	v_mul_f32_e64 v13, v5, -v10
	v_mul_f32_e32 v14, v5, v9
	v_ashrrev_i32_e32 v8, 31, v7
	v_fmac_f32_e32 v11, v9, v0
	v_mul_f32_e64 v5, v4, -v10
	v_dual_mul_f32 v6, v4, v9 :: v_dual_fmac_f32 v13, v9, v2
	s_delay_alu instid0(VALU_DEP_4) | instskip(NEXT) | instid1(VALU_DEP_3)
	v_lshlrev_b64 v[7:8], 3, v[7:8]
	v_dual_fmac_f32 v12, v10, v0 :: v_dual_fmac_f32 v5, v9, v3
	v_fmac_f32_e32 v14, v10, v2
	s_delay_alu instid0(VALU_DEP_4) | instskip(NEXT) | instid1(VALU_DEP_4)
	v_fmac_f32_e32 v6, v10, v3
                                        ; implicit-def: $vgpr9
                                        ; implicit-def: $vgpr10
                                        ; implicit-def: $vgpr2
                                        ; implicit-def: $vgpr3
                                        ; implicit-def: $vgpr4
	v_add_co_u32 v0, vcc_lo, s2, v7
	v_add_co_ci_u32_e32 v1, vcc_lo, s3, v8, vcc_lo
	s_clause 0x1
	global_store_b128 v[0:1], v[11:14], off
	global_store_b64 v[0:1], v[5:6], off offset:16
                                        ; implicit-def: $vgpr11
                                        ; implicit-def: $vgpr12
                                        ; implicit-def: $vgpr1
                                        ; implicit-def: $vgpr0
                                        ; implicit-def: $vgpr6
                                        ; implicit-def: $vgpr5
.LBB87_27:
	s_and_not1_saveexec_b32 s0, s0
	s_cbranch_execz .LBB87_29
; %bb.28:
	v_lshl_add_u32 v7, v1, 1, v1
	v_mul_f32_e64 v21, v5, -v10
	v_mul_f32_e64 v22, v4, -v10
	s_delay_alu instid0(VALU_DEP_3) | instskip(NEXT) | instid1(VALU_DEP_1)
	v_ashrrev_i32_e32 v8, 31, v7
	v_lshlrev_b64 v[7:8], 3, v[7:8]
	s_delay_alu instid0(VALU_DEP_1) | instskip(NEXT) | instid1(VALU_DEP_2)
	v_add_co_u32 v17, vcc_lo, s2, v7
	v_add_co_ci_u32_e32 v18, vcc_lo, s3, v8, vcc_lo
	v_mul_f32_e64 v7, v6, -v10
	v_mul_f32_e32 v6, v6, v9
	s_clause 0x1
	global_load_b128 v[13:16], v[17:18], off
	global_load_b64 v[19:20], v[17:18], off offset:16
	v_fmac_f32_e32 v7, v9, v0
	v_dual_mul_f32 v1, v4, v9 :: v_dual_fmac_f32 v6, v10, v0
	v_mul_f32_e32 v8, v5, v9
	v_fmac_f32_e32 v21, v9, v2
	s_delay_alu instid0(VALU_DEP_3) | instskip(SKIP_1) | instid1(VALU_DEP_3)
	v_fmac_f32_e32 v1, v10, v3
	s_waitcnt vmcnt(1)
	v_dual_fmac_f32 v8, v10, v2 :: v_dual_fmac_f32 v7, v11, v13
	v_fmac_f32_e32 v6, v12, v13
	s_waitcnt vmcnt(0)
	v_fmac_f32_e32 v1, v12, v19
	v_fmac_f32_e32 v21, v11, v15
	;; [unrolled: 1-line block ×3, first 2 shown]
	v_fma_f32 v5, -v12, v14, v7
	v_fmac_f32_e32 v6, v11, v14
	v_dual_fmac_f32 v22, v9, v3 :: v_dual_fmac_f32 v1, v11, v20
	v_fma_f32 v7, -v12, v16, v21
	v_fmac_f32_e32 v8, v11, v16
	s_delay_alu instid0(VALU_DEP_3) | instskip(NEXT) | instid1(VALU_DEP_1)
	v_fmac_f32_e32 v22, v11, v19
	v_fma_f32 v0, -v12, v20, v22
	s_clause 0x1
	global_store_b128 v[17:18], v[5:8], off
	global_store_b64 v[17:18], v[0:1], off offset:16
.LBB87_29:
	s_nop 0
	s_sendmsg sendmsg(MSG_DEALLOC_VGPRS)
	s_endpgm
	.section	.rodata,"a",@progbits
	.p2align	6, 0x0
	.amdhsa_kernel _ZN9rocsparseL19gebsrmvn_3xn_kernelILj128ELj4ELj32E21rocsparse_complex_numIfEEEvi20rocsparse_direction_NS_24const_host_device_scalarIT2_EEPKiS8_PKS5_SA_S6_PS5_21rocsparse_index_base_b
		.amdhsa_group_segment_fixed_size 0
		.amdhsa_private_segment_fixed_size 0
		.amdhsa_kernarg_size 72
		.amdhsa_user_sgpr_count 15
		.amdhsa_user_sgpr_dispatch_ptr 0
		.amdhsa_user_sgpr_queue_ptr 0
		.amdhsa_user_sgpr_kernarg_segment_ptr 1
		.amdhsa_user_sgpr_dispatch_id 0
		.amdhsa_user_sgpr_private_segment_size 0
		.amdhsa_wavefront_size32 1
		.amdhsa_uses_dynamic_stack 0
		.amdhsa_enable_private_segment 0
		.amdhsa_system_sgpr_workgroup_id_x 1
		.amdhsa_system_sgpr_workgroup_id_y 0
		.amdhsa_system_sgpr_workgroup_id_z 0
		.amdhsa_system_sgpr_workgroup_info 0
		.amdhsa_system_vgpr_workitem_id 0
		.amdhsa_next_free_vgpr 50
		.amdhsa_next_free_sgpr 16
		.amdhsa_reserve_vcc 1
		.amdhsa_float_round_mode_32 0
		.amdhsa_float_round_mode_16_64 0
		.amdhsa_float_denorm_mode_32 3
		.amdhsa_float_denorm_mode_16_64 3
		.amdhsa_dx10_clamp 1
		.amdhsa_ieee_mode 1
		.amdhsa_fp16_overflow 0
		.amdhsa_workgroup_processor_mode 1
		.amdhsa_memory_ordered 1
		.amdhsa_forward_progress 0
		.amdhsa_shared_vgpr_count 0
		.amdhsa_exception_fp_ieee_invalid_op 0
		.amdhsa_exception_fp_denorm_src 0
		.amdhsa_exception_fp_ieee_div_zero 0
		.amdhsa_exception_fp_ieee_overflow 0
		.amdhsa_exception_fp_ieee_underflow 0
		.amdhsa_exception_fp_ieee_inexact 0
		.amdhsa_exception_int_div_zero 0
	.end_amdhsa_kernel
	.section	.text._ZN9rocsparseL19gebsrmvn_3xn_kernelILj128ELj4ELj32E21rocsparse_complex_numIfEEEvi20rocsparse_direction_NS_24const_host_device_scalarIT2_EEPKiS8_PKS5_SA_S6_PS5_21rocsparse_index_base_b,"axG",@progbits,_ZN9rocsparseL19gebsrmvn_3xn_kernelILj128ELj4ELj32E21rocsparse_complex_numIfEEEvi20rocsparse_direction_NS_24const_host_device_scalarIT2_EEPKiS8_PKS5_SA_S6_PS5_21rocsparse_index_base_b,comdat
.Lfunc_end87:
	.size	_ZN9rocsparseL19gebsrmvn_3xn_kernelILj128ELj4ELj32E21rocsparse_complex_numIfEEEvi20rocsparse_direction_NS_24const_host_device_scalarIT2_EEPKiS8_PKS5_SA_S6_PS5_21rocsparse_index_base_b, .Lfunc_end87-_ZN9rocsparseL19gebsrmvn_3xn_kernelILj128ELj4ELj32E21rocsparse_complex_numIfEEEvi20rocsparse_direction_NS_24const_host_device_scalarIT2_EEPKiS8_PKS5_SA_S6_PS5_21rocsparse_index_base_b
                                        ; -- End function
	.section	.AMDGPU.csdata,"",@progbits
; Kernel info:
; codeLenInByte = 3116
; NumSgprs: 18
; NumVgprs: 50
; ScratchSize: 0
; MemoryBound: 0
; FloatMode: 240
; IeeeMode: 1
; LDSByteSize: 0 bytes/workgroup (compile time only)
; SGPRBlocks: 2
; VGPRBlocks: 6
; NumSGPRsForWavesPerEU: 18
; NumVGPRsForWavesPerEU: 50
; Occupancy: 16
; WaveLimiterHint : 1
; COMPUTE_PGM_RSRC2:SCRATCH_EN: 0
; COMPUTE_PGM_RSRC2:USER_SGPR: 15
; COMPUTE_PGM_RSRC2:TRAP_HANDLER: 0
; COMPUTE_PGM_RSRC2:TGID_X_EN: 1
; COMPUTE_PGM_RSRC2:TGID_Y_EN: 0
; COMPUTE_PGM_RSRC2:TGID_Z_EN: 0
; COMPUTE_PGM_RSRC2:TIDIG_COMP_CNT: 0
	.section	.text._ZN9rocsparseL19gebsrmvn_3xn_kernelILj128ELj4ELj64E21rocsparse_complex_numIfEEEvi20rocsparse_direction_NS_24const_host_device_scalarIT2_EEPKiS8_PKS5_SA_S6_PS5_21rocsparse_index_base_b,"axG",@progbits,_ZN9rocsparseL19gebsrmvn_3xn_kernelILj128ELj4ELj64E21rocsparse_complex_numIfEEEvi20rocsparse_direction_NS_24const_host_device_scalarIT2_EEPKiS8_PKS5_SA_S6_PS5_21rocsparse_index_base_b,comdat
	.globl	_ZN9rocsparseL19gebsrmvn_3xn_kernelILj128ELj4ELj64E21rocsparse_complex_numIfEEEvi20rocsparse_direction_NS_24const_host_device_scalarIT2_EEPKiS8_PKS5_SA_S6_PS5_21rocsparse_index_base_b ; -- Begin function _ZN9rocsparseL19gebsrmvn_3xn_kernelILj128ELj4ELj64E21rocsparse_complex_numIfEEEvi20rocsparse_direction_NS_24const_host_device_scalarIT2_EEPKiS8_PKS5_SA_S6_PS5_21rocsparse_index_base_b
	.p2align	8
	.type	_ZN9rocsparseL19gebsrmvn_3xn_kernelILj128ELj4ELj64E21rocsparse_complex_numIfEEEvi20rocsparse_direction_NS_24const_host_device_scalarIT2_EEPKiS8_PKS5_SA_S6_PS5_21rocsparse_index_base_b,@function
_ZN9rocsparseL19gebsrmvn_3xn_kernelILj128ELj4ELj64E21rocsparse_complex_numIfEEEvi20rocsparse_direction_NS_24const_host_device_scalarIT2_EEPKiS8_PKS5_SA_S6_PS5_21rocsparse_index_base_b: ; @_ZN9rocsparseL19gebsrmvn_3xn_kernelILj128ELj4ELj64E21rocsparse_complex_numIfEEEvi20rocsparse_direction_NS_24const_host_device_scalarIT2_EEPKiS8_PKS5_SA_S6_PS5_21rocsparse_index_base_b
; %bb.0:
	s_clause 0x2
	s_load_b64 s[12:13], s[0:1], 0x40
	s_load_b64 s[4:5], s[0:1], 0x8
	;; [unrolled: 1-line block ×3, first 2 shown]
	s_waitcnt lgkmcnt(0)
	s_bitcmp1_b32 s13, 0
	v_mov_b32_e32 v9, s4
	s_cselect_b32 s6, -1, 0
	s_delay_alu instid0(SALU_CYCLE_1)
	s_and_b32 vcc_lo, exec_lo, s6
	s_xor_b32 s6, s6, -1
	s_cbranch_vccz .LBB88_15
; %bb.1:
	v_cndmask_b32_e64 v1, 0, 1, s6
	v_mov_b32_e32 v10, s5
	s_and_not1_b32 vcc_lo, exec_lo, s6
	s_cbranch_vccz .LBB88_16
.LBB88_2:
	s_delay_alu instid0(VALU_DEP_2)
	v_cmp_ne_u32_e32 vcc_lo, 1, v1
	v_mov_b32_e32 v11, s2
	s_cbranch_vccz .LBB88_17
.LBB88_3:
	v_cmp_ne_u32_e32 vcc_lo, 1, v1
	v_mov_b32_e32 v12, s3
	s_cbranch_vccnz .LBB88_5
.LBB88_4:
	v_dual_mov_b32 v1, s2 :: v_dual_mov_b32 v2, s3
	flat_load_b32 v12, v[1:2] offset:4
.LBB88_5:
	s_waitcnt vmcnt(0) lgkmcnt(0)
	v_cmp_eq_f32_e32 vcc_lo, 0, v9
	v_cmp_eq_f32_e64 s2, 0, v10
	s_delay_alu instid0(VALU_DEP_1)
	s_and_b32 s4, vcc_lo, s2
	s_mov_b32 s2, -1
	s_and_saveexec_b32 s3, s4
; %bb.6:
	v_cmp_neq_f32_e32 vcc_lo, 1.0, v11
	v_cmp_neq_f32_e64 s2, 0, v12
	s_delay_alu instid0(VALU_DEP_1) | instskip(NEXT) | instid1(SALU_CYCLE_1)
	s_or_b32 s2, vcc_lo, s2
	s_or_not1_b32 s2, s2, exec_lo
; %bb.7:
	s_or_b32 exec_lo, exec_lo, s3
	s_and_saveexec_b32 s3, s2
	s_cbranch_execz .LBB88_29
; %bb.8:
	s_load_b64 s[2:3], s[0:1], 0x0
	v_lshrrev_b32_e32 v1, 6, v0
	s_delay_alu instid0(VALU_DEP_1) | instskip(SKIP_1) | instid1(VALU_DEP_1)
	v_lshl_or_b32 v1, s15, 1, v1
	s_waitcnt lgkmcnt(0)
	v_cmp_gt_i32_e32 vcc_lo, s2, v1
	s_and_b32 exec_lo, exec_lo, vcc_lo
	s_cbranch_execz .LBB88_29
; %bb.9:
	s_load_b256 s[4:11], s[0:1], 0x10
	v_ashrrev_i32_e32 v2, 31, v1
	v_and_b32_e32 v0, 63, v0
	s_cmp_lg_u32 s3, 0
	s_delay_alu instid0(VALU_DEP_2) | instskip(SKIP_1) | instid1(VALU_DEP_1)
	v_lshlrev_b64 v[2:3], 2, v[1:2]
	s_waitcnt lgkmcnt(0)
	v_add_co_u32 v2, vcc_lo, s4, v2
	s_delay_alu instid0(VALU_DEP_2) | instskip(SKIP_4) | instid1(VALU_DEP_2)
	v_add_co_ci_u32_e32 v3, vcc_lo, s5, v3, vcc_lo
	global_load_b64 v[2:3], v[2:3], off
	s_waitcnt vmcnt(0)
	v_subrev_nc_u32_e32 v2, s12, v2
	v_subrev_nc_u32_e32 v18, s12, v3
	v_add_nc_u32_e32 v2, v2, v0
	s_delay_alu instid0(VALU_DEP_1)
	v_cmp_lt_i32_e64 s2, v2, v18
	s_cbranch_scc0 .LBB88_18
; %bb.10:
	v_dual_mov_b32 v13, 0 :: v_dual_mov_b32 v16, 0
	v_dual_mov_b32 v17, 0 :: v_dual_mov_b32 v14, 0
	v_mov_b32_e32 v19, 0
	v_mov_b32_e32 v15, 0
	s_mov_b32 s4, 0
	s_and_saveexec_b32 s5, s2
	s_cbranch_execz .LBB88_14
; %bb.11:
	v_mad_u64_u32 v[3:4], null, v2, 12, 11
	v_dual_mov_b32 v6, 0 :: v_dual_mov_b32 v7, v2
	v_dual_mov_b32 v13, 0 :: v_dual_mov_b32 v16, 0
	;; [unrolled: 1-line block ×3, first 2 shown]
	v_mov_b32_e32 v19, 0
	v_mov_b32_e32 v15, 0
	s_mov_b32 s13, 0
.LBB88_12:                              ; =>This Inner Loop Header: Depth=1
	v_ashrrev_i32_e32 v8, 31, v7
	s_delay_alu instid0(VALU_DEP_1) | instskip(NEXT) | instid1(VALU_DEP_1)
	v_lshlrev_b64 v[4:5], 2, v[7:8]
	v_add_co_u32 v4, vcc_lo, s6, v4
	s_delay_alu instid0(VALU_DEP_2) | instskip(SKIP_2) | instid1(VALU_DEP_1)
	v_add_co_ci_u32_e32 v5, vcc_lo, s7, v5, vcc_lo
	global_load_b32 v8, v[4:5], off
	v_dual_mov_b32 v4, v6 :: v_dual_add_nc_u32 v5, -11, v3
	v_lshlrev_b64 v[20:21], 3, v[5:6]
	v_add_nc_u32_e32 v5, -7, v3
	s_delay_alu instid0(VALU_DEP_3) | instskip(NEXT) | instid1(VALU_DEP_2)
	v_lshlrev_b64 v[22:23], 3, v[3:4]
	v_lshlrev_b64 v[24:25], 3, v[5:6]
	s_delay_alu instid0(VALU_DEP_4) | instskip(SKIP_1) | instid1(VALU_DEP_4)
	v_add_co_u32 v26, vcc_lo, s8, v20
	v_add_co_ci_u32_e32 v27, vcc_lo, s9, v21, vcc_lo
	v_add_co_u32 v36, vcc_lo, s8, v22
	v_add_co_ci_u32_e32 v37, vcc_lo, s9, v23, vcc_lo
	;; [unrolled: 2-line block ×3, first 2 shown]
	s_clause 0x1
	global_load_b128 v[20:23], v[26:27], off offset:16
	global_load_b128 v[24:27], v[26:27], off
	v_add_nc_u32_e32 v5, -6, v3
	global_load_b64 v[38:39], v[32:33], off
	v_lshlrev_b64 v[30:31], 3, v[5:6]
	v_add_nc_u32_e32 v5, -5, v3
	s_delay_alu instid0(VALU_DEP_2) | instskip(NEXT) | instid1(VALU_DEP_2)
	v_add_co_u32 v30, vcc_lo, s8, v30
	v_lshlrev_b64 v[34:35], 3, v[5:6]
	s_delay_alu instid0(VALU_DEP_4)
	v_add_co_ci_u32_e32 v31, vcc_lo, s9, v31, vcc_lo
	global_load_b64 v[42:43], v[30:31], off
	v_add_co_u32 v32, vcc_lo, s8, v34
	v_add_co_ci_u32_e32 v33, vcc_lo, s9, v35, vcc_lo
	global_load_b64 v[46:47], v[32:33], off
	s_waitcnt vmcnt(5)
	v_subrev_nc_u32_e32 v4, s12, v8
	s_delay_alu instid0(VALU_DEP_1) | instskip(NEXT) | instid1(VALU_DEP_1)
	v_dual_mov_b32 v29, v6 :: v_dual_lshlrev_b32 v28, 2, v4
	v_lshlrev_b64 v[28:29], 3, v[28:29]
	s_delay_alu instid0(VALU_DEP_1) | instskip(NEXT) | instid1(VALU_DEP_1)
	v_add_co_u32 v32, s3, s10, v28
	v_add_co_ci_u32_e64 v33, s3, s11, v29, s3
	s_clause 0x1
	global_load_b128 v[28:31], v[32:33], off
	global_load_b128 v[32:35], v[32:33], off offset:16
	s_waitcnt vmcnt(1)
	v_fmac_f32_e32 v16, v24, v28
	v_fmac_f32_e32 v19, v26, v28
	;; [unrolled: 1-line block ×3, first 2 shown]
	s_delay_alu instid0(VALU_DEP_3) | instskip(SKIP_1) | instid1(VALU_DEP_4)
	v_fma_f32 v8, -v25, v29, v16
	v_add_nc_u32_e32 v5, -4, v3
	v_fma_f32 v16, -v27, v29, v19
	s_delay_alu instid0(VALU_DEP_4) | instskip(NEXT) | instid1(VALU_DEP_4)
	v_fmac_f32_e32 v14, v20, v29
	v_fmac_f32_e32 v8, v22, v30
	s_delay_alu instid0(VALU_DEP_4) | instskip(NEXT) | instid1(VALU_DEP_4)
	v_lshlrev_b64 v[40:41], 3, v[5:6]
	v_dual_fmac_f32 v16, v38, v30 :: v_dual_add_nc_u32 v5, -3, v3
	s_delay_alu instid0(VALU_DEP_4) | instskip(NEXT) | instid1(VALU_DEP_4)
	v_fmac_f32_e32 v14, v43, v30
	v_fma_f32 v8, -v23, v31, v8
	v_fmac_f32_e32 v13, v25, v28
	s_delay_alu instid0(VALU_DEP_4) | instskip(SKIP_3) | instid1(VALU_DEP_3)
	v_lshlrev_b64 v[44:45], 3, v[5:6]
	v_add_nc_u32_e32 v5, -2, v3
	v_add_co_u32 v40, vcc_lo, s8, v40
	v_add_co_ci_u32_e32 v41, vcc_lo, s9, v41, vcc_lo
	v_lshlrev_b64 v[48:49], 3, v[5:6]
	s_waitcnt vmcnt(0)
	v_dual_fmac_f32 v8, v46, v32 :: v_dual_add_nc_u32 v5, -1, v3
	v_add_co_u32 v44, vcc_lo, s8, v44
	v_add_co_ci_u32_e32 v45, vcc_lo, s9, v45, vcc_lo
	s_delay_alu instid0(VALU_DEP_3)
	v_lshlrev_b64 v[4:5], 3, v[5:6]
	global_load_b64 v[40:41], v[40:41], off
	v_add_co_u32 v48, vcc_lo, s8, v48
	global_load_b64 v[44:45], v[44:45], off
	v_add_co_ci_u32_e32 v49, vcc_lo, s9, v49, vcc_lo
	v_add_co_u32 v4, vcc_lo, s8, v4
	v_add_co_ci_u32_e32 v5, vcc_lo, s9, v5, vcc_lo
	s_clause 0x2
	global_load_b64 v[48:49], v[48:49], off
	global_load_b64 v[4:5], v[4:5], off
	global_load_b64 v[36:37], v[36:37], off
	v_fmac_f32_e32 v14, v42, v31
	v_add_nc_u32_e32 v3, 0x300, v3
	v_fma_f32 v8, -v47, v33, v8
	v_fmac_f32_e32 v15, v27, v28
	v_fmac_f32_e32 v13, v24, v29
	v_fma_f32 v16, -v39, v31, v16
	v_add_nc_u32_e32 v7, 64, v7
	s_delay_alu instid0(VALU_DEP_3) | instskip(NEXT) | instid1(VALU_DEP_1)
	v_fmac_f32_e32 v13, v23, v30
	v_fmac_f32_e32 v13, v22, v31
	s_delay_alu instid0(VALU_DEP_1) | instskip(SKIP_1) | instid1(VALU_DEP_1)
	v_fmac_f32_e32 v13, v47, v32
	s_waitcnt vmcnt(4)
	v_dual_fmac_f32 v13, v46, v33 :: v_dual_fmac_f32 v16, v40, v32
	v_cmp_ge_i32_e32 vcc_lo, v7, v18
	s_waitcnt vmcnt(3)
	v_fmac_f32_e32 v14, v45, v32
	s_delay_alu instid0(VALU_DEP_3) | instskip(SKIP_1) | instid1(VALU_DEP_2)
	v_fma_f32 v19, -v41, v33, v16
	s_or_b32 s13, vcc_lo, s13
	v_fmac_f32_e32 v14, v44, v33
	v_fmac_f32_e32 v17, v20, v28
	s_waitcnt vmcnt(2)
	v_fmac_f32_e32 v8, v48, v34
	v_fmac_f32_e32 v13, v49, v34
	s_waitcnt vmcnt(1)
	v_fmac_f32_e32 v19, v4, v34
	s_waitcnt vmcnt(0)
	v_dual_fmac_f32 v14, v37, v34 :: v_dual_fmac_f32 v15, v26, v29
	v_fma_f32 v17, -v21, v29, v17
	v_fma_f32 v16, -v49, v35, v8
	v_fmac_f32_e32 v13, v48, v35
	s_delay_alu instid0(VALU_DEP_4) | instskip(NEXT) | instid1(VALU_DEP_4)
	v_dual_fmac_f32 v14, v36, v35 :: v_dual_fmac_f32 v15, v39, v30
	v_fmac_f32_e32 v17, v42, v30
	v_fma_f32 v19, -v5, v35, v19
	s_delay_alu instid0(VALU_DEP_3) | instskip(NEXT) | instid1(VALU_DEP_3)
	v_fmac_f32_e32 v15, v38, v31
	v_fma_f32 v17, -v43, v31, v17
	s_delay_alu instid0(VALU_DEP_2) | instskip(NEXT) | instid1(VALU_DEP_2)
	v_fmac_f32_e32 v15, v41, v32
	v_fmac_f32_e32 v17, v44, v32
	s_delay_alu instid0(VALU_DEP_2) | instskip(NEXT) | instid1(VALU_DEP_2)
	v_fmac_f32_e32 v15, v40, v33
	v_fma_f32 v17, -v45, v33, v17
	s_delay_alu instid0(VALU_DEP_2) | instskip(NEXT) | instid1(VALU_DEP_2)
	v_fmac_f32_e32 v15, v5, v34
	v_fmac_f32_e32 v17, v36, v34
	s_delay_alu instid0(VALU_DEP_2) | instskip(NEXT) | instid1(VALU_DEP_2)
	v_fmac_f32_e32 v15, v4, v35
	v_fma_f32 v17, -v37, v35, v17
	s_and_not1_b32 exec_lo, exec_lo, s13
	s_cbranch_execnz .LBB88_12
; %bb.13:
	s_or_b32 exec_lo, exec_lo, s13
.LBB88_14:
	s_delay_alu instid0(SALU_CYCLE_1) | instskip(NEXT) | instid1(SALU_CYCLE_1)
	s_or_b32 exec_lo, exec_lo, s5
	s_and_not1_b32 vcc_lo, exec_lo, s4
	s_cbranch_vccz .LBB88_19
	s_branch .LBB88_24
.LBB88_15:
	v_dual_mov_b32 v1, s4 :: v_dual_mov_b32 v2, s5
	flat_load_b32 v9, v[1:2]
	v_cndmask_b32_e64 v1, 0, 1, s6
	v_mov_b32_e32 v10, s5
	s_and_not1_b32 vcc_lo, exec_lo, s6
	s_cbranch_vccnz .LBB88_2
.LBB88_16:
	v_dual_mov_b32 v2, s4 :: v_dual_mov_b32 v3, s5
	flat_load_b32 v10, v[2:3] offset:4
	v_cmp_ne_u32_e32 vcc_lo, 1, v1
	v_mov_b32_e32 v11, s2
	s_cbranch_vccnz .LBB88_3
.LBB88_17:
	v_dual_mov_b32 v2, s2 :: v_dual_mov_b32 v3, s3
	flat_load_b32 v11, v[2:3]
	v_cmp_ne_u32_e32 vcc_lo, 1, v1
	v_mov_b32_e32 v12, s3
	s_cbranch_vccz .LBB88_4
	s_branch .LBB88_5
.LBB88_18:
                                        ; implicit-def: $vgpr13
                                        ; implicit-def: $vgpr16
                                        ; implicit-def: $vgpr17
                                        ; implicit-def: $vgpr14
                                        ; implicit-def: $vgpr19
                                        ; implicit-def: $vgpr15
.LBB88_19:
	v_dual_mov_b32 v13, 0 :: v_dual_mov_b32 v16, 0
	v_dual_mov_b32 v17, 0 :: v_dual_mov_b32 v14, 0
	v_mov_b32_e32 v19, 0
	v_mov_b32_e32 v15, 0
	s_and_saveexec_b32 s3, s2
	s_cbranch_execz .LBB88_23
; %bb.20:
	v_mad_u64_u32 v[4:5], null, v2, 12, 11
	v_dual_mov_b32 v7, 0 :: v_dual_mov_b32 v16, 0
	v_dual_mov_b32 v13, 0 :: v_dual_mov_b32 v14, 0
	v_mov_b32_e32 v17, 0
	v_mov_b32_e32 v19, 0
	v_mov_b32_e32 v15, 0
	s_mov_b32 s2, 0
.LBB88_21:                              ; =>This Inner Loop Header: Depth=1
	v_ashrrev_i32_e32 v3, 31, v2
	v_dual_mov_b32 v21, v7 :: v_dual_add_nc_u32 v20, -7, v4
	v_dual_mov_b32 v23, v7 :: v_dual_add_nc_u32 v22, -3, v4
	s_delay_alu instid0(VALU_DEP_3) | instskip(SKIP_1) | instid1(VALU_DEP_4)
	v_lshlrev_b64 v[5:6], 2, v[2:3]
	v_mov_b32_e32 v29, v7
	v_lshlrev_b64 v[20:21], 3, v[20:21]
	s_delay_alu instid0(VALU_DEP_4) | instskip(NEXT) | instid1(VALU_DEP_4)
	v_lshlrev_b64 v[22:23], 3, v[22:23]
	v_add_co_u32 v5, vcc_lo, s6, v5
	v_add_co_ci_u32_e32 v6, vcc_lo, s7, v6, vcc_lo
	global_load_b32 v3, v[5:6], off
	v_dual_mov_b32 v5, v7 :: v_dual_add_nc_u32 v6, -11, v4
	s_delay_alu instid0(VALU_DEP_1) | instskip(SKIP_1) | instid1(VALU_DEP_3)
	v_lshlrev_b64 v[24:25], 3, v[6:7]
	v_add_nc_u32_e32 v6, -6, v4
	v_lshlrev_b64 v[26:27], 3, v[4:5]
	s_delay_alu instid0(VALU_DEP_2) | instskip(NEXT) | instid1(VALU_DEP_4)
	v_lshlrev_b64 v[30:31], 3, v[6:7]
	v_add_co_u32 v24, vcc_lo, s8, v24
	v_add_co_ci_u32_e32 v25, vcc_lo, s9, v25, vcc_lo
	v_add_co_u32 v32, vcc_lo, s8, v20
	v_add_co_ci_u32_e32 v33, vcc_lo, s9, v21, vcc_lo
	;; [unrolled: 2-line block ×4, first 2 shown]
	s_clause 0x1
	global_load_b128 v[20:23], v[24:25], off offset:16
	global_load_b128 v[24:27], v[24:25], off
	v_add_nc_u32_e32 v6, -2, v4
	s_clause 0x1
	global_load_b64 v[40:41], v[32:33], off
	global_load_b64 v[42:43], v[34:35], off
	v_add_co_u32 v30, vcc_lo, s8, v30
	v_add_co_ci_u32_e32 v31, vcc_lo, s9, v31, vcc_lo
	v_lshlrev_b64 v[38:39], 3, v[6:7]
	v_add_nc_u32_e32 v6, -5, v4
	global_load_b64 v[46:47], v[30:31], off
	v_lshlrev_b64 v[44:45], 3, v[6:7]
	v_add_nc_u32_e32 v6, -1, v4
	v_add_co_u32 v38, vcc_lo, s8, v38
	v_add_co_ci_u32_e32 v39, vcc_lo, s9, v39, vcc_lo
	s_delay_alu instid0(VALU_DEP_3) | instskip(SKIP_2) | instid1(VALU_DEP_1)
	v_lshlrev_b64 v[48:49], 3, v[6:7]
	s_waitcnt vmcnt(5)
	v_subrev_nc_u32_e32 v3, s12, v3
	v_lshlrev_b32_e32 v28, 2, v3
	s_delay_alu instid0(VALU_DEP_1) | instskip(NEXT) | instid1(VALU_DEP_1)
	v_lshlrev_b64 v[5:6], 3, v[28:29]
	v_add_co_u32 v5, vcc_lo, s10, v5
	s_delay_alu instid0(VALU_DEP_2)
	v_add_co_ci_u32_e32 v6, vcc_lo, s11, v6, vcc_lo
	v_add_co_u32 v44, vcc_lo, s8, v44
	v_add_co_ci_u32_e32 v45, vcc_lo, s9, v45, vcc_lo
	s_clause 0x1
	global_load_b128 v[28:31], v[5:6], off
	global_load_b128 v[32:35], v[5:6], off offset:16
	global_load_b64 v[38:39], v[38:39], off
	v_add_co_u32 v48, vcc_lo, s8, v48
	v_add_co_ci_u32_e32 v49, vcc_lo, s9, v49, vcc_lo
	s_clause 0x1
	global_load_b64 v[44:45], v[44:45], off
	global_load_b64 v[48:49], v[48:49], off
	s_waitcnt vmcnt(4)
	v_dual_fmac_f32 v13, v25, v28 :: v_dual_add_nc_u32 v2, 64, v2
	v_fmac_f32_e32 v14, v43, v28
	v_fmac_f32_e32 v19, v40, v28
	s_delay_alu instid0(VALU_DEP_3) | instskip(NEXT) | instid1(VALU_DEP_3)
	v_fmac_f32_e32 v13, v24, v29
	v_fmac_f32_e32 v14, v42, v29
	s_delay_alu instid0(VALU_DEP_3)
	v_fma_f32 v8, -v41, v29, v19
	v_fmac_f32_e32 v15, v41, v28
	v_fmac_f32_e32 v17, v42, v28
	;; [unrolled: 1-line block ×3, first 2 shown]
	s_waitcnt vmcnt(2)
	v_fmac_f32_e32 v14, v39, v30
	v_dual_fmac_f32 v8, v46, v30 :: v_dual_fmac_f32 v15, v40, v29
	v_add_nc_u32_e32 v6, -4, v4
	v_dual_fmac_f32 v13, v26, v31 :: v_dual_add_nc_u32 v4, 0x300, v4
	s_delay_alu instid0(VALU_DEP_3) | instskip(NEXT) | instid1(VALU_DEP_4)
	v_fma_f32 v8, -v47, v31, v8
	v_fmac_f32_e32 v15, v47, v30
	s_delay_alu instid0(VALU_DEP_4) | instskip(SKIP_2) | instid1(VALU_DEP_4)
	v_lshlrev_b64 v[5:6], 3, v[6:7]
	v_fmac_f32_e32 v16, v24, v28
	v_dual_fmac_f32 v14, v38, v31 :: v_dual_fmac_f32 v13, v21, v32
	v_fmac_f32_e32 v15, v46, v31
	s_delay_alu instid0(VALU_DEP_4)
	v_add_co_u32 v5, vcc_lo, s8, v5
	v_add_co_ci_u32_e32 v6, vcc_lo, s9, v6, vcc_lo
	s_clause 0x1
	global_load_b64 v[5:6], v[5:6], off
	global_load_b64 v[36:37], v[36:37], off
	v_fma_f32 v3, -v25, v29, v16
	v_fma_f32 v16, -v43, v29, v17
	s_waitcnt vmcnt(2)
	v_fmac_f32_e32 v14, v49, v32
	v_fmac_f32_e32 v15, v45, v32
	;; [unrolled: 1-line block ×4, first 2 shown]
	v_cmp_ge_i32_e32 vcc_lo, v2, v18
	v_fmac_f32_e32 v14, v48, v33
	v_fmac_f32_e32 v15, v44, v33
	;; [unrolled: 1-line block ×3, first 2 shown]
	v_fma_f32 v3, -v27, v31, v3
	v_fmac_f32_e32 v16, v38, v30
	s_or_b32 s2, vcc_lo, s2
	s_delay_alu instid0(VALU_DEP_3) | instskip(NEXT) | instid1(VALU_DEP_3)
	v_fmac_f32_e32 v13, v22, v35
	v_fmac_f32_e32 v3, v20, v32
	s_delay_alu instid0(VALU_DEP_3) | instskip(NEXT) | instid1(VALU_DEP_2)
	v_fma_f32 v16, -v39, v31, v16
	v_fma_f32 v3, -v21, v33, v3
	v_fmac_f32_e32 v8, v44, v32
	s_delay_alu instid0(VALU_DEP_2) | instskip(NEXT) | instid1(VALU_DEP_2)
	v_dual_fmac_f32 v16, v48, v32 :: v_dual_fmac_f32 v3, v22, v34
	v_fma_f32 v8, -v45, v33, v8
	s_delay_alu instid0(VALU_DEP_2) | instskip(NEXT) | instid1(VALU_DEP_3)
	v_fma_f32 v17, -v49, v33, v16
	v_fma_f32 v16, -v23, v35, v3
	s_waitcnt vmcnt(1)
	s_delay_alu instid0(VALU_DEP_3)
	v_fmac_f32_e32 v8, v5, v34
	s_waitcnt vmcnt(0)
	v_fmac_f32_e32 v17, v36, v34
	v_fmac_f32_e32 v14, v37, v34
	;; [unrolled: 1-line block ×3, first 2 shown]
	v_fma_f32 v19, -v6, v35, v8
	s_delay_alu instid0(VALU_DEP_4) | instskip(NEXT) | instid1(VALU_DEP_4)
	v_fma_f32 v17, -v37, v35, v17
	v_fmac_f32_e32 v14, v36, v35
	s_delay_alu instid0(VALU_DEP_4)
	v_fmac_f32_e32 v15, v5, v35
	s_and_not1_b32 exec_lo, exec_lo, s2
	s_cbranch_execnz .LBB88_21
; %bb.22:
	s_or_b32 exec_lo, exec_lo, s2
.LBB88_23:
	s_delay_alu instid0(SALU_CYCLE_1)
	s_or_b32 exec_lo, exec_lo, s3
.LBB88_24:
	v_mbcnt_lo_u32_b32 v2, -1, 0
	s_delay_alu instid0(VALU_DEP_1) | instskip(SKIP_1) | instid1(VALU_DEP_2)
	v_or_b32_e32 v3, 32, v2
	v_xor_b32_e32 v18, 16, v2
	v_cmp_gt_i32_e32 vcc_lo, 32, v3
	v_cndmask_b32_e32 v3, v2, v3, vcc_lo
	s_delay_alu instid0(VALU_DEP_3) | instskip(SKIP_1) | instid1(VALU_DEP_1)
	v_cmp_gt_i32_e32 vcc_lo, 32, v18
	v_cndmask_b32_e32 v18, v2, v18, vcc_lo
	v_lshlrev_b32_e32 v18, 2, v18
	s_delay_alu instid0(VALU_DEP_4)
	v_lshlrev_b32_e32 v3, 2, v3
	ds_bpermute_b32 v4, v3, v16
	s_waitcnt lgkmcnt(0)
	v_add_f32_e32 v4, v16, v4
	ds_bpermute_b32 v5, v3, v13
	ds_bpermute_b32 v6, v3, v19
	ds_bpermute_b32 v7, v3, v15
	ds_bpermute_b32 v8, v3, v17
	ds_bpermute_b32 v3, v3, v14
	s_waitcnt lgkmcnt(3)
	v_dual_add_f32 v5, v13, v5 :: v_dual_add_f32 v6, v19, v6
	s_waitcnt lgkmcnt(1)
	v_dual_add_f32 v7, v15, v7 :: v_dual_add_f32 v8, v17, v8
	s_waitcnt lgkmcnt(0)
	v_add_f32_e32 v3, v14, v3
	ds_bpermute_b32 v13, v18, v4
	ds_bpermute_b32 v14, v18, v5
	;; [unrolled: 1-line block ×4, first 2 shown]
	v_xor_b32_e32 v19, 8, v2
	ds_bpermute_b32 v16, v18, v7
	ds_bpermute_b32 v18, v18, v3
	v_cmp_gt_i32_e32 vcc_lo, 32, v19
	s_waitcnt lgkmcnt(5)
	v_dual_cndmask_b32 v19, v2, v19 :: v_dual_add_f32 v4, v4, v13
	s_delay_alu instid0(VALU_DEP_1)
	v_lshlrev_b32_e32 v19, 2, v19
	s_waitcnt lgkmcnt(3)
	v_dual_add_f32 v5, v5, v14 :: v_dual_add_f32 v6, v6, v15
	s_waitcnt lgkmcnt(2)
	v_add_f32_e32 v8, v8, v17
	ds_bpermute_b32 v13, v19, v4
	s_waitcnt lgkmcnt(2)
	v_add_f32_e32 v7, v7, v16
	ds_bpermute_b32 v15, v19, v6
	;; [unrolled: 3-line block ×3, first 2 shown]
	ds_bpermute_b32 v14, v19, v5
	s_waitcnt lgkmcnt(3)
	v_add_f32_e32 v4, v4, v13
	ds_bpermute_b32 v16, v19, v7
	s_waitcnt lgkmcnt(3)
	v_add_f32_e32 v6, v6, v15
	ds_bpermute_b32 v18, v19, v3
	v_xor_b32_e32 v19, 4, v2
	s_waitcnt lgkmcnt(3)
	v_add_f32_e32 v8, v8, v17
	s_delay_alu instid0(VALU_DEP_2) | instskip(SKIP_1) | instid1(VALU_DEP_1)
	v_cmp_gt_i32_e32 vcc_lo, 32, v19
	v_cndmask_b32_e32 v19, v2, v19, vcc_lo
	v_lshlrev_b32_e32 v19, 2, v19
	s_waitcnt lgkmcnt(0)
	v_add_f32_e32 v3, v3, v18
	ds_bpermute_b32 v13, v19, v4
	s_waitcnt lgkmcnt(0)
	v_add_f32_e32 v4, v4, v13
	ds_bpermute_b32 v15, v19, v6
	v_add_f32_e32 v5, v5, v14
	ds_bpermute_b32 v17, v19, v8
	;; [unrolled: 2-line block ×3, first 2 shown]
	s_waitcnt lgkmcnt(2)
	v_add_f32_e32 v6, v6, v15
	ds_bpermute_b32 v14, v19, v5
	s_waitcnt lgkmcnt(1)
	v_add_f32_e32 v15, v3, v18
	s_waitcnt lgkmcnt(0)
	v_dual_add_f32 v5, v5, v14 :: v_dual_add_f32 v14, v8, v17
	ds_bpermute_b32 v16, v19, v7
	v_xor_b32_e32 v19, 2, v2
	s_delay_alu instid0(VALU_DEP_1) | instskip(SKIP_3) | instid1(VALU_DEP_1)
	v_cmp_gt_i32_e32 vcc_lo, 32, v19
	s_waitcnt lgkmcnt(0)
	v_add_f32_e32 v13, v7, v16
	v_cndmask_b32_e32 v19, v2, v19, vcc_lo
	v_lshlrev_b32_e32 v19, 2, v19
	ds_bpermute_b32 v3, v19, v4
	ds_bpermute_b32 v7, v19, v5
	;; [unrolled: 1-line block ×6, first 2 shown]
	v_xor_b32_e32 v19, 1, v2
	s_delay_alu instid0(VALU_DEP_1) | instskip(SKIP_3) | instid1(VALU_DEP_2)
	v_cmp_gt_i32_e32 vcc_lo, 32, v19
	v_cndmask_b32_e32 v2, v2, v19, vcc_lo
	v_cmp_eq_u32_e32 vcc_lo, 63, v0
	s_waitcnt lgkmcnt(5)
	v_dual_add_f32 v2, v4, v3 :: v_dual_lshlrev_b32 v19, 2, v2
	s_waitcnt lgkmcnt(4)
	v_add_f32_e32 v5, v5, v7
	s_waitcnt lgkmcnt(0)
	v_dual_add_f32 v7, v6, v8 :: v_dual_add_f32 v4, v15, v18
	v_dual_add_f32 v8, v13, v16 :: v_dual_add_f32 v3, v14, v17
	ds_bpermute_b32 v6, v19, v2
	ds_bpermute_b32 v15, v19, v5
	;; [unrolled: 1-line block ×6, first 2 shown]
	s_and_b32 exec_lo, exec_lo, vcc_lo
	s_cbranch_execz .LBB88_29
; %bb.25:
	s_load_b64 s[2:3], s[0:1], 0x38
	v_cmp_eq_f32_e32 vcc_lo, 0, v11
	v_cmp_eq_f32_e64 s0, 0, v12
	s_waitcnt lgkmcnt(0)
	v_add_f32_e32 v0, v2, v6
	v_dual_add_f32 v6, v5, v15 :: v_dual_add_f32 v3, v3, v13
	v_dual_add_f32 v2, v7, v16 :: v_dual_add_f32 v5, v8, v17
	v_add_f32_e32 v4, v4, v14
	s_and_b32 s0, vcc_lo, s0
	s_delay_alu instid0(SALU_CYCLE_1) | instskip(NEXT) | instid1(SALU_CYCLE_1)
	s_and_saveexec_b32 s1, s0
	s_xor_b32 s0, exec_lo, s1
	s_cbranch_execz .LBB88_27
; %bb.26:
	v_lshl_add_u32 v7, v1, 1, v1
	v_mul_f32_e64 v11, v6, -v10
	v_mul_f32_e32 v12, v6, v9
	v_mul_f32_e64 v13, v5, -v10
	v_mul_f32_e32 v14, v5, v9
	v_ashrrev_i32_e32 v8, 31, v7
	v_fmac_f32_e32 v11, v9, v0
	v_mul_f32_e64 v5, v4, -v10
	v_dual_mul_f32 v6, v4, v9 :: v_dual_fmac_f32 v13, v9, v2
	s_delay_alu instid0(VALU_DEP_4) | instskip(NEXT) | instid1(VALU_DEP_3)
	v_lshlrev_b64 v[7:8], 3, v[7:8]
	v_dual_fmac_f32 v12, v10, v0 :: v_dual_fmac_f32 v5, v9, v3
	v_fmac_f32_e32 v14, v10, v2
	s_delay_alu instid0(VALU_DEP_4) | instskip(NEXT) | instid1(VALU_DEP_4)
	v_fmac_f32_e32 v6, v10, v3
                                        ; implicit-def: $vgpr9
                                        ; implicit-def: $vgpr10
                                        ; implicit-def: $vgpr2
                                        ; implicit-def: $vgpr3
                                        ; implicit-def: $vgpr4
	v_add_co_u32 v0, vcc_lo, s2, v7
	v_add_co_ci_u32_e32 v1, vcc_lo, s3, v8, vcc_lo
	s_clause 0x1
	global_store_b128 v[0:1], v[11:14], off
	global_store_b64 v[0:1], v[5:6], off offset:16
                                        ; implicit-def: $vgpr11
                                        ; implicit-def: $vgpr12
                                        ; implicit-def: $vgpr1
                                        ; implicit-def: $vgpr0
                                        ; implicit-def: $vgpr6
                                        ; implicit-def: $vgpr5
.LBB88_27:
	s_and_not1_saveexec_b32 s0, s0
	s_cbranch_execz .LBB88_29
; %bb.28:
	v_lshl_add_u32 v7, v1, 1, v1
	v_mul_f32_e64 v21, v5, -v10
	v_mul_f32_e64 v22, v4, -v10
	s_delay_alu instid0(VALU_DEP_3) | instskip(NEXT) | instid1(VALU_DEP_1)
	v_ashrrev_i32_e32 v8, 31, v7
	v_lshlrev_b64 v[7:8], 3, v[7:8]
	s_delay_alu instid0(VALU_DEP_1) | instskip(NEXT) | instid1(VALU_DEP_2)
	v_add_co_u32 v17, vcc_lo, s2, v7
	v_add_co_ci_u32_e32 v18, vcc_lo, s3, v8, vcc_lo
	v_mul_f32_e64 v7, v6, -v10
	v_mul_f32_e32 v6, v6, v9
	s_clause 0x1
	global_load_b128 v[13:16], v[17:18], off
	global_load_b64 v[19:20], v[17:18], off offset:16
	v_fmac_f32_e32 v7, v9, v0
	v_dual_mul_f32 v1, v4, v9 :: v_dual_fmac_f32 v6, v10, v0
	v_mul_f32_e32 v8, v5, v9
	v_fmac_f32_e32 v21, v9, v2
	s_delay_alu instid0(VALU_DEP_3) | instskip(SKIP_1) | instid1(VALU_DEP_3)
	v_fmac_f32_e32 v1, v10, v3
	s_waitcnt vmcnt(1)
	v_dual_fmac_f32 v8, v10, v2 :: v_dual_fmac_f32 v7, v11, v13
	v_fmac_f32_e32 v6, v12, v13
	s_waitcnt vmcnt(0)
	v_fmac_f32_e32 v1, v12, v19
	v_fmac_f32_e32 v21, v11, v15
	;; [unrolled: 1-line block ×3, first 2 shown]
	v_fma_f32 v5, -v12, v14, v7
	v_fmac_f32_e32 v6, v11, v14
	v_dual_fmac_f32 v22, v9, v3 :: v_dual_fmac_f32 v1, v11, v20
	v_fma_f32 v7, -v12, v16, v21
	v_fmac_f32_e32 v8, v11, v16
	s_delay_alu instid0(VALU_DEP_3) | instskip(NEXT) | instid1(VALU_DEP_1)
	v_fmac_f32_e32 v22, v11, v19
	v_fma_f32 v0, -v12, v20, v22
	s_clause 0x1
	global_store_b128 v[17:18], v[5:8], off
	global_store_b64 v[17:18], v[0:1], off offset:16
.LBB88_29:
	s_nop 0
	s_sendmsg sendmsg(MSG_DEALLOC_VGPRS)
	s_endpgm
	.section	.rodata,"a",@progbits
	.p2align	6, 0x0
	.amdhsa_kernel _ZN9rocsparseL19gebsrmvn_3xn_kernelILj128ELj4ELj64E21rocsparse_complex_numIfEEEvi20rocsparse_direction_NS_24const_host_device_scalarIT2_EEPKiS8_PKS5_SA_S6_PS5_21rocsparse_index_base_b
		.amdhsa_group_segment_fixed_size 0
		.amdhsa_private_segment_fixed_size 0
		.amdhsa_kernarg_size 72
		.amdhsa_user_sgpr_count 15
		.amdhsa_user_sgpr_dispatch_ptr 0
		.amdhsa_user_sgpr_queue_ptr 0
		.amdhsa_user_sgpr_kernarg_segment_ptr 1
		.amdhsa_user_sgpr_dispatch_id 0
		.amdhsa_user_sgpr_private_segment_size 0
		.amdhsa_wavefront_size32 1
		.amdhsa_uses_dynamic_stack 0
		.amdhsa_enable_private_segment 0
		.amdhsa_system_sgpr_workgroup_id_x 1
		.amdhsa_system_sgpr_workgroup_id_y 0
		.amdhsa_system_sgpr_workgroup_id_z 0
		.amdhsa_system_sgpr_workgroup_info 0
		.amdhsa_system_vgpr_workitem_id 0
		.amdhsa_next_free_vgpr 50
		.amdhsa_next_free_sgpr 16
		.amdhsa_reserve_vcc 1
		.amdhsa_float_round_mode_32 0
		.amdhsa_float_round_mode_16_64 0
		.amdhsa_float_denorm_mode_32 3
		.amdhsa_float_denorm_mode_16_64 3
		.amdhsa_dx10_clamp 1
		.amdhsa_ieee_mode 1
		.amdhsa_fp16_overflow 0
		.amdhsa_workgroup_processor_mode 1
		.amdhsa_memory_ordered 1
		.amdhsa_forward_progress 0
		.amdhsa_shared_vgpr_count 0
		.amdhsa_exception_fp_ieee_invalid_op 0
		.amdhsa_exception_fp_denorm_src 0
		.amdhsa_exception_fp_ieee_div_zero 0
		.amdhsa_exception_fp_ieee_overflow 0
		.amdhsa_exception_fp_ieee_underflow 0
		.amdhsa_exception_fp_ieee_inexact 0
		.amdhsa_exception_int_div_zero 0
	.end_amdhsa_kernel
	.section	.text._ZN9rocsparseL19gebsrmvn_3xn_kernelILj128ELj4ELj64E21rocsparse_complex_numIfEEEvi20rocsparse_direction_NS_24const_host_device_scalarIT2_EEPKiS8_PKS5_SA_S6_PS5_21rocsparse_index_base_b,"axG",@progbits,_ZN9rocsparseL19gebsrmvn_3xn_kernelILj128ELj4ELj64E21rocsparse_complex_numIfEEEvi20rocsparse_direction_NS_24const_host_device_scalarIT2_EEPKiS8_PKS5_SA_S6_PS5_21rocsparse_index_base_b,comdat
.Lfunc_end88:
	.size	_ZN9rocsparseL19gebsrmvn_3xn_kernelILj128ELj4ELj64E21rocsparse_complex_numIfEEEvi20rocsparse_direction_NS_24const_host_device_scalarIT2_EEPKiS8_PKS5_SA_S6_PS5_21rocsparse_index_base_b, .Lfunc_end88-_ZN9rocsparseL19gebsrmvn_3xn_kernelILj128ELj4ELj64E21rocsparse_complex_numIfEEEvi20rocsparse_direction_NS_24const_host_device_scalarIT2_EEPKiS8_PKS5_SA_S6_PS5_21rocsparse_index_base_b
                                        ; -- End function
	.section	.AMDGPU.csdata,"",@progbits
; Kernel info:
; codeLenInByte = 3224
; NumSgprs: 18
; NumVgprs: 50
; ScratchSize: 0
; MemoryBound: 0
; FloatMode: 240
; IeeeMode: 1
; LDSByteSize: 0 bytes/workgroup (compile time only)
; SGPRBlocks: 2
; VGPRBlocks: 6
; NumSGPRsForWavesPerEU: 18
; NumVGPRsForWavesPerEU: 50
; Occupancy: 16
; WaveLimiterHint : 1
; COMPUTE_PGM_RSRC2:SCRATCH_EN: 0
; COMPUTE_PGM_RSRC2:USER_SGPR: 15
; COMPUTE_PGM_RSRC2:TRAP_HANDLER: 0
; COMPUTE_PGM_RSRC2:TGID_X_EN: 1
; COMPUTE_PGM_RSRC2:TGID_Y_EN: 0
; COMPUTE_PGM_RSRC2:TGID_Z_EN: 0
; COMPUTE_PGM_RSRC2:TIDIG_COMP_CNT: 0
	.section	.text._ZN9rocsparseL19gebsrmvn_3xn_kernelILj128ELj5ELj4E21rocsparse_complex_numIfEEEvi20rocsparse_direction_NS_24const_host_device_scalarIT2_EEPKiS8_PKS5_SA_S6_PS5_21rocsparse_index_base_b,"axG",@progbits,_ZN9rocsparseL19gebsrmvn_3xn_kernelILj128ELj5ELj4E21rocsparse_complex_numIfEEEvi20rocsparse_direction_NS_24const_host_device_scalarIT2_EEPKiS8_PKS5_SA_S6_PS5_21rocsparse_index_base_b,comdat
	.globl	_ZN9rocsparseL19gebsrmvn_3xn_kernelILj128ELj5ELj4E21rocsparse_complex_numIfEEEvi20rocsparse_direction_NS_24const_host_device_scalarIT2_EEPKiS8_PKS5_SA_S6_PS5_21rocsparse_index_base_b ; -- Begin function _ZN9rocsparseL19gebsrmvn_3xn_kernelILj128ELj5ELj4E21rocsparse_complex_numIfEEEvi20rocsparse_direction_NS_24const_host_device_scalarIT2_EEPKiS8_PKS5_SA_S6_PS5_21rocsparse_index_base_b
	.p2align	8
	.type	_ZN9rocsparseL19gebsrmvn_3xn_kernelILj128ELj5ELj4E21rocsparse_complex_numIfEEEvi20rocsparse_direction_NS_24const_host_device_scalarIT2_EEPKiS8_PKS5_SA_S6_PS5_21rocsparse_index_base_b,@function
_ZN9rocsparseL19gebsrmvn_3xn_kernelILj128ELj5ELj4E21rocsparse_complex_numIfEEEvi20rocsparse_direction_NS_24const_host_device_scalarIT2_EEPKiS8_PKS5_SA_S6_PS5_21rocsparse_index_base_b: ; @_ZN9rocsparseL19gebsrmvn_3xn_kernelILj128ELj5ELj4E21rocsparse_complex_numIfEEEvi20rocsparse_direction_NS_24const_host_device_scalarIT2_EEPKiS8_PKS5_SA_S6_PS5_21rocsparse_index_base_b
; %bb.0:
	s_clause 0x2
	s_load_b64 s[12:13], s[0:1], 0x40
	s_load_b64 s[4:5], s[0:1], 0x8
	;; [unrolled: 1-line block ×3, first 2 shown]
	s_waitcnt lgkmcnt(0)
	s_bitcmp1_b32 s13, 0
	v_mov_b32_e32 v9, s4
	s_cselect_b32 s6, -1, 0
	s_delay_alu instid0(SALU_CYCLE_1)
	s_and_b32 vcc_lo, exec_lo, s6
	s_xor_b32 s6, s6, -1
	s_cbranch_vccz .LBB89_15
; %bb.1:
	v_cndmask_b32_e64 v1, 0, 1, s6
	v_mov_b32_e32 v10, s5
	s_and_not1_b32 vcc_lo, exec_lo, s6
	s_cbranch_vccz .LBB89_16
.LBB89_2:
	s_delay_alu instid0(VALU_DEP_2)
	v_cmp_ne_u32_e32 vcc_lo, 1, v1
	v_mov_b32_e32 v11, s2
	s_cbranch_vccz .LBB89_17
.LBB89_3:
	v_cmp_ne_u32_e32 vcc_lo, 1, v1
	v_mov_b32_e32 v12, s3
	s_cbranch_vccnz .LBB89_5
.LBB89_4:
	v_dual_mov_b32 v1, s2 :: v_dual_mov_b32 v2, s3
	flat_load_b32 v12, v[1:2] offset:4
.LBB89_5:
	s_waitcnt vmcnt(0) lgkmcnt(0)
	v_cmp_eq_f32_e32 vcc_lo, 0, v9
	v_cmp_eq_f32_e64 s2, 0, v10
	s_delay_alu instid0(VALU_DEP_1)
	s_and_b32 s4, vcc_lo, s2
	s_mov_b32 s2, -1
	s_and_saveexec_b32 s3, s4
; %bb.6:
	v_cmp_neq_f32_e32 vcc_lo, 1.0, v11
	v_cmp_neq_f32_e64 s2, 0, v12
	s_delay_alu instid0(VALU_DEP_1) | instskip(NEXT) | instid1(SALU_CYCLE_1)
	s_or_b32 s2, vcc_lo, s2
	s_or_not1_b32 s2, s2, exec_lo
; %bb.7:
	s_or_b32 exec_lo, exec_lo, s3
	s_and_saveexec_b32 s3, s2
	s_cbranch_execz .LBB89_29
; %bb.8:
	s_load_b64 s[2:3], s[0:1], 0x0
	v_lshrrev_b32_e32 v1, 2, v0
	s_delay_alu instid0(VALU_DEP_1) | instskip(SKIP_1) | instid1(VALU_DEP_1)
	v_lshl_or_b32 v1, s15, 5, v1
	s_waitcnt lgkmcnt(0)
	v_cmp_gt_i32_e32 vcc_lo, s2, v1
	s_and_b32 exec_lo, exec_lo, vcc_lo
	s_cbranch_execz .LBB89_29
; %bb.9:
	s_load_b256 s[4:11], s[0:1], 0x10
	v_ashrrev_i32_e32 v2, 31, v1
	v_and_b32_e32 v0, 3, v0
	s_cmp_lg_u32 s3, 0
	s_delay_alu instid0(VALU_DEP_2) | instskip(SKIP_1) | instid1(VALU_DEP_1)
	v_lshlrev_b64 v[2:3], 2, v[1:2]
	s_waitcnt lgkmcnt(0)
	v_add_co_u32 v2, vcc_lo, s4, v2
	s_delay_alu instid0(VALU_DEP_2) | instskip(SKIP_4) | instid1(VALU_DEP_2)
	v_add_co_ci_u32_e32 v3, vcc_lo, s5, v3, vcc_lo
	global_load_b64 v[2:3], v[2:3], off
	s_waitcnt vmcnt(0)
	v_subrev_nc_u32_e32 v2, s12, v2
	v_subrev_nc_u32_e32 v16, s12, v3
	v_add_nc_u32_e32 v2, v2, v0
	s_delay_alu instid0(VALU_DEP_1)
	v_cmp_lt_i32_e64 s2, v2, v16
	s_cbranch_scc0 .LBB89_18
; %bb.10:
	v_dual_mov_b32 v13, 0 :: v_dual_mov_b32 v18, 0
	v_dual_mov_b32 v17, 0 :: v_dual_mov_b32 v14, 0
	v_mov_b32_e32 v19, 0
	v_mov_b32_e32 v15, 0
	s_mov_b32 s3, 0
	s_and_saveexec_b32 s4, s2
	s_cbranch_execz .LBB89_14
; %bb.11:
	v_mad_u64_u32 v[3:4], null, v2, 15, 14
	v_dual_mov_b32 v6, 0 :: v_dual_mov_b32 v7, v2
	v_dual_mov_b32 v13, 0 :: v_dual_mov_b32 v18, 0
	;; [unrolled: 1-line block ×3, first 2 shown]
	v_mov_b32_e32 v19, 0
	v_mov_b32_e32 v15, 0
	s_mov_b32 s5, 0
.LBB89_12:                              ; =>This Inner Loop Header: Depth=1
	v_ashrrev_i32_e32 v8, 31, v7
	s_delay_alu instid0(VALU_DEP_1) | instskip(SKIP_1) | instid1(VALU_DEP_2)
	v_lshlrev_b64 v[4:5], 2, v[7:8]
	v_add_nc_u32_e32 v7, 4, v7
	v_add_co_u32 v4, vcc_lo, s6, v4
	s_delay_alu instid0(VALU_DEP_3) | instskip(SKIP_2) | instid1(VALU_DEP_1)
	v_add_co_ci_u32_e32 v5, vcc_lo, s7, v5, vcc_lo
	global_load_b32 v8, v[4:5], off
	v_dual_mov_b32 v4, v6 :: v_dual_add_nc_u32 v5, -14, v3
	v_lshlrev_b64 v[22:23], 3, v[5:6]
	v_add_nc_u32_e32 v5, -13, v3
	s_delay_alu instid0(VALU_DEP_3) | instskip(NEXT) | instid1(VALU_DEP_2)
	v_lshlrev_b64 v[24:25], 3, v[3:4]
	v_lshlrev_b64 v[26:27], 3, v[5:6]
	v_add_nc_u32_e32 v5, -12, v3
	v_add_co_u32 v22, vcc_lo, s8, v22
	v_add_co_ci_u32_e32 v23, vcc_lo, s9, v23, vcc_lo
	s_delay_alu instid0(VALU_DEP_3) | instskip(SKIP_4) | instid1(VALU_DEP_4)
	v_lshlrev_b64 v[28:29], 3, v[5:6]
	v_add_nc_u32_e32 v5, -11, v3
	v_add_co_u32 v24, vcc_lo, s8, v24
	v_add_co_ci_u32_e32 v25, vcc_lo, s9, v25, vcc_lo
	v_add_co_u32 v26, vcc_lo, s8, v26
	v_lshlrev_b64 v[4:5], 3, v[5:6]
	v_add_co_ci_u32_e32 v27, vcc_lo, s9, v27, vcc_lo
	v_add_co_u32 v28, vcc_lo, s8, v28
	v_add_co_ci_u32_e32 v29, vcc_lo, s9, v29, vcc_lo
	s_delay_alu instid0(VALU_DEP_4)
	v_add_co_u32 v4, vcc_lo, s8, v4
	v_add_co_ci_u32_e32 v5, vcc_lo, s9, v5, vcc_lo
	s_clause 0x3
	global_load_b64 v[22:23], v[22:23], off
	global_load_b64 v[26:27], v[26:27], off
	;; [unrolled: 1-line block ×4, first 2 shown]
	v_mov_b32_e32 v21, v6
	s_waitcnt vmcnt(4)
	v_subrev_nc_u32_e32 v4, s12, v8
	s_delay_alu instid0(VALU_DEP_1) | instskip(NEXT) | instid1(VALU_DEP_1)
	v_lshl_add_u32 v20, v4, 2, v4
	v_lshlrev_b64 v[32:33], 3, v[20:21]
	v_add_nc_u32_e32 v5, 1, v20
	s_delay_alu instid0(VALU_DEP_1) | instskip(NEXT) | instid1(VALU_DEP_3)
	v_lshlrev_b64 v[34:35], 3, v[5:6]
	v_add_co_u32 v32, vcc_lo, s10, v32
	s_delay_alu instid0(VALU_DEP_4) | instskip(NEXT) | instid1(VALU_DEP_3)
	v_add_co_ci_u32_e32 v33, vcc_lo, s11, v33, vcc_lo
	v_add_co_u32 v34, vcc_lo, s10, v34
	global_load_b64 v[32:33], v[32:33], off
	v_add_co_ci_u32_e32 v35, vcc_lo, s11, v35, vcc_lo
	global_load_b64 v[34:35], v[34:35], off
	s_waitcnt vmcnt(1)
	v_fmac_f32_e32 v17, v22, v32
	v_fmac_f32_e32 v14, v29, v32
	;; [unrolled: 1-line block ×5, first 2 shown]
	v_fma_f32 v8, -v23, v33, v17
	v_dual_fmac_f32 v14, v28, v33 :: v_dual_add_nc_u32 v5, -10, v3
	v_dual_fmac_f32 v18, v28, v32 :: v_dual_fmac_f32 v13, v22, v33
	s_waitcnt vmcnt(0)
	s_delay_alu instid0(VALU_DEP_3)
	v_fmac_f32_e32 v8, v30, v34
	v_fma_f32 v17, -v27, v33, v19
	v_lshlrev_b64 v[36:37], 3, v[5:6]
	v_fmac_f32_e32 v15, v26, v33
	v_fma_f32 v18, -v29, v33, v18
	v_fma_f32 v8, -v31, v35, v8
	v_add_nc_u32_e32 v5, -9, v3
	v_fmac_f32_e32 v13, v31, v34
	v_add_co_u32 v36, vcc_lo, s8, v36
	v_add_co_ci_u32_e32 v37, vcc_lo, s9, v37, vcc_lo
	s_delay_alu instid0(VALU_DEP_4)
	v_lshlrev_b64 v[38:39], 3, v[5:6]
	v_add_nc_u32_e32 v5, -8, v3
	v_fmac_f32_e32 v13, v30, v35
	global_load_b64 v[36:37], v[36:37], off
	v_add_co_u32 v38, vcc_lo, s8, v38
	v_add_co_ci_u32_e32 v39, vcc_lo, s9, v39, vcc_lo
	v_lshlrev_b64 v[40:41], 3, v[5:6]
	global_load_b64 v[38:39], v[38:39], off
	v_add_co_u32 v40, vcc_lo, s8, v40
	v_add_co_ci_u32_e32 v41, vcc_lo, s9, v41, vcc_lo
	global_load_b64 v[40:41], v[40:41], off
	s_waitcnt vmcnt(2)
	v_fmac_f32_e32 v17, v36, v34
	v_fmac_f32_e32 v15, v37, v34
	s_delay_alu instid0(VALU_DEP_2) | instskip(SKIP_1) | instid1(VALU_DEP_2)
	v_fma_f32 v17, -v37, v35, v17
	s_waitcnt vmcnt(1)
	v_dual_fmac_f32 v15, v36, v35 :: v_dual_fmac_f32 v14, v39, v34
	v_dual_fmac_f32 v18, v38, v34 :: v_dual_add_nc_u32 v5, 2, v20
	s_delay_alu instid0(VALU_DEP_2) | instskip(NEXT) | instid1(VALU_DEP_2)
	v_fmac_f32_e32 v14, v38, v35
	v_lshlrev_b64 v[42:43], 3, v[5:6]
	s_delay_alu instid0(VALU_DEP_3) | instskip(NEXT) | instid1(VALU_DEP_2)
	v_fma_f32 v18, -v39, v35, v18
	v_add_co_u32 v42, vcc_lo, s10, v42
	s_delay_alu instid0(VALU_DEP_3) | instskip(SKIP_2) | instid1(VALU_DEP_1)
	v_add_co_ci_u32_e32 v43, vcc_lo, s11, v43, vcc_lo
	global_load_b64 v[42:43], v[42:43], off
	v_add_nc_u32_e32 v5, -7, v3
	v_lshlrev_b64 v[44:45], 3, v[5:6]
	s_delay_alu instid0(VALU_DEP_1) | instskip(NEXT) | instid1(VALU_DEP_2)
	v_add_co_u32 v44, vcc_lo, s8, v44
	v_add_co_ci_u32_e32 v45, vcc_lo, s9, v45, vcc_lo
	global_load_b64 v[44:45], v[44:45], off
	s_waitcnt vmcnt(1)
	v_fmac_f32_e32 v8, v40, v42
	v_fmac_f32_e32 v13, v41, v42
	s_delay_alu instid0(VALU_DEP_2) | instskip(SKIP_1) | instid1(VALU_DEP_3)
	v_fma_f32 v8, -v41, v43, v8
	v_add_nc_u32_e32 v5, -6, v3
	v_fmac_f32_e32 v13, v40, v43
	s_delay_alu instid0(VALU_DEP_2) | instskip(SKIP_1) | instid1(VALU_DEP_2)
	v_lshlrev_b64 v[46:47], 3, v[5:6]
	v_add_nc_u32_e32 v5, -5, v3
	v_add_co_u32 v46, vcc_lo, s8, v46
	s_delay_alu instid0(VALU_DEP_3) | instskip(NEXT) | instid1(VALU_DEP_3)
	v_add_co_ci_u32_e32 v47, vcc_lo, s9, v47, vcc_lo
	v_lshlrev_b64 v[48:49], 3, v[5:6]
	global_load_b64 v[46:47], v[46:47], off
	v_add_co_u32 v48, vcc_lo, s8, v48
	v_add_co_ci_u32_e32 v49, vcc_lo, s9, v49, vcc_lo
	global_load_b64 v[48:49], v[48:49], off
	s_waitcnt vmcnt(2)
	v_fmac_f32_e32 v17, v44, v42
	v_fmac_f32_e32 v15, v45, v42
	s_delay_alu instid0(VALU_DEP_2) | instskip(SKIP_1) | instid1(VALU_DEP_2)
	v_fma_f32 v17, -v45, v43, v17
	s_waitcnt vmcnt(1)
	v_dual_fmac_f32 v15, v44, v43 :: v_dual_fmac_f32 v14, v47, v42
	v_dual_fmac_f32 v18, v46, v42 :: v_dual_add_nc_u32 v5, 3, v20
	s_delay_alu instid0(VALU_DEP_2) | instskip(NEXT) | instid1(VALU_DEP_2)
	v_fmac_f32_e32 v14, v46, v43
	v_lshlrev_b64 v[50:51], 3, v[5:6]
	s_delay_alu instid0(VALU_DEP_3) | instskip(NEXT) | instid1(VALU_DEP_2)
	v_fma_f32 v18, -v47, v43, v18
	v_add_co_u32 v50, vcc_lo, s10, v50
	s_delay_alu instid0(VALU_DEP_3) | instskip(SKIP_2) | instid1(VALU_DEP_1)
	v_add_co_ci_u32_e32 v51, vcc_lo, s11, v51, vcc_lo
	global_load_b64 v[50:51], v[50:51], off
	v_add_nc_u32_e32 v5, -4, v3
	v_lshlrev_b64 v[52:53], 3, v[5:6]
	s_delay_alu instid0(VALU_DEP_1) | instskip(NEXT) | instid1(VALU_DEP_2)
	v_add_co_u32 v52, vcc_lo, s8, v52
	v_add_co_ci_u32_e32 v53, vcc_lo, s9, v53, vcc_lo
	s_waitcnt vmcnt(0)
	v_fmac_f32_e32 v8, v48, v50
	v_fmac_f32_e32 v13, v49, v50
	s_delay_alu instid0(VALU_DEP_2) | instskip(SKIP_1) | instid1(VALU_DEP_3)
	v_fma_f32 v8, -v49, v51, v8
	v_add_nc_u32_e32 v5, -3, v3
	v_fmac_f32_e32 v13, v48, v51
	s_delay_alu instid0(VALU_DEP_2) | instskip(SKIP_1) | instid1(VALU_DEP_1)
	v_lshlrev_b64 v[54:55], 3, v[5:6]
	v_add_nc_u32_e32 v5, -2, v3
	v_lshlrev_b64 v[56:57], 3, v[5:6]
	v_add_nc_u32_e32 v5, 4, v20
	global_load_b64 v[20:21], v[52:53], off
	v_add_co_u32 v52, vcc_lo, s8, v54
	v_add_co_ci_u32_e32 v53, vcc_lo, s9, v55, vcc_lo
	v_add_co_u32 v56, vcc_lo, s8, v56
	v_add_co_ci_u32_e32 v57, vcc_lo, s9, v57, vcc_lo
	s_clause 0x1
	global_load_b64 v[52:53], v[52:53], off
	global_load_b64 v[56:57], v[56:57], off
	s_waitcnt vmcnt(2)
	v_fmac_f32_e32 v17, v20, v50
	v_fmac_f32_e32 v15, v21, v50
	s_delay_alu instid0(VALU_DEP_2) | instskip(SKIP_1) | instid1(VALU_DEP_2)
	v_fma_f32 v19, -v21, v51, v17
	s_waitcnt vmcnt(1)
	v_dual_fmac_f32 v15, v20, v51 :: v_dual_fmac_f32 v14, v53, v50
	v_fmac_f32_e32 v18, v52, v50
	s_delay_alu instid0(VALU_DEP_2) | instskip(SKIP_2) | instid1(VALU_DEP_4)
	v_fmac_f32_e32 v14, v52, v51
	v_lshlrev_b64 v[54:55], 3, v[5:6]
	v_add_nc_u32_e32 v5, -1, v3
	v_fma_f32 v18, -v53, v51, v18
	v_add_nc_u32_e32 v3, 60, v3
	s_delay_alu instid0(VALU_DEP_3) | instskip(SKIP_2) | instid1(VALU_DEP_3)
	v_lshlrev_b64 v[4:5], 3, v[5:6]
	v_add_co_u32 v54, vcc_lo, s10, v54
	v_add_co_ci_u32_e32 v55, vcc_lo, s11, v55, vcc_lo
	v_add_co_u32 v4, vcc_lo, s8, v4
	s_delay_alu instid0(VALU_DEP_4)
	v_add_co_ci_u32_e32 v5, vcc_lo, s9, v5, vcc_lo
	global_load_b64 v[54:55], v[54:55], off
	s_clause 0x1
	global_load_b64 v[4:5], v[4:5], off
	global_load_b64 v[24:25], v[24:25], off
	v_cmp_ge_i32_e32 vcc_lo, v7, v16
	s_or_b32 s5, vcc_lo, s5
	s_waitcnt vmcnt(2)
	v_fmac_f32_e32 v8, v56, v54
	v_fmac_f32_e32 v13, v57, v54
	s_waitcnt vmcnt(0)
	v_fmac_f32_e32 v14, v25, v54
	v_fmac_f32_e32 v19, v4, v54
	;; [unrolled: 1-line block ×4, first 2 shown]
	v_fma_f32 v17, -v57, v55, v8
	v_fmac_f32_e32 v13, v56, v55
	v_fma_f32 v19, -v5, v55, v19
	v_fmac_f32_e32 v15, v4, v55
	;; [unrolled: 2-line block ×3, first 2 shown]
	s_and_not1_b32 exec_lo, exec_lo, s5
	s_cbranch_execnz .LBB89_12
; %bb.13:
	s_or_b32 exec_lo, exec_lo, s5
.LBB89_14:
	s_delay_alu instid0(SALU_CYCLE_1) | instskip(NEXT) | instid1(SALU_CYCLE_1)
	s_or_b32 exec_lo, exec_lo, s4
	s_and_not1_b32 vcc_lo, exec_lo, s3
	s_cbranch_vccz .LBB89_19
	s_branch .LBB89_24
.LBB89_15:
	v_dual_mov_b32 v1, s4 :: v_dual_mov_b32 v2, s5
	flat_load_b32 v9, v[1:2]
	v_cndmask_b32_e64 v1, 0, 1, s6
	v_mov_b32_e32 v10, s5
	s_and_not1_b32 vcc_lo, exec_lo, s6
	s_cbranch_vccnz .LBB89_2
.LBB89_16:
	v_dual_mov_b32 v2, s4 :: v_dual_mov_b32 v3, s5
	flat_load_b32 v10, v[2:3] offset:4
	v_cmp_ne_u32_e32 vcc_lo, 1, v1
	v_mov_b32_e32 v11, s2
	s_cbranch_vccnz .LBB89_3
.LBB89_17:
	v_dual_mov_b32 v2, s2 :: v_dual_mov_b32 v3, s3
	flat_load_b32 v11, v[2:3]
	v_cmp_ne_u32_e32 vcc_lo, 1, v1
	v_mov_b32_e32 v12, s3
	s_cbranch_vccz .LBB89_4
	s_branch .LBB89_5
.LBB89_18:
                                        ; implicit-def: $vgpr13
                                        ; implicit-def: $vgpr17
                                        ; implicit-def: $vgpr18
                                        ; implicit-def: $vgpr14
                                        ; implicit-def: $vgpr19
                                        ; implicit-def: $vgpr15
.LBB89_19:
	v_dual_mov_b32 v13, 0 :: v_dual_mov_b32 v18, 0
	v_dual_mov_b32 v17, 0 :: v_dual_mov_b32 v14, 0
	v_mov_b32_e32 v19, 0
	v_mov_b32_e32 v15, 0
	s_and_saveexec_b32 s3, s2
	s_cbranch_execz .LBB89_23
; %bb.20:
	v_mad_u64_u32 v[4:5], null, v2, 15, 14
	v_dual_mov_b32 v7, 0 :: v_dual_mov_b32 v18, 0
	v_dual_mov_b32 v13, 0 :: v_dual_mov_b32 v14, 0
	v_mov_b32_e32 v17, 0
	v_mov_b32_e32 v19, 0
	v_mov_b32_e32 v15, 0
	s_mov_b32 s2, 0
.LBB89_21:                              ; =>This Inner Loop Header: Depth=1
	v_ashrrev_i32_e32 v3, 31, v2
	v_dual_mov_b32 v23, v7 :: v_dual_add_nc_u32 v20, -9, v4
	v_dual_mov_b32 v21, v7 :: v_dual_add_nc_u32 v22, -4, v4
	s_delay_alu instid0(VALU_DEP_3) | instskip(NEXT) | instid1(VALU_DEP_2)
	v_lshlrev_b64 v[5:6], 2, v[2:3]
	v_lshlrev_b64 v[20:21], 3, v[20:21]
	s_delay_alu instid0(VALU_DEP_2) | instskip(NEXT) | instid1(VALU_DEP_3)
	v_add_co_u32 v5, vcc_lo, s6, v5
	v_add_co_ci_u32_e32 v6, vcc_lo, s7, v6, vcc_lo
	global_load_b32 v3, v[5:6], off
	v_dual_mov_b32 v5, v7 :: v_dual_add_nc_u32 v6, -14, v4
	v_lshlrev_b64 v[22:23], 3, v[22:23]
	s_delay_alu instid0(VALU_DEP_2) | instskip(NEXT) | instid1(VALU_DEP_3)
	v_lshlrev_b64 v[27:28], 3, v[4:5]
	v_lshlrev_b64 v[25:26], 3, v[6:7]
	v_add_nc_u32_e32 v6, -13, v4
	s_delay_alu instid0(VALU_DEP_1) | instskip(NEXT) | instid1(VALU_DEP_3)
	v_lshlrev_b64 v[5:6], 3, v[6:7]
	v_add_co_u32 v25, vcc_lo, s8, v25
	s_delay_alu instid0(VALU_DEP_4)
	v_add_co_ci_u32_e32 v26, vcc_lo, s9, v26, vcc_lo
	v_add_co_u32 v20, vcc_lo, s8, v20
	v_add_co_ci_u32_e32 v21, vcc_lo, s9, v21, vcc_lo
	v_add_co_u32 v22, vcc_lo, s8, v22
	;; [unrolled: 2-line block ×4, first 2 shown]
	v_add_co_ci_u32_e32 v6, vcc_lo, s9, v6, vcc_lo
	s_clause 0x3
	global_load_b64 v[25:26], v[25:26], off
	global_load_b64 v[20:21], v[20:21], off
	;; [unrolled: 1-line block ×4, first 2 shown]
	v_mov_b32_e32 v24, v7
	s_waitcnt vmcnt(4)
	v_subrev_nc_u32_e32 v3, s12, v3
	s_delay_alu instid0(VALU_DEP_1) | instskip(NEXT) | instid1(VALU_DEP_1)
	v_lshl_add_u32 v23, v3, 2, v3
	v_lshlrev_b64 v[33:34], 3, v[23:24]
	s_delay_alu instid0(VALU_DEP_1) | instskip(NEXT) | instid1(VALU_DEP_2)
	v_add_co_u32 v33, vcc_lo, s10, v33
	v_add_co_ci_u32_e32 v34, vcc_lo, s11, v34, vcc_lo
	global_load_b64 v[33:34], v[33:34], off
	v_add_nc_u32_e32 v6, 1, v23
	s_delay_alu instid0(VALU_DEP_1) | instskip(NEXT) | instid1(VALU_DEP_1)
	v_lshlrev_b64 v[35:36], 3, v[6:7]
	v_add_co_u32 v35, vcc_lo, s10, v35
	s_delay_alu instid0(VALU_DEP_2) | instskip(SKIP_3) | instid1(VALU_DEP_1)
	v_add_co_ci_u32_e32 v36, vcc_lo, s11, v36, vcc_lo
	global_load_b64 v[35:36], v[35:36], off
	s_waitcnt vmcnt(1)
	v_dual_fmac_f32 v15, v21, v33 :: v_dual_add_nc_u32 v6, -8, v4
	v_lshlrev_b64 v[37:38], 3, v[6:7]
	v_dual_fmac_f32 v13, v26, v33 :: v_dual_add_nc_u32 v6, -3, v4
	v_fmac_f32_e32 v17, v25, v33
	s_delay_alu instid0(VALU_DEP_4) | instskip(NEXT) | instid1(VALU_DEP_4)
	v_dual_fmac_f32 v15, v20, v34 :: v_dual_fmac_f32 v18, v29, v33
	v_add_co_u32 v37, vcc_lo, s8, v37
	v_add_co_ci_u32_e32 v38, vcc_lo, s9, v38, vcc_lo
	v_fmac_f32_e32 v13, v25, v34
	v_lshlrev_b64 v[39:40], 3, v[6:7]
	v_add_nc_u32_e32 v6, -12, v4
	global_load_b64 v[37:38], v[37:38], off
	v_add_nc_u32_e32 v2, 4, v2
	v_fma_f32 v3, -v26, v34, v17
	v_fma_f32 v17, -v30, v34, v18
	v_lshlrev_b64 v[41:42], 3, v[6:7]
	s_waitcnt vmcnt(1)
	v_fmac_f32_e32 v13, v32, v35
	v_add_nc_u32_e32 v6, 2, v23
	v_add_co_u32 v39, vcc_lo, s8, v39
	v_add_co_ci_u32_e32 v40, vcc_lo, s9, v40, vcc_lo
	s_delay_alu instid0(VALU_DEP_4) | instskip(NEXT) | instid1(VALU_DEP_4)
	v_fmac_f32_e32 v13, v31, v36
	v_lshlrev_b64 v[43:44], 3, v[6:7]
	v_add_co_u32 v41, vcc_lo, s8, v41
	global_load_b64 v[39:40], v[39:40], off
	v_dual_fmac_f32 v3, v31, v35 :: v_dual_add_nc_u32 v6, -7, v4
	v_add_co_ci_u32_e32 v42, vcc_lo, s9, v42, vcc_lo
	v_add_co_u32 v43, vcc_lo, s10, v43
	v_add_co_ci_u32_e32 v44, vcc_lo, s11, v44, vcc_lo
	s_delay_alu instid0(VALU_DEP_4)
	v_lshlrev_b64 v[45:46], 3, v[6:7]
	global_load_b64 v[41:42], v[41:42], off
	v_add_nc_u32_e32 v6, -2, v4
	global_load_b64 v[43:44], v[43:44], off
	v_fma_f32 v3, -v32, v36, v3
	v_fmac_f32_e32 v19, v20, v33
	v_add_co_u32 v45, vcc_lo, s8, v45
	v_add_co_ci_u32_e32 v46, vcc_lo, s9, v46, vcc_lo
	s_delay_alu instid0(VALU_DEP_3)
	v_fma_f32 v8, -v21, v34, v19
	global_load_b64 v[45:46], v[45:46], off
	s_waitcnt vmcnt(4)
	v_fmac_f32_e32 v15, v38, v35
	v_lshlrev_b64 v[47:48], 3, v[6:7]
	v_add_nc_u32_e32 v6, -11, v4
	s_delay_alu instid0(VALU_DEP_3) | instskip(NEXT) | instid1(VALU_DEP_3)
	v_fmac_f32_e32 v15, v37, v36
	v_add_co_u32 v47, vcc_lo, s8, v47
	s_delay_alu instid0(VALU_DEP_4)
	v_add_co_ci_u32_e32 v48, vcc_lo, s9, v48, vcc_lo
	global_load_b64 v[47:48], v[47:48], off
	s_waitcnt vmcnt(4)
	v_fmac_f32_e32 v17, v39, v35
	v_lshlrev_b64 v[49:50], 3, v[6:7]
	v_add_nc_u32_e32 v6, 3, v23
	s_delay_alu instid0(VALU_DEP_3) | instskip(NEXT) | instid1(VALU_DEP_2)
	v_fma_f32 v17, -v40, v36, v17
	v_lshlrev_b64 v[51:52], 3, v[6:7]
	v_add_nc_u32_e32 v6, -6, v4
	v_add_co_u32 v49, vcc_lo, s8, v49
	v_add_co_ci_u32_e32 v50, vcc_lo, s9, v50, vcc_lo
	s_waitcnt vmcnt(2)
	v_fmac_f32_e32 v3, v41, v43
	v_lshlrev_b64 v[53:54], 3, v[6:7]
	v_dual_fmac_f32 v13, v42, v43 :: v_dual_add_nc_u32 v6, -1, v4
	v_add_co_u32 v51, vcc_lo, s10, v51
	global_load_b64 v[49:50], v[49:50], off
	v_add_co_ci_u32_e32 v52, vcc_lo, s11, v52, vcc_lo
	v_lshlrev_b64 v[55:56], 3, v[6:7]
	s_waitcnt vmcnt(2)
	v_dual_fmac_f32 v15, v46, v43 :: v_dual_add_nc_u32 v6, -10, v4
	v_add_co_u32 v53, vcc_lo, s8, v53
	v_add_co_ci_u32_e32 v54, vcc_lo, s9, v54, vcc_lo
	s_delay_alu instid0(VALU_DEP_3)
	v_lshlrev_b64 v[57:58], 3, v[6:7]
	v_dual_fmac_f32 v13, v41, v44 :: v_dual_add_nc_u32 v6, 4, v23
	global_load_b64 v[22:23], v[53:54], off
	v_add_co_u32 v53, vcc_lo, s8, v55
	v_add_co_ci_u32_e32 v54, vcc_lo, s9, v56, vcc_lo
	v_lshlrev_b64 v[55:56], 3, v[6:7]
	v_add_nc_u32_e32 v6, -5, v4
	global_load_b64 v[51:52], v[51:52], off
	v_add_co_u32 v57, vcc_lo, s8, v57
	v_add_co_ci_u32_e32 v58, vcc_lo, s9, v58, vcc_lo
	v_add_co_u32 v55, vcc_lo, s10, v55
	v_add_co_ci_u32_e32 v56, vcc_lo, s11, v56, vcc_lo
	s_clause 0x1
	global_load_b64 v[53:54], v[53:54], off
	global_load_b64 v[57:58], v[57:58], off
	v_dual_fmac_f32 v14, v30, v33 :: v_dual_fmac_f32 v15, v45, v44
	v_fma_f32 v3, -v42, v44, v3
	v_add_nc_u32_e32 v4, 60, v4
	s_waitcnt vmcnt(5)
	s_delay_alu instid0(VALU_DEP_3) | instskip(SKIP_1) | instid1(VALU_DEP_2)
	v_dual_fmac_f32 v14, v29, v34 :: v_dual_fmac_f32 v17, v47, v43
	v_lshlrev_b64 v[5:6], 3, v[6:7]
	v_fma_f32 v17, -v48, v44, v17
	s_delay_alu instid0(VALU_DEP_2) | instskip(NEXT) | instid1(VALU_DEP_3)
	v_add_co_u32 v5, vcc_lo, s8, v5
	v_add_co_ci_u32_e32 v6, vcc_lo, s9, v6, vcc_lo
	global_load_b64 v[55:56], v[55:56], off
	s_clause 0x1
	global_load_b64 v[5:6], v[5:6], off
	global_load_b64 v[27:28], v[27:28], off
	v_cmp_ge_i32_e32 vcc_lo, v2, v16
	s_or_b32 s2, vcc_lo, s2
	s_waitcnt vmcnt(5)
	v_fmac_f32_e32 v15, v23, v51
	v_fmac_f32_e32 v13, v50, v51
	;; [unrolled: 1-line block ×8, first 2 shown]
	v_fma_f32 v8, -v38, v36, v8
	s_waitcnt vmcnt(4)
	v_fmac_f32_e32 v17, v53, v51
	v_fma_f32 v3, -v50, v52, v3
	s_delay_alu instid0(VALU_DEP_3) | instskip(NEXT) | instid1(VALU_DEP_3)
	v_fmac_f32_e32 v8, v45, v43
	v_fma_f32 v18, -v54, v52, v17
	s_delay_alu instid0(VALU_DEP_2)
	v_fma_f32 v8, -v46, v44, v8
	s_waitcnt vmcnt(2)
	v_fmac_f32_e32 v13, v58, v55
	v_fmac_f32_e32 v14, v48, v43
	;; [unrolled: 1-line block ×3, first 2 shown]
	s_waitcnt vmcnt(0)
	v_fmac_f32_e32 v18, v27, v55
	v_fmac_f32_e32 v15, v6, v55
	;; [unrolled: 1-line block ×5, first 2 shown]
	v_fma_f32 v17, -v58, v56, v3
	v_fmac_f32_e32 v15, v5, v56
	v_fma_f32 v18, -v28, v56, v18
	v_fmac_f32_e32 v14, v54, v51
	v_fma_f32 v8, -v23, v52, v8
	s_delay_alu instid0(VALU_DEP_2) | instskip(NEXT) | instid1(VALU_DEP_2)
	v_fmac_f32_e32 v14, v53, v52
	v_fmac_f32_e32 v8, v5, v55
	s_delay_alu instid0(VALU_DEP_2) | instskip(NEXT) | instid1(VALU_DEP_2)
	v_fmac_f32_e32 v14, v28, v55
	v_fma_f32 v19, -v6, v56, v8
	s_delay_alu instid0(VALU_DEP_2)
	v_fmac_f32_e32 v14, v27, v56
	s_and_not1_b32 exec_lo, exec_lo, s2
	s_cbranch_execnz .LBB89_21
; %bb.22:
	s_or_b32 exec_lo, exec_lo, s2
.LBB89_23:
	s_delay_alu instid0(SALU_CYCLE_1)
	s_or_b32 exec_lo, exec_lo, s3
.LBB89_24:
	v_mbcnt_lo_u32_b32 v2, -1, 0
	s_delay_alu instid0(VALU_DEP_1) | instskip(NEXT) | instid1(VALU_DEP_1)
	v_xor_b32_e32 v3, 2, v2
	v_cmp_gt_i32_e32 vcc_lo, 32, v3
	v_cndmask_b32_e32 v3, v2, v3, vcc_lo
	s_delay_alu instid0(VALU_DEP_1)
	v_lshlrev_b32_e32 v3, 2, v3
	ds_bpermute_b32 v8, v3, v15
	s_waitcnt lgkmcnt(0)
	v_add_f32_e32 v8, v15, v8
	ds_bpermute_b32 v4, v3, v17
	ds_bpermute_b32 v5, v3, v13
	;; [unrolled: 1-line block ×5, first 2 shown]
	v_xor_b32_e32 v3, 1, v2
	s_delay_alu instid0(VALU_DEP_1) | instskip(SKIP_4) | instid1(VALU_DEP_3)
	v_cmp_gt_i32_e32 vcc_lo, 32, v3
	v_cndmask_b32_e32 v2, v2, v3, vcc_lo
	v_cmp_eq_u32_e32 vcc_lo, 3, v0
	s_waitcnt lgkmcnt(3)
	v_add_f32_e32 v5, v13, v5
	v_dual_add_f32 v2, v17, v4 :: v_dual_lshlrev_b32 v21, 2, v2
	s_waitcnt lgkmcnt(0)
	v_dual_add_f32 v4, v14, v20 :: v_dual_add_f32 v7, v19, v6
	v_add_f32_e32 v3, v18, v16
	ds_bpermute_b32 v15, v21, v5
	ds_bpermute_b32 v6, v21, v2
	;; [unrolled: 1-line block ×6, first 2 shown]
	s_and_b32 exec_lo, exec_lo, vcc_lo
	s_cbranch_execz .LBB89_29
; %bb.25:
	s_load_b64 s[2:3], s[0:1], 0x38
	v_cmp_eq_f32_e32 vcc_lo, 0, v11
	v_cmp_eq_f32_e64 s0, 0, v12
	s_waitcnt lgkmcnt(0)
	v_add_f32_e32 v0, v2, v6
	v_dual_add_f32 v6, v5, v15 :: v_dual_add_f32 v3, v3, v13
	v_dual_add_f32 v2, v7, v16 :: v_dual_add_f32 v5, v8, v17
	v_add_f32_e32 v4, v4, v14
	s_and_b32 s0, vcc_lo, s0
	s_delay_alu instid0(SALU_CYCLE_1) | instskip(NEXT) | instid1(SALU_CYCLE_1)
	s_and_saveexec_b32 s1, s0
	s_xor_b32 s0, exec_lo, s1
	s_cbranch_execz .LBB89_27
; %bb.26:
	v_lshl_add_u32 v7, v1, 1, v1
	v_mul_f32_e64 v11, v6, -v10
	v_mul_f32_e32 v12, v6, v9
	v_mul_f32_e64 v13, v5, -v10
	v_mul_f32_e32 v14, v5, v9
	v_ashrrev_i32_e32 v8, 31, v7
	v_fmac_f32_e32 v11, v9, v0
	v_mul_f32_e64 v5, v4, -v10
	v_dual_mul_f32 v6, v4, v9 :: v_dual_fmac_f32 v13, v9, v2
	s_delay_alu instid0(VALU_DEP_4) | instskip(NEXT) | instid1(VALU_DEP_3)
	v_lshlrev_b64 v[7:8], 3, v[7:8]
	v_dual_fmac_f32 v12, v10, v0 :: v_dual_fmac_f32 v5, v9, v3
	v_fmac_f32_e32 v14, v10, v2
	s_delay_alu instid0(VALU_DEP_4) | instskip(NEXT) | instid1(VALU_DEP_4)
	v_fmac_f32_e32 v6, v10, v3
                                        ; implicit-def: $vgpr9
                                        ; implicit-def: $vgpr10
                                        ; implicit-def: $vgpr2
                                        ; implicit-def: $vgpr3
                                        ; implicit-def: $vgpr4
	v_add_co_u32 v0, vcc_lo, s2, v7
	v_add_co_ci_u32_e32 v1, vcc_lo, s3, v8, vcc_lo
	s_clause 0x1
	global_store_b128 v[0:1], v[11:14], off
	global_store_b64 v[0:1], v[5:6], off offset:16
                                        ; implicit-def: $vgpr11
                                        ; implicit-def: $vgpr12
                                        ; implicit-def: $vgpr1
                                        ; implicit-def: $vgpr0
                                        ; implicit-def: $vgpr6
                                        ; implicit-def: $vgpr5
.LBB89_27:
	s_and_not1_saveexec_b32 s0, s0
	s_cbranch_execz .LBB89_29
; %bb.28:
	v_lshl_add_u32 v7, v1, 1, v1
	v_mul_f32_e64 v21, v5, -v10
	v_mul_f32_e64 v22, v4, -v10
	s_delay_alu instid0(VALU_DEP_3) | instskip(NEXT) | instid1(VALU_DEP_1)
	v_ashrrev_i32_e32 v8, 31, v7
	v_lshlrev_b64 v[7:8], 3, v[7:8]
	s_delay_alu instid0(VALU_DEP_1) | instskip(NEXT) | instid1(VALU_DEP_2)
	v_add_co_u32 v17, vcc_lo, s2, v7
	v_add_co_ci_u32_e32 v18, vcc_lo, s3, v8, vcc_lo
	v_mul_f32_e64 v7, v6, -v10
	v_mul_f32_e32 v6, v6, v9
	s_clause 0x1
	global_load_b128 v[13:16], v[17:18], off
	global_load_b64 v[19:20], v[17:18], off offset:16
	v_fmac_f32_e32 v7, v9, v0
	v_dual_mul_f32 v1, v4, v9 :: v_dual_fmac_f32 v6, v10, v0
	v_mul_f32_e32 v8, v5, v9
	v_fmac_f32_e32 v21, v9, v2
	s_delay_alu instid0(VALU_DEP_3) | instskip(SKIP_1) | instid1(VALU_DEP_3)
	v_fmac_f32_e32 v1, v10, v3
	s_waitcnt vmcnt(1)
	v_dual_fmac_f32 v8, v10, v2 :: v_dual_fmac_f32 v7, v11, v13
	v_fmac_f32_e32 v6, v12, v13
	s_waitcnt vmcnt(0)
	v_fmac_f32_e32 v1, v12, v19
	v_fmac_f32_e32 v21, v11, v15
	;; [unrolled: 1-line block ×3, first 2 shown]
	v_fma_f32 v5, -v12, v14, v7
	v_fmac_f32_e32 v6, v11, v14
	v_dual_fmac_f32 v22, v9, v3 :: v_dual_fmac_f32 v1, v11, v20
	v_fma_f32 v7, -v12, v16, v21
	v_fmac_f32_e32 v8, v11, v16
	s_delay_alu instid0(VALU_DEP_3) | instskip(NEXT) | instid1(VALU_DEP_1)
	v_fmac_f32_e32 v22, v11, v19
	v_fma_f32 v0, -v12, v20, v22
	s_clause 0x1
	global_store_b128 v[17:18], v[5:8], off
	global_store_b64 v[17:18], v[0:1], off offset:16
.LBB89_29:
	s_nop 0
	s_sendmsg sendmsg(MSG_DEALLOC_VGPRS)
	s_endpgm
	.section	.rodata,"a",@progbits
	.p2align	6, 0x0
	.amdhsa_kernel _ZN9rocsparseL19gebsrmvn_3xn_kernelILj128ELj5ELj4E21rocsparse_complex_numIfEEEvi20rocsparse_direction_NS_24const_host_device_scalarIT2_EEPKiS8_PKS5_SA_S6_PS5_21rocsparse_index_base_b
		.amdhsa_group_segment_fixed_size 0
		.amdhsa_private_segment_fixed_size 0
		.amdhsa_kernarg_size 72
		.amdhsa_user_sgpr_count 15
		.amdhsa_user_sgpr_dispatch_ptr 0
		.amdhsa_user_sgpr_queue_ptr 0
		.amdhsa_user_sgpr_kernarg_segment_ptr 1
		.amdhsa_user_sgpr_dispatch_id 0
		.amdhsa_user_sgpr_private_segment_size 0
		.amdhsa_wavefront_size32 1
		.amdhsa_uses_dynamic_stack 0
		.amdhsa_enable_private_segment 0
		.amdhsa_system_sgpr_workgroup_id_x 1
		.amdhsa_system_sgpr_workgroup_id_y 0
		.amdhsa_system_sgpr_workgroup_id_z 0
		.amdhsa_system_sgpr_workgroup_info 0
		.amdhsa_system_vgpr_workitem_id 0
		.amdhsa_next_free_vgpr 59
		.amdhsa_next_free_sgpr 16
		.amdhsa_reserve_vcc 1
		.amdhsa_float_round_mode_32 0
		.amdhsa_float_round_mode_16_64 0
		.amdhsa_float_denorm_mode_32 3
		.amdhsa_float_denorm_mode_16_64 3
		.amdhsa_dx10_clamp 1
		.amdhsa_ieee_mode 1
		.amdhsa_fp16_overflow 0
		.amdhsa_workgroup_processor_mode 1
		.amdhsa_memory_ordered 1
		.amdhsa_forward_progress 0
		.amdhsa_shared_vgpr_count 0
		.amdhsa_exception_fp_ieee_invalid_op 0
		.amdhsa_exception_fp_denorm_src 0
		.amdhsa_exception_fp_ieee_div_zero 0
		.amdhsa_exception_fp_ieee_overflow 0
		.amdhsa_exception_fp_ieee_underflow 0
		.amdhsa_exception_fp_ieee_inexact 0
		.amdhsa_exception_int_div_zero 0
	.end_amdhsa_kernel
	.section	.text._ZN9rocsparseL19gebsrmvn_3xn_kernelILj128ELj5ELj4E21rocsparse_complex_numIfEEEvi20rocsparse_direction_NS_24const_host_device_scalarIT2_EEPKiS8_PKS5_SA_S6_PS5_21rocsparse_index_base_b,"axG",@progbits,_ZN9rocsparseL19gebsrmvn_3xn_kernelILj128ELj5ELj4E21rocsparse_complex_numIfEEEvi20rocsparse_direction_NS_24const_host_device_scalarIT2_EEPKiS8_PKS5_SA_S6_PS5_21rocsparse_index_base_b,comdat
.Lfunc_end89:
	.size	_ZN9rocsparseL19gebsrmvn_3xn_kernelILj128ELj5ELj4E21rocsparse_complex_numIfEEEvi20rocsparse_direction_NS_24const_host_device_scalarIT2_EEPKiS8_PKS5_SA_S6_PS5_21rocsparse_index_base_b, .Lfunc_end89-_ZN9rocsparseL19gebsrmvn_3xn_kernelILj128ELj5ELj4E21rocsparse_complex_numIfEEEvi20rocsparse_direction_NS_24const_host_device_scalarIT2_EEPKiS8_PKS5_SA_S6_PS5_21rocsparse_index_base_b
                                        ; -- End function
	.section	.AMDGPU.csdata,"",@progbits
; Kernel info:
; codeLenInByte = 3588
; NumSgprs: 18
; NumVgprs: 59
; ScratchSize: 0
; MemoryBound: 0
; FloatMode: 240
; IeeeMode: 1
; LDSByteSize: 0 bytes/workgroup (compile time only)
; SGPRBlocks: 2
; VGPRBlocks: 7
; NumSGPRsForWavesPerEU: 18
; NumVGPRsForWavesPerEU: 59
; Occupancy: 16
; WaveLimiterHint : 1
; COMPUTE_PGM_RSRC2:SCRATCH_EN: 0
; COMPUTE_PGM_RSRC2:USER_SGPR: 15
; COMPUTE_PGM_RSRC2:TRAP_HANDLER: 0
; COMPUTE_PGM_RSRC2:TGID_X_EN: 1
; COMPUTE_PGM_RSRC2:TGID_Y_EN: 0
; COMPUTE_PGM_RSRC2:TGID_Z_EN: 0
; COMPUTE_PGM_RSRC2:TIDIG_COMP_CNT: 0
	.section	.text._ZN9rocsparseL19gebsrmvn_3xn_kernelILj128ELj5ELj8E21rocsparse_complex_numIfEEEvi20rocsparse_direction_NS_24const_host_device_scalarIT2_EEPKiS8_PKS5_SA_S6_PS5_21rocsparse_index_base_b,"axG",@progbits,_ZN9rocsparseL19gebsrmvn_3xn_kernelILj128ELj5ELj8E21rocsparse_complex_numIfEEEvi20rocsparse_direction_NS_24const_host_device_scalarIT2_EEPKiS8_PKS5_SA_S6_PS5_21rocsparse_index_base_b,comdat
	.globl	_ZN9rocsparseL19gebsrmvn_3xn_kernelILj128ELj5ELj8E21rocsparse_complex_numIfEEEvi20rocsparse_direction_NS_24const_host_device_scalarIT2_EEPKiS8_PKS5_SA_S6_PS5_21rocsparse_index_base_b ; -- Begin function _ZN9rocsparseL19gebsrmvn_3xn_kernelILj128ELj5ELj8E21rocsparse_complex_numIfEEEvi20rocsparse_direction_NS_24const_host_device_scalarIT2_EEPKiS8_PKS5_SA_S6_PS5_21rocsparse_index_base_b
	.p2align	8
	.type	_ZN9rocsparseL19gebsrmvn_3xn_kernelILj128ELj5ELj8E21rocsparse_complex_numIfEEEvi20rocsparse_direction_NS_24const_host_device_scalarIT2_EEPKiS8_PKS5_SA_S6_PS5_21rocsparse_index_base_b,@function
_ZN9rocsparseL19gebsrmvn_3xn_kernelILj128ELj5ELj8E21rocsparse_complex_numIfEEEvi20rocsparse_direction_NS_24const_host_device_scalarIT2_EEPKiS8_PKS5_SA_S6_PS5_21rocsparse_index_base_b: ; @_ZN9rocsparseL19gebsrmvn_3xn_kernelILj128ELj5ELj8E21rocsparse_complex_numIfEEEvi20rocsparse_direction_NS_24const_host_device_scalarIT2_EEPKiS8_PKS5_SA_S6_PS5_21rocsparse_index_base_b
; %bb.0:
	s_clause 0x2
	s_load_b64 s[12:13], s[0:1], 0x40
	s_load_b64 s[4:5], s[0:1], 0x8
	;; [unrolled: 1-line block ×3, first 2 shown]
	s_waitcnt lgkmcnt(0)
	s_bitcmp1_b32 s13, 0
	v_mov_b32_e32 v9, s4
	s_cselect_b32 s6, -1, 0
	s_delay_alu instid0(SALU_CYCLE_1)
	s_and_b32 vcc_lo, exec_lo, s6
	s_xor_b32 s6, s6, -1
	s_cbranch_vccz .LBB90_15
; %bb.1:
	v_cndmask_b32_e64 v1, 0, 1, s6
	v_mov_b32_e32 v10, s5
	s_and_not1_b32 vcc_lo, exec_lo, s6
	s_cbranch_vccz .LBB90_16
.LBB90_2:
	s_delay_alu instid0(VALU_DEP_2)
	v_cmp_ne_u32_e32 vcc_lo, 1, v1
	v_mov_b32_e32 v11, s2
	s_cbranch_vccz .LBB90_17
.LBB90_3:
	v_cmp_ne_u32_e32 vcc_lo, 1, v1
	v_mov_b32_e32 v12, s3
	s_cbranch_vccnz .LBB90_5
.LBB90_4:
	v_dual_mov_b32 v1, s2 :: v_dual_mov_b32 v2, s3
	flat_load_b32 v12, v[1:2] offset:4
.LBB90_5:
	s_waitcnt vmcnt(0) lgkmcnt(0)
	v_cmp_eq_f32_e32 vcc_lo, 0, v9
	v_cmp_eq_f32_e64 s2, 0, v10
	s_delay_alu instid0(VALU_DEP_1)
	s_and_b32 s4, vcc_lo, s2
	s_mov_b32 s2, -1
	s_and_saveexec_b32 s3, s4
; %bb.6:
	v_cmp_neq_f32_e32 vcc_lo, 1.0, v11
	v_cmp_neq_f32_e64 s2, 0, v12
	s_delay_alu instid0(VALU_DEP_1) | instskip(NEXT) | instid1(SALU_CYCLE_1)
	s_or_b32 s2, vcc_lo, s2
	s_or_not1_b32 s2, s2, exec_lo
; %bb.7:
	s_or_b32 exec_lo, exec_lo, s3
	s_and_saveexec_b32 s3, s2
	s_cbranch_execz .LBB90_29
; %bb.8:
	s_load_b64 s[2:3], s[0:1], 0x0
	v_lshrrev_b32_e32 v1, 3, v0
	s_delay_alu instid0(VALU_DEP_1) | instskip(SKIP_1) | instid1(VALU_DEP_1)
	v_lshl_or_b32 v1, s15, 4, v1
	s_waitcnt lgkmcnt(0)
	v_cmp_gt_i32_e32 vcc_lo, s2, v1
	s_and_b32 exec_lo, exec_lo, vcc_lo
	s_cbranch_execz .LBB90_29
; %bb.9:
	s_load_b256 s[4:11], s[0:1], 0x10
	v_ashrrev_i32_e32 v2, 31, v1
	v_and_b32_e32 v0, 7, v0
	s_cmp_lg_u32 s3, 0
	s_delay_alu instid0(VALU_DEP_2) | instskip(SKIP_1) | instid1(VALU_DEP_1)
	v_lshlrev_b64 v[2:3], 2, v[1:2]
	s_waitcnt lgkmcnt(0)
	v_add_co_u32 v2, vcc_lo, s4, v2
	s_delay_alu instid0(VALU_DEP_2) | instskip(SKIP_4) | instid1(VALU_DEP_2)
	v_add_co_ci_u32_e32 v3, vcc_lo, s5, v3, vcc_lo
	global_load_b64 v[2:3], v[2:3], off
	s_waitcnt vmcnt(0)
	v_subrev_nc_u32_e32 v2, s12, v2
	v_subrev_nc_u32_e32 v16, s12, v3
	v_add_nc_u32_e32 v2, v2, v0
	s_delay_alu instid0(VALU_DEP_1)
	v_cmp_lt_i32_e64 s2, v2, v16
	s_cbranch_scc0 .LBB90_18
; %bb.10:
	v_dual_mov_b32 v13, 0 :: v_dual_mov_b32 v18, 0
	v_dual_mov_b32 v17, 0 :: v_dual_mov_b32 v14, 0
	v_mov_b32_e32 v19, 0
	v_mov_b32_e32 v15, 0
	s_mov_b32 s3, 0
	s_and_saveexec_b32 s4, s2
	s_cbranch_execz .LBB90_14
; %bb.11:
	v_mad_u64_u32 v[3:4], null, v2, 15, 14
	v_dual_mov_b32 v6, 0 :: v_dual_mov_b32 v7, v2
	v_dual_mov_b32 v13, 0 :: v_dual_mov_b32 v18, 0
	v_dual_mov_b32 v17, 0 :: v_dual_mov_b32 v14, 0
	v_mov_b32_e32 v19, 0
	v_mov_b32_e32 v15, 0
	s_mov_b32 s5, 0
.LBB90_12:                              ; =>This Inner Loop Header: Depth=1
	v_ashrrev_i32_e32 v8, 31, v7
	s_delay_alu instid0(VALU_DEP_1) | instskip(SKIP_1) | instid1(VALU_DEP_2)
	v_lshlrev_b64 v[4:5], 2, v[7:8]
	v_add_nc_u32_e32 v7, 8, v7
	v_add_co_u32 v4, vcc_lo, s6, v4
	s_delay_alu instid0(VALU_DEP_3) | instskip(SKIP_2) | instid1(VALU_DEP_1)
	v_add_co_ci_u32_e32 v5, vcc_lo, s7, v5, vcc_lo
	global_load_b32 v8, v[4:5], off
	v_dual_mov_b32 v4, v6 :: v_dual_add_nc_u32 v5, -14, v3
	v_lshlrev_b64 v[22:23], 3, v[5:6]
	v_add_nc_u32_e32 v5, -13, v3
	s_delay_alu instid0(VALU_DEP_3) | instskip(NEXT) | instid1(VALU_DEP_2)
	v_lshlrev_b64 v[24:25], 3, v[3:4]
	v_lshlrev_b64 v[26:27], 3, v[5:6]
	v_add_nc_u32_e32 v5, -12, v3
	v_add_co_u32 v22, vcc_lo, s8, v22
	v_add_co_ci_u32_e32 v23, vcc_lo, s9, v23, vcc_lo
	s_delay_alu instid0(VALU_DEP_3) | instskip(SKIP_4) | instid1(VALU_DEP_4)
	v_lshlrev_b64 v[28:29], 3, v[5:6]
	v_add_nc_u32_e32 v5, -11, v3
	v_add_co_u32 v24, vcc_lo, s8, v24
	v_add_co_ci_u32_e32 v25, vcc_lo, s9, v25, vcc_lo
	v_add_co_u32 v26, vcc_lo, s8, v26
	v_lshlrev_b64 v[4:5], 3, v[5:6]
	v_add_co_ci_u32_e32 v27, vcc_lo, s9, v27, vcc_lo
	v_add_co_u32 v28, vcc_lo, s8, v28
	v_add_co_ci_u32_e32 v29, vcc_lo, s9, v29, vcc_lo
	s_delay_alu instid0(VALU_DEP_4)
	v_add_co_u32 v4, vcc_lo, s8, v4
	v_add_co_ci_u32_e32 v5, vcc_lo, s9, v5, vcc_lo
	s_clause 0x3
	global_load_b64 v[22:23], v[22:23], off
	global_load_b64 v[26:27], v[26:27], off
	global_load_b64 v[28:29], v[28:29], off
	global_load_b64 v[30:31], v[4:5], off
	v_mov_b32_e32 v21, v6
	s_waitcnt vmcnt(4)
	v_subrev_nc_u32_e32 v4, s12, v8
	s_delay_alu instid0(VALU_DEP_1) | instskip(NEXT) | instid1(VALU_DEP_1)
	v_lshl_add_u32 v20, v4, 2, v4
	v_lshlrev_b64 v[32:33], 3, v[20:21]
	v_add_nc_u32_e32 v5, 1, v20
	s_delay_alu instid0(VALU_DEP_1) | instskip(NEXT) | instid1(VALU_DEP_3)
	v_lshlrev_b64 v[34:35], 3, v[5:6]
	v_add_co_u32 v32, vcc_lo, s10, v32
	s_delay_alu instid0(VALU_DEP_4) | instskip(NEXT) | instid1(VALU_DEP_3)
	v_add_co_ci_u32_e32 v33, vcc_lo, s11, v33, vcc_lo
	v_add_co_u32 v34, vcc_lo, s10, v34
	global_load_b64 v[32:33], v[32:33], off
	v_add_co_ci_u32_e32 v35, vcc_lo, s11, v35, vcc_lo
	global_load_b64 v[34:35], v[34:35], off
	s_waitcnt vmcnt(1)
	v_fmac_f32_e32 v17, v22, v32
	v_fmac_f32_e32 v14, v29, v32
	;; [unrolled: 1-line block ×5, first 2 shown]
	v_fma_f32 v8, -v23, v33, v17
	v_dual_fmac_f32 v14, v28, v33 :: v_dual_add_nc_u32 v5, -10, v3
	v_dual_fmac_f32 v18, v28, v32 :: v_dual_fmac_f32 v13, v22, v33
	s_waitcnt vmcnt(0)
	s_delay_alu instid0(VALU_DEP_3)
	v_fmac_f32_e32 v8, v30, v34
	v_fma_f32 v17, -v27, v33, v19
	v_lshlrev_b64 v[36:37], 3, v[5:6]
	v_fmac_f32_e32 v15, v26, v33
	v_fma_f32 v18, -v29, v33, v18
	v_fma_f32 v8, -v31, v35, v8
	v_add_nc_u32_e32 v5, -9, v3
	v_fmac_f32_e32 v13, v31, v34
	v_add_co_u32 v36, vcc_lo, s8, v36
	v_add_co_ci_u32_e32 v37, vcc_lo, s9, v37, vcc_lo
	s_delay_alu instid0(VALU_DEP_4)
	v_lshlrev_b64 v[38:39], 3, v[5:6]
	v_add_nc_u32_e32 v5, -8, v3
	v_fmac_f32_e32 v13, v30, v35
	global_load_b64 v[36:37], v[36:37], off
	v_add_co_u32 v38, vcc_lo, s8, v38
	v_add_co_ci_u32_e32 v39, vcc_lo, s9, v39, vcc_lo
	v_lshlrev_b64 v[40:41], 3, v[5:6]
	global_load_b64 v[38:39], v[38:39], off
	v_add_co_u32 v40, vcc_lo, s8, v40
	v_add_co_ci_u32_e32 v41, vcc_lo, s9, v41, vcc_lo
	global_load_b64 v[40:41], v[40:41], off
	s_waitcnt vmcnt(2)
	v_fmac_f32_e32 v17, v36, v34
	v_fmac_f32_e32 v15, v37, v34
	s_delay_alu instid0(VALU_DEP_2) | instskip(SKIP_1) | instid1(VALU_DEP_2)
	v_fma_f32 v17, -v37, v35, v17
	s_waitcnt vmcnt(1)
	v_dual_fmac_f32 v15, v36, v35 :: v_dual_fmac_f32 v14, v39, v34
	v_dual_fmac_f32 v18, v38, v34 :: v_dual_add_nc_u32 v5, 2, v20
	s_delay_alu instid0(VALU_DEP_2) | instskip(NEXT) | instid1(VALU_DEP_2)
	v_fmac_f32_e32 v14, v38, v35
	v_lshlrev_b64 v[42:43], 3, v[5:6]
	s_delay_alu instid0(VALU_DEP_3) | instskip(NEXT) | instid1(VALU_DEP_2)
	v_fma_f32 v18, -v39, v35, v18
	v_add_co_u32 v42, vcc_lo, s10, v42
	s_delay_alu instid0(VALU_DEP_3) | instskip(SKIP_2) | instid1(VALU_DEP_1)
	v_add_co_ci_u32_e32 v43, vcc_lo, s11, v43, vcc_lo
	global_load_b64 v[42:43], v[42:43], off
	v_add_nc_u32_e32 v5, -7, v3
	v_lshlrev_b64 v[44:45], 3, v[5:6]
	s_delay_alu instid0(VALU_DEP_1) | instskip(NEXT) | instid1(VALU_DEP_2)
	v_add_co_u32 v44, vcc_lo, s8, v44
	v_add_co_ci_u32_e32 v45, vcc_lo, s9, v45, vcc_lo
	global_load_b64 v[44:45], v[44:45], off
	s_waitcnt vmcnt(1)
	v_fmac_f32_e32 v8, v40, v42
	v_fmac_f32_e32 v13, v41, v42
	s_delay_alu instid0(VALU_DEP_2) | instskip(SKIP_1) | instid1(VALU_DEP_3)
	v_fma_f32 v8, -v41, v43, v8
	v_add_nc_u32_e32 v5, -6, v3
	v_fmac_f32_e32 v13, v40, v43
	s_delay_alu instid0(VALU_DEP_2) | instskip(SKIP_1) | instid1(VALU_DEP_2)
	v_lshlrev_b64 v[46:47], 3, v[5:6]
	v_add_nc_u32_e32 v5, -5, v3
	v_add_co_u32 v46, vcc_lo, s8, v46
	s_delay_alu instid0(VALU_DEP_3) | instskip(NEXT) | instid1(VALU_DEP_3)
	v_add_co_ci_u32_e32 v47, vcc_lo, s9, v47, vcc_lo
	v_lshlrev_b64 v[48:49], 3, v[5:6]
	global_load_b64 v[46:47], v[46:47], off
	v_add_co_u32 v48, vcc_lo, s8, v48
	v_add_co_ci_u32_e32 v49, vcc_lo, s9, v49, vcc_lo
	global_load_b64 v[48:49], v[48:49], off
	s_waitcnt vmcnt(2)
	v_fmac_f32_e32 v17, v44, v42
	v_fmac_f32_e32 v15, v45, v42
	s_delay_alu instid0(VALU_DEP_2) | instskip(SKIP_1) | instid1(VALU_DEP_2)
	v_fma_f32 v17, -v45, v43, v17
	s_waitcnt vmcnt(1)
	v_dual_fmac_f32 v15, v44, v43 :: v_dual_fmac_f32 v14, v47, v42
	v_dual_fmac_f32 v18, v46, v42 :: v_dual_add_nc_u32 v5, 3, v20
	s_delay_alu instid0(VALU_DEP_2) | instskip(NEXT) | instid1(VALU_DEP_2)
	v_fmac_f32_e32 v14, v46, v43
	v_lshlrev_b64 v[50:51], 3, v[5:6]
	s_delay_alu instid0(VALU_DEP_3) | instskip(NEXT) | instid1(VALU_DEP_2)
	v_fma_f32 v18, -v47, v43, v18
	v_add_co_u32 v50, vcc_lo, s10, v50
	s_delay_alu instid0(VALU_DEP_3) | instskip(SKIP_2) | instid1(VALU_DEP_1)
	v_add_co_ci_u32_e32 v51, vcc_lo, s11, v51, vcc_lo
	global_load_b64 v[50:51], v[50:51], off
	v_add_nc_u32_e32 v5, -4, v3
	v_lshlrev_b64 v[52:53], 3, v[5:6]
	s_delay_alu instid0(VALU_DEP_1) | instskip(NEXT) | instid1(VALU_DEP_2)
	v_add_co_u32 v52, vcc_lo, s8, v52
	v_add_co_ci_u32_e32 v53, vcc_lo, s9, v53, vcc_lo
	s_waitcnt vmcnt(0)
	v_fmac_f32_e32 v8, v48, v50
	v_fmac_f32_e32 v13, v49, v50
	s_delay_alu instid0(VALU_DEP_2) | instskip(SKIP_1) | instid1(VALU_DEP_3)
	v_fma_f32 v8, -v49, v51, v8
	v_add_nc_u32_e32 v5, -3, v3
	v_fmac_f32_e32 v13, v48, v51
	s_delay_alu instid0(VALU_DEP_2) | instskip(SKIP_1) | instid1(VALU_DEP_1)
	v_lshlrev_b64 v[54:55], 3, v[5:6]
	v_add_nc_u32_e32 v5, -2, v3
	v_lshlrev_b64 v[56:57], 3, v[5:6]
	v_add_nc_u32_e32 v5, 4, v20
	global_load_b64 v[20:21], v[52:53], off
	v_add_co_u32 v52, vcc_lo, s8, v54
	v_add_co_ci_u32_e32 v53, vcc_lo, s9, v55, vcc_lo
	v_add_co_u32 v56, vcc_lo, s8, v56
	v_add_co_ci_u32_e32 v57, vcc_lo, s9, v57, vcc_lo
	s_clause 0x1
	global_load_b64 v[52:53], v[52:53], off
	global_load_b64 v[56:57], v[56:57], off
	s_waitcnt vmcnt(2)
	v_fmac_f32_e32 v17, v20, v50
	v_fmac_f32_e32 v15, v21, v50
	s_delay_alu instid0(VALU_DEP_2) | instskip(SKIP_1) | instid1(VALU_DEP_2)
	v_fma_f32 v19, -v21, v51, v17
	s_waitcnt vmcnt(1)
	v_dual_fmac_f32 v15, v20, v51 :: v_dual_fmac_f32 v14, v53, v50
	v_fmac_f32_e32 v18, v52, v50
	s_delay_alu instid0(VALU_DEP_2) | instskip(SKIP_2) | instid1(VALU_DEP_4)
	v_fmac_f32_e32 v14, v52, v51
	v_lshlrev_b64 v[54:55], 3, v[5:6]
	v_add_nc_u32_e32 v5, -1, v3
	v_fma_f32 v18, -v53, v51, v18
	v_add_nc_u32_e32 v3, 0x78, v3
	s_delay_alu instid0(VALU_DEP_3) | instskip(SKIP_2) | instid1(VALU_DEP_3)
	v_lshlrev_b64 v[4:5], 3, v[5:6]
	v_add_co_u32 v54, vcc_lo, s10, v54
	v_add_co_ci_u32_e32 v55, vcc_lo, s11, v55, vcc_lo
	v_add_co_u32 v4, vcc_lo, s8, v4
	s_delay_alu instid0(VALU_DEP_4)
	v_add_co_ci_u32_e32 v5, vcc_lo, s9, v5, vcc_lo
	global_load_b64 v[54:55], v[54:55], off
	s_clause 0x1
	global_load_b64 v[4:5], v[4:5], off
	global_load_b64 v[24:25], v[24:25], off
	v_cmp_ge_i32_e32 vcc_lo, v7, v16
	s_or_b32 s5, vcc_lo, s5
	s_waitcnt vmcnt(2)
	v_fmac_f32_e32 v8, v56, v54
	v_fmac_f32_e32 v13, v57, v54
	s_waitcnt vmcnt(0)
	v_fmac_f32_e32 v14, v25, v54
	v_fmac_f32_e32 v19, v4, v54
	v_fmac_f32_e32 v15, v5, v54
	v_fmac_f32_e32 v18, v24, v54
	v_fma_f32 v17, -v57, v55, v8
	v_fmac_f32_e32 v13, v56, v55
	v_fma_f32 v19, -v5, v55, v19
	v_fmac_f32_e32 v15, v4, v55
	;; [unrolled: 2-line block ×3, first 2 shown]
	s_and_not1_b32 exec_lo, exec_lo, s5
	s_cbranch_execnz .LBB90_12
; %bb.13:
	s_or_b32 exec_lo, exec_lo, s5
.LBB90_14:
	s_delay_alu instid0(SALU_CYCLE_1) | instskip(NEXT) | instid1(SALU_CYCLE_1)
	s_or_b32 exec_lo, exec_lo, s4
	s_and_not1_b32 vcc_lo, exec_lo, s3
	s_cbranch_vccz .LBB90_19
	s_branch .LBB90_24
.LBB90_15:
	v_dual_mov_b32 v1, s4 :: v_dual_mov_b32 v2, s5
	flat_load_b32 v9, v[1:2]
	v_cndmask_b32_e64 v1, 0, 1, s6
	v_mov_b32_e32 v10, s5
	s_and_not1_b32 vcc_lo, exec_lo, s6
	s_cbranch_vccnz .LBB90_2
.LBB90_16:
	v_dual_mov_b32 v2, s4 :: v_dual_mov_b32 v3, s5
	flat_load_b32 v10, v[2:3] offset:4
	v_cmp_ne_u32_e32 vcc_lo, 1, v1
	v_mov_b32_e32 v11, s2
	s_cbranch_vccnz .LBB90_3
.LBB90_17:
	v_dual_mov_b32 v2, s2 :: v_dual_mov_b32 v3, s3
	flat_load_b32 v11, v[2:3]
	v_cmp_ne_u32_e32 vcc_lo, 1, v1
	v_mov_b32_e32 v12, s3
	s_cbranch_vccz .LBB90_4
	s_branch .LBB90_5
.LBB90_18:
                                        ; implicit-def: $vgpr13
                                        ; implicit-def: $vgpr17
                                        ; implicit-def: $vgpr18
                                        ; implicit-def: $vgpr14
                                        ; implicit-def: $vgpr19
                                        ; implicit-def: $vgpr15
.LBB90_19:
	v_dual_mov_b32 v13, 0 :: v_dual_mov_b32 v18, 0
	v_dual_mov_b32 v17, 0 :: v_dual_mov_b32 v14, 0
	v_mov_b32_e32 v19, 0
	v_mov_b32_e32 v15, 0
	s_and_saveexec_b32 s3, s2
	s_cbranch_execz .LBB90_23
; %bb.20:
	v_mad_u64_u32 v[4:5], null, v2, 15, 14
	v_dual_mov_b32 v7, 0 :: v_dual_mov_b32 v18, 0
	v_dual_mov_b32 v13, 0 :: v_dual_mov_b32 v14, 0
	v_mov_b32_e32 v17, 0
	v_mov_b32_e32 v19, 0
	;; [unrolled: 1-line block ×3, first 2 shown]
	s_mov_b32 s2, 0
.LBB90_21:                              ; =>This Inner Loop Header: Depth=1
	v_ashrrev_i32_e32 v3, 31, v2
	v_dual_mov_b32 v23, v7 :: v_dual_add_nc_u32 v20, -9, v4
	v_dual_mov_b32 v21, v7 :: v_dual_add_nc_u32 v22, -4, v4
	s_delay_alu instid0(VALU_DEP_3) | instskip(NEXT) | instid1(VALU_DEP_2)
	v_lshlrev_b64 v[5:6], 2, v[2:3]
	v_lshlrev_b64 v[20:21], 3, v[20:21]
	s_delay_alu instid0(VALU_DEP_2) | instskip(NEXT) | instid1(VALU_DEP_3)
	v_add_co_u32 v5, vcc_lo, s6, v5
	v_add_co_ci_u32_e32 v6, vcc_lo, s7, v6, vcc_lo
	global_load_b32 v3, v[5:6], off
	v_dual_mov_b32 v5, v7 :: v_dual_add_nc_u32 v6, -14, v4
	v_lshlrev_b64 v[22:23], 3, v[22:23]
	s_delay_alu instid0(VALU_DEP_2) | instskip(NEXT) | instid1(VALU_DEP_3)
	v_lshlrev_b64 v[27:28], 3, v[4:5]
	v_lshlrev_b64 v[25:26], 3, v[6:7]
	v_add_nc_u32_e32 v6, -13, v4
	s_delay_alu instid0(VALU_DEP_1) | instskip(NEXT) | instid1(VALU_DEP_3)
	v_lshlrev_b64 v[5:6], 3, v[6:7]
	v_add_co_u32 v25, vcc_lo, s8, v25
	s_delay_alu instid0(VALU_DEP_4)
	v_add_co_ci_u32_e32 v26, vcc_lo, s9, v26, vcc_lo
	v_add_co_u32 v20, vcc_lo, s8, v20
	v_add_co_ci_u32_e32 v21, vcc_lo, s9, v21, vcc_lo
	v_add_co_u32 v22, vcc_lo, s8, v22
	;; [unrolled: 2-line block ×4, first 2 shown]
	v_add_co_ci_u32_e32 v6, vcc_lo, s9, v6, vcc_lo
	s_clause 0x3
	global_load_b64 v[25:26], v[25:26], off
	global_load_b64 v[20:21], v[20:21], off
	;; [unrolled: 1-line block ×4, first 2 shown]
	v_mov_b32_e32 v24, v7
	s_waitcnt vmcnt(4)
	v_subrev_nc_u32_e32 v3, s12, v3
	s_delay_alu instid0(VALU_DEP_1) | instskip(NEXT) | instid1(VALU_DEP_1)
	v_lshl_add_u32 v23, v3, 2, v3
	v_lshlrev_b64 v[33:34], 3, v[23:24]
	s_delay_alu instid0(VALU_DEP_1) | instskip(NEXT) | instid1(VALU_DEP_2)
	v_add_co_u32 v33, vcc_lo, s10, v33
	v_add_co_ci_u32_e32 v34, vcc_lo, s11, v34, vcc_lo
	global_load_b64 v[33:34], v[33:34], off
	v_add_nc_u32_e32 v6, 1, v23
	s_delay_alu instid0(VALU_DEP_1) | instskip(NEXT) | instid1(VALU_DEP_1)
	v_lshlrev_b64 v[35:36], 3, v[6:7]
	v_add_co_u32 v35, vcc_lo, s10, v35
	s_delay_alu instid0(VALU_DEP_2) | instskip(SKIP_3) | instid1(VALU_DEP_1)
	v_add_co_ci_u32_e32 v36, vcc_lo, s11, v36, vcc_lo
	global_load_b64 v[35:36], v[35:36], off
	s_waitcnt vmcnt(1)
	v_dual_fmac_f32 v15, v21, v33 :: v_dual_add_nc_u32 v6, -8, v4
	v_lshlrev_b64 v[37:38], 3, v[6:7]
	v_dual_fmac_f32 v13, v26, v33 :: v_dual_add_nc_u32 v6, -3, v4
	v_fmac_f32_e32 v17, v25, v33
	s_delay_alu instid0(VALU_DEP_4) | instskip(NEXT) | instid1(VALU_DEP_4)
	v_dual_fmac_f32 v15, v20, v34 :: v_dual_fmac_f32 v18, v29, v33
	v_add_co_u32 v37, vcc_lo, s8, v37
	v_add_co_ci_u32_e32 v38, vcc_lo, s9, v38, vcc_lo
	v_fmac_f32_e32 v13, v25, v34
	v_lshlrev_b64 v[39:40], 3, v[6:7]
	v_add_nc_u32_e32 v6, -12, v4
	global_load_b64 v[37:38], v[37:38], off
	v_add_nc_u32_e32 v2, 8, v2
	v_fma_f32 v3, -v26, v34, v17
	v_fma_f32 v17, -v30, v34, v18
	v_lshlrev_b64 v[41:42], 3, v[6:7]
	s_waitcnt vmcnt(1)
	v_fmac_f32_e32 v13, v32, v35
	v_add_nc_u32_e32 v6, 2, v23
	v_add_co_u32 v39, vcc_lo, s8, v39
	v_add_co_ci_u32_e32 v40, vcc_lo, s9, v40, vcc_lo
	s_delay_alu instid0(VALU_DEP_4) | instskip(NEXT) | instid1(VALU_DEP_4)
	v_fmac_f32_e32 v13, v31, v36
	v_lshlrev_b64 v[43:44], 3, v[6:7]
	v_add_co_u32 v41, vcc_lo, s8, v41
	global_load_b64 v[39:40], v[39:40], off
	v_dual_fmac_f32 v3, v31, v35 :: v_dual_add_nc_u32 v6, -7, v4
	v_add_co_ci_u32_e32 v42, vcc_lo, s9, v42, vcc_lo
	v_add_co_u32 v43, vcc_lo, s10, v43
	v_add_co_ci_u32_e32 v44, vcc_lo, s11, v44, vcc_lo
	s_delay_alu instid0(VALU_DEP_4)
	v_lshlrev_b64 v[45:46], 3, v[6:7]
	global_load_b64 v[41:42], v[41:42], off
	v_add_nc_u32_e32 v6, -2, v4
	global_load_b64 v[43:44], v[43:44], off
	v_fma_f32 v3, -v32, v36, v3
	v_fmac_f32_e32 v19, v20, v33
	v_add_co_u32 v45, vcc_lo, s8, v45
	v_add_co_ci_u32_e32 v46, vcc_lo, s9, v46, vcc_lo
	s_delay_alu instid0(VALU_DEP_3)
	v_fma_f32 v8, -v21, v34, v19
	global_load_b64 v[45:46], v[45:46], off
	s_waitcnt vmcnt(4)
	v_fmac_f32_e32 v15, v38, v35
	v_lshlrev_b64 v[47:48], 3, v[6:7]
	v_add_nc_u32_e32 v6, -11, v4
	s_delay_alu instid0(VALU_DEP_3) | instskip(NEXT) | instid1(VALU_DEP_3)
	v_fmac_f32_e32 v15, v37, v36
	v_add_co_u32 v47, vcc_lo, s8, v47
	s_delay_alu instid0(VALU_DEP_4)
	v_add_co_ci_u32_e32 v48, vcc_lo, s9, v48, vcc_lo
	global_load_b64 v[47:48], v[47:48], off
	s_waitcnt vmcnt(4)
	v_fmac_f32_e32 v17, v39, v35
	v_lshlrev_b64 v[49:50], 3, v[6:7]
	v_add_nc_u32_e32 v6, 3, v23
	s_delay_alu instid0(VALU_DEP_3) | instskip(NEXT) | instid1(VALU_DEP_2)
	v_fma_f32 v17, -v40, v36, v17
	v_lshlrev_b64 v[51:52], 3, v[6:7]
	v_add_nc_u32_e32 v6, -6, v4
	v_add_co_u32 v49, vcc_lo, s8, v49
	v_add_co_ci_u32_e32 v50, vcc_lo, s9, v50, vcc_lo
	s_waitcnt vmcnt(2)
	v_fmac_f32_e32 v3, v41, v43
	v_lshlrev_b64 v[53:54], 3, v[6:7]
	v_dual_fmac_f32 v13, v42, v43 :: v_dual_add_nc_u32 v6, -1, v4
	v_add_co_u32 v51, vcc_lo, s10, v51
	global_load_b64 v[49:50], v[49:50], off
	v_add_co_ci_u32_e32 v52, vcc_lo, s11, v52, vcc_lo
	v_lshlrev_b64 v[55:56], 3, v[6:7]
	s_waitcnt vmcnt(2)
	v_dual_fmac_f32 v15, v46, v43 :: v_dual_add_nc_u32 v6, -10, v4
	v_add_co_u32 v53, vcc_lo, s8, v53
	v_add_co_ci_u32_e32 v54, vcc_lo, s9, v54, vcc_lo
	s_delay_alu instid0(VALU_DEP_3)
	v_lshlrev_b64 v[57:58], 3, v[6:7]
	v_dual_fmac_f32 v13, v41, v44 :: v_dual_add_nc_u32 v6, 4, v23
	global_load_b64 v[22:23], v[53:54], off
	v_add_co_u32 v53, vcc_lo, s8, v55
	v_add_co_ci_u32_e32 v54, vcc_lo, s9, v56, vcc_lo
	v_lshlrev_b64 v[55:56], 3, v[6:7]
	v_add_nc_u32_e32 v6, -5, v4
	global_load_b64 v[51:52], v[51:52], off
	v_add_co_u32 v57, vcc_lo, s8, v57
	v_add_co_ci_u32_e32 v58, vcc_lo, s9, v58, vcc_lo
	v_add_co_u32 v55, vcc_lo, s10, v55
	v_add_co_ci_u32_e32 v56, vcc_lo, s11, v56, vcc_lo
	s_clause 0x1
	global_load_b64 v[53:54], v[53:54], off
	global_load_b64 v[57:58], v[57:58], off
	v_dual_fmac_f32 v14, v30, v33 :: v_dual_fmac_f32 v15, v45, v44
	v_fma_f32 v3, -v42, v44, v3
	v_add_nc_u32_e32 v4, 0x78, v4
	s_waitcnt vmcnt(5)
	s_delay_alu instid0(VALU_DEP_3) | instskip(SKIP_1) | instid1(VALU_DEP_2)
	v_dual_fmac_f32 v14, v29, v34 :: v_dual_fmac_f32 v17, v47, v43
	v_lshlrev_b64 v[5:6], 3, v[6:7]
	v_fma_f32 v17, -v48, v44, v17
	s_delay_alu instid0(VALU_DEP_2) | instskip(NEXT) | instid1(VALU_DEP_3)
	v_add_co_u32 v5, vcc_lo, s8, v5
	v_add_co_ci_u32_e32 v6, vcc_lo, s9, v6, vcc_lo
	global_load_b64 v[55:56], v[55:56], off
	s_clause 0x1
	global_load_b64 v[5:6], v[5:6], off
	global_load_b64 v[27:28], v[27:28], off
	v_cmp_ge_i32_e32 vcc_lo, v2, v16
	s_or_b32 s2, vcc_lo, s2
	s_waitcnt vmcnt(5)
	v_fmac_f32_e32 v15, v23, v51
	v_fmac_f32_e32 v13, v50, v51
	;; [unrolled: 1-line block ×8, first 2 shown]
	v_fma_f32 v8, -v38, v36, v8
	s_waitcnt vmcnt(4)
	v_fmac_f32_e32 v17, v53, v51
	v_fma_f32 v3, -v50, v52, v3
	s_delay_alu instid0(VALU_DEP_3) | instskip(NEXT) | instid1(VALU_DEP_3)
	v_fmac_f32_e32 v8, v45, v43
	v_fma_f32 v18, -v54, v52, v17
	s_delay_alu instid0(VALU_DEP_2)
	v_fma_f32 v8, -v46, v44, v8
	s_waitcnt vmcnt(2)
	v_fmac_f32_e32 v13, v58, v55
	v_fmac_f32_e32 v14, v48, v43
	;; [unrolled: 1-line block ×3, first 2 shown]
	s_waitcnt vmcnt(0)
	v_fmac_f32_e32 v18, v27, v55
	v_fmac_f32_e32 v15, v6, v55
	;; [unrolled: 1-line block ×5, first 2 shown]
	v_fma_f32 v17, -v58, v56, v3
	v_fmac_f32_e32 v15, v5, v56
	v_fma_f32 v18, -v28, v56, v18
	v_fmac_f32_e32 v14, v54, v51
	v_fma_f32 v8, -v23, v52, v8
	s_delay_alu instid0(VALU_DEP_2) | instskip(NEXT) | instid1(VALU_DEP_2)
	v_fmac_f32_e32 v14, v53, v52
	v_fmac_f32_e32 v8, v5, v55
	s_delay_alu instid0(VALU_DEP_2) | instskip(NEXT) | instid1(VALU_DEP_2)
	v_fmac_f32_e32 v14, v28, v55
	v_fma_f32 v19, -v6, v56, v8
	s_delay_alu instid0(VALU_DEP_2)
	v_fmac_f32_e32 v14, v27, v56
	s_and_not1_b32 exec_lo, exec_lo, s2
	s_cbranch_execnz .LBB90_21
; %bb.22:
	s_or_b32 exec_lo, exec_lo, s2
.LBB90_23:
	s_delay_alu instid0(SALU_CYCLE_1)
	s_or_b32 exec_lo, exec_lo, s3
.LBB90_24:
	v_mbcnt_lo_u32_b32 v2, -1, 0
	s_delay_alu instid0(VALU_DEP_1) | instskip(SKIP_1) | instid1(VALU_DEP_2)
	v_xor_b32_e32 v3, 4, v2
	v_xor_b32_e32 v16, 2, v2
	v_cmp_gt_i32_e32 vcc_lo, 32, v3
	v_cndmask_b32_e32 v3, v2, v3, vcc_lo
	s_delay_alu instid0(VALU_DEP_3) | instskip(SKIP_1) | instid1(VALU_DEP_1)
	v_cmp_gt_i32_e32 vcc_lo, 32, v16
	v_cndmask_b32_e32 v16, v2, v16, vcc_lo
	v_lshlrev_b32_e32 v16, 2, v16
	s_delay_alu instid0(VALU_DEP_4)
	v_lshlrev_b32_e32 v3, 2, v3
	ds_bpermute_b32 v4, v3, v17
	s_waitcnt lgkmcnt(0)
	v_add_f32_e32 v4, v17, v4
	ds_bpermute_b32 v6, v3, v19
	ds_bpermute_b32 v5, v3, v13
	;; [unrolled: 1-line block ×5, first 2 shown]
	s_waitcnt lgkmcnt(4)
	v_add_f32_e32 v6, v19, v6
	v_xor_b32_e32 v19, 1, v2
	s_waitcnt lgkmcnt(3)
	v_add_f32_e32 v5, v13, v5
	s_delay_alu instid0(VALU_DEP_2)
	v_cmp_gt_i32_e32 vcc_lo, 32, v19
	v_cndmask_b32_e32 v2, v2, v19, vcc_lo
	s_waitcnt lgkmcnt(0)
	v_add_f32_e32 v14, v14, v3
	ds_bpermute_b32 v3, v16, v4
	v_cmp_eq_u32_e32 vcc_lo, 7, v0
	v_lshlrev_b32_e32 v19, 2, v2
	v_add_f32_e32 v13, v15, v7
	v_add_f32_e32 v15, v18, v8
	ds_bpermute_b32 v7, v16, v5
	ds_bpermute_b32 v8, v16, v6
	;; [unrolled: 1-line block ×5, first 2 shown]
	s_waitcnt lgkmcnt(5)
	v_add_f32_e32 v2, v4, v3
	s_waitcnt lgkmcnt(4)
	v_add_f32_e32 v5, v5, v7
	;; [unrolled: 2-line block ×3, first 2 shown]
	ds_bpermute_b32 v6, v19, v2
	s_waitcnt lgkmcnt(1)
	v_dual_add_f32 v3, v15, v18 :: v_dual_add_f32 v4, v14, v16
	v_add_f32_e32 v8, v13, v17
	ds_bpermute_b32 v15, v19, v5
	ds_bpermute_b32 v16, v19, v7
	;; [unrolled: 1-line block ×5, first 2 shown]
	s_and_b32 exec_lo, exec_lo, vcc_lo
	s_cbranch_execz .LBB90_29
; %bb.25:
	s_load_b64 s[2:3], s[0:1], 0x38
	v_cmp_eq_f32_e32 vcc_lo, 0, v11
	v_cmp_eq_f32_e64 s0, 0, v12
	s_waitcnt lgkmcnt(0)
	v_add_f32_e32 v0, v2, v6
	v_dual_add_f32 v6, v5, v15 :: v_dual_add_f32 v3, v3, v13
	v_dual_add_f32 v2, v7, v16 :: v_dual_add_f32 v5, v8, v17
	v_add_f32_e32 v4, v4, v14
	s_and_b32 s0, vcc_lo, s0
	s_delay_alu instid0(SALU_CYCLE_1) | instskip(NEXT) | instid1(SALU_CYCLE_1)
	s_and_saveexec_b32 s1, s0
	s_xor_b32 s0, exec_lo, s1
	s_cbranch_execz .LBB90_27
; %bb.26:
	v_lshl_add_u32 v7, v1, 1, v1
	v_mul_f32_e64 v11, v6, -v10
	v_mul_f32_e32 v12, v6, v9
	v_mul_f32_e64 v13, v5, -v10
	v_mul_f32_e32 v14, v5, v9
	v_ashrrev_i32_e32 v8, 31, v7
	v_fmac_f32_e32 v11, v9, v0
	v_mul_f32_e64 v5, v4, -v10
	v_dual_mul_f32 v6, v4, v9 :: v_dual_fmac_f32 v13, v9, v2
	s_delay_alu instid0(VALU_DEP_4) | instskip(NEXT) | instid1(VALU_DEP_3)
	v_lshlrev_b64 v[7:8], 3, v[7:8]
	v_dual_fmac_f32 v12, v10, v0 :: v_dual_fmac_f32 v5, v9, v3
	v_fmac_f32_e32 v14, v10, v2
	s_delay_alu instid0(VALU_DEP_4) | instskip(NEXT) | instid1(VALU_DEP_4)
	v_fmac_f32_e32 v6, v10, v3
                                        ; implicit-def: $vgpr9
                                        ; implicit-def: $vgpr10
                                        ; implicit-def: $vgpr2
                                        ; implicit-def: $vgpr3
                                        ; implicit-def: $vgpr4
	v_add_co_u32 v0, vcc_lo, s2, v7
	v_add_co_ci_u32_e32 v1, vcc_lo, s3, v8, vcc_lo
	s_clause 0x1
	global_store_b128 v[0:1], v[11:14], off
	global_store_b64 v[0:1], v[5:6], off offset:16
                                        ; implicit-def: $vgpr11
                                        ; implicit-def: $vgpr12
                                        ; implicit-def: $vgpr1
                                        ; implicit-def: $vgpr0
                                        ; implicit-def: $vgpr6
                                        ; implicit-def: $vgpr5
.LBB90_27:
	s_and_not1_saveexec_b32 s0, s0
	s_cbranch_execz .LBB90_29
; %bb.28:
	v_lshl_add_u32 v7, v1, 1, v1
	v_mul_f32_e64 v21, v5, -v10
	v_mul_f32_e64 v22, v4, -v10
	s_delay_alu instid0(VALU_DEP_3) | instskip(NEXT) | instid1(VALU_DEP_1)
	v_ashrrev_i32_e32 v8, 31, v7
	v_lshlrev_b64 v[7:8], 3, v[7:8]
	s_delay_alu instid0(VALU_DEP_1) | instskip(NEXT) | instid1(VALU_DEP_2)
	v_add_co_u32 v17, vcc_lo, s2, v7
	v_add_co_ci_u32_e32 v18, vcc_lo, s3, v8, vcc_lo
	v_mul_f32_e64 v7, v6, -v10
	v_mul_f32_e32 v6, v6, v9
	s_clause 0x1
	global_load_b128 v[13:16], v[17:18], off
	global_load_b64 v[19:20], v[17:18], off offset:16
	v_fmac_f32_e32 v7, v9, v0
	v_dual_mul_f32 v1, v4, v9 :: v_dual_fmac_f32 v6, v10, v0
	v_mul_f32_e32 v8, v5, v9
	v_fmac_f32_e32 v21, v9, v2
	s_delay_alu instid0(VALU_DEP_3) | instskip(SKIP_1) | instid1(VALU_DEP_3)
	v_fmac_f32_e32 v1, v10, v3
	s_waitcnt vmcnt(1)
	v_dual_fmac_f32 v8, v10, v2 :: v_dual_fmac_f32 v7, v11, v13
	v_fmac_f32_e32 v6, v12, v13
	s_waitcnt vmcnt(0)
	v_fmac_f32_e32 v1, v12, v19
	v_fmac_f32_e32 v21, v11, v15
	v_fmac_f32_e32 v8, v12, v15
	v_fma_f32 v5, -v12, v14, v7
	v_fmac_f32_e32 v6, v11, v14
	v_dual_fmac_f32 v22, v9, v3 :: v_dual_fmac_f32 v1, v11, v20
	v_fma_f32 v7, -v12, v16, v21
	v_fmac_f32_e32 v8, v11, v16
	s_delay_alu instid0(VALU_DEP_3) | instskip(NEXT) | instid1(VALU_DEP_1)
	v_fmac_f32_e32 v22, v11, v19
	v_fma_f32 v0, -v12, v20, v22
	s_clause 0x1
	global_store_b128 v[17:18], v[5:8], off
	global_store_b64 v[17:18], v[0:1], off offset:16
.LBB90_29:
	s_nop 0
	s_sendmsg sendmsg(MSG_DEALLOC_VGPRS)
	s_endpgm
	.section	.rodata,"a",@progbits
	.p2align	6, 0x0
	.amdhsa_kernel _ZN9rocsparseL19gebsrmvn_3xn_kernelILj128ELj5ELj8E21rocsparse_complex_numIfEEEvi20rocsparse_direction_NS_24const_host_device_scalarIT2_EEPKiS8_PKS5_SA_S6_PS5_21rocsparse_index_base_b
		.amdhsa_group_segment_fixed_size 0
		.amdhsa_private_segment_fixed_size 0
		.amdhsa_kernarg_size 72
		.amdhsa_user_sgpr_count 15
		.amdhsa_user_sgpr_dispatch_ptr 0
		.amdhsa_user_sgpr_queue_ptr 0
		.amdhsa_user_sgpr_kernarg_segment_ptr 1
		.amdhsa_user_sgpr_dispatch_id 0
		.amdhsa_user_sgpr_private_segment_size 0
		.amdhsa_wavefront_size32 1
		.amdhsa_uses_dynamic_stack 0
		.amdhsa_enable_private_segment 0
		.amdhsa_system_sgpr_workgroup_id_x 1
		.amdhsa_system_sgpr_workgroup_id_y 0
		.amdhsa_system_sgpr_workgroup_id_z 0
		.amdhsa_system_sgpr_workgroup_info 0
		.amdhsa_system_vgpr_workitem_id 0
		.amdhsa_next_free_vgpr 59
		.amdhsa_next_free_sgpr 16
		.amdhsa_reserve_vcc 1
		.amdhsa_float_round_mode_32 0
		.amdhsa_float_round_mode_16_64 0
		.amdhsa_float_denorm_mode_32 3
		.amdhsa_float_denorm_mode_16_64 3
		.amdhsa_dx10_clamp 1
		.amdhsa_ieee_mode 1
		.amdhsa_fp16_overflow 0
		.amdhsa_workgroup_processor_mode 1
		.amdhsa_memory_ordered 1
		.amdhsa_forward_progress 0
		.amdhsa_shared_vgpr_count 0
		.amdhsa_exception_fp_ieee_invalid_op 0
		.amdhsa_exception_fp_denorm_src 0
		.amdhsa_exception_fp_ieee_div_zero 0
		.amdhsa_exception_fp_ieee_overflow 0
		.amdhsa_exception_fp_ieee_underflow 0
		.amdhsa_exception_fp_ieee_inexact 0
		.amdhsa_exception_int_div_zero 0
	.end_amdhsa_kernel
	.section	.text._ZN9rocsparseL19gebsrmvn_3xn_kernelILj128ELj5ELj8E21rocsparse_complex_numIfEEEvi20rocsparse_direction_NS_24const_host_device_scalarIT2_EEPKiS8_PKS5_SA_S6_PS5_21rocsparse_index_base_b,"axG",@progbits,_ZN9rocsparseL19gebsrmvn_3xn_kernelILj128ELj5ELj8E21rocsparse_complex_numIfEEEvi20rocsparse_direction_NS_24const_host_device_scalarIT2_EEPKiS8_PKS5_SA_S6_PS5_21rocsparse_index_base_b,comdat
.Lfunc_end90:
	.size	_ZN9rocsparseL19gebsrmvn_3xn_kernelILj128ELj5ELj8E21rocsparse_complex_numIfEEEvi20rocsparse_direction_NS_24const_host_device_scalarIT2_EEPKiS8_PKS5_SA_S6_PS5_21rocsparse_index_base_b, .Lfunc_end90-_ZN9rocsparseL19gebsrmvn_3xn_kernelILj128ELj5ELj8E21rocsparse_complex_numIfEEEvi20rocsparse_direction_NS_24const_host_device_scalarIT2_EEPKiS8_PKS5_SA_S6_PS5_21rocsparse_index_base_b
                                        ; -- End function
	.section	.AMDGPU.csdata,"",@progbits
; Kernel info:
; codeLenInByte = 3708
; NumSgprs: 18
; NumVgprs: 59
; ScratchSize: 0
; MemoryBound: 0
; FloatMode: 240
; IeeeMode: 1
; LDSByteSize: 0 bytes/workgroup (compile time only)
; SGPRBlocks: 2
; VGPRBlocks: 7
; NumSGPRsForWavesPerEU: 18
; NumVGPRsForWavesPerEU: 59
; Occupancy: 16
; WaveLimiterHint : 1
; COMPUTE_PGM_RSRC2:SCRATCH_EN: 0
; COMPUTE_PGM_RSRC2:USER_SGPR: 15
; COMPUTE_PGM_RSRC2:TRAP_HANDLER: 0
; COMPUTE_PGM_RSRC2:TGID_X_EN: 1
; COMPUTE_PGM_RSRC2:TGID_Y_EN: 0
; COMPUTE_PGM_RSRC2:TGID_Z_EN: 0
; COMPUTE_PGM_RSRC2:TIDIG_COMP_CNT: 0
	.section	.text._ZN9rocsparseL19gebsrmvn_3xn_kernelILj128ELj5ELj16E21rocsparse_complex_numIfEEEvi20rocsparse_direction_NS_24const_host_device_scalarIT2_EEPKiS8_PKS5_SA_S6_PS5_21rocsparse_index_base_b,"axG",@progbits,_ZN9rocsparseL19gebsrmvn_3xn_kernelILj128ELj5ELj16E21rocsparse_complex_numIfEEEvi20rocsparse_direction_NS_24const_host_device_scalarIT2_EEPKiS8_PKS5_SA_S6_PS5_21rocsparse_index_base_b,comdat
	.globl	_ZN9rocsparseL19gebsrmvn_3xn_kernelILj128ELj5ELj16E21rocsparse_complex_numIfEEEvi20rocsparse_direction_NS_24const_host_device_scalarIT2_EEPKiS8_PKS5_SA_S6_PS5_21rocsparse_index_base_b ; -- Begin function _ZN9rocsparseL19gebsrmvn_3xn_kernelILj128ELj5ELj16E21rocsparse_complex_numIfEEEvi20rocsparse_direction_NS_24const_host_device_scalarIT2_EEPKiS8_PKS5_SA_S6_PS5_21rocsparse_index_base_b
	.p2align	8
	.type	_ZN9rocsparseL19gebsrmvn_3xn_kernelILj128ELj5ELj16E21rocsparse_complex_numIfEEEvi20rocsparse_direction_NS_24const_host_device_scalarIT2_EEPKiS8_PKS5_SA_S6_PS5_21rocsparse_index_base_b,@function
_ZN9rocsparseL19gebsrmvn_3xn_kernelILj128ELj5ELj16E21rocsparse_complex_numIfEEEvi20rocsparse_direction_NS_24const_host_device_scalarIT2_EEPKiS8_PKS5_SA_S6_PS5_21rocsparse_index_base_b: ; @_ZN9rocsparseL19gebsrmvn_3xn_kernelILj128ELj5ELj16E21rocsparse_complex_numIfEEEvi20rocsparse_direction_NS_24const_host_device_scalarIT2_EEPKiS8_PKS5_SA_S6_PS5_21rocsparse_index_base_b
; %bb.0:
	s_clause 0x2
	s_load_b64 s[12:13], s[0:1], 0x40
	s_load_b64 s[4:5], s[0:1], 0x8
	;; [unrolled: 1-line block ×3, first 2 shown]
	s_waitcnt lgkmcnt(0)
	s_bitcmp1_b32 s13, 0
	v_mov_b32_e32 v9, s4
	s_cselect_b32 s6, -1, 0
	s_delay_alu instid0(SALU_CYCLE_1)
	s_and_b32 vcc_lo, exec_lo, s6
	s_xor_b32 s6, s6, -1
	s_cbranch_vccz .LBB91_15
; %bb.1:
	v_cndmask_b32_e64 v1, 0, 1, s6
	v_mov_b32_e32 v10, s5
	s_and_not1_b32 vcc_lo, exec_lo, s6
	s_cbranch_vccz .LBB91_16
.LBB91_2:
	s_delay_alu instid0(VALU_DEP_2)
	v_cmp_ne_u32_e32 vcc_lo, 1, v1
	v_mov_b32_e32 v11, s2
	s_cbranch_vccz .LBB91_17
.LBB91_3:
	v_cmp_ne_u32_e32 vcc_lo, 1, v1
	v_mov_b32_e32 v12, s3
	s_cbranch_vccnz .LBB91_5
.LBB91_4:
	v_dual_mov_b32 v1, s2 :: v_dual_mov_b32 v2, s3
	flat_load_b32 v12, v[1:2] offset:4
.LBB91_5:
	s_waitcnt vmcnt(0) lgkmcnt(0)
	v_cmp_eq_f32_e32 vcc_lo, 0, v9
	v_cmp_eq_f32_e64 s2, 0, v10
	s_delay_alu instid0(VALU_DEP_1)
	s_and_b32 s4, vcc_lo, s2
	s_mov_b32 s2, -1
	s_and_saveexec_b32 s3, s4
; %bb.6:
	v_cmp_neq_f32_e32 vcc_lo, 1.0, v11
	v_cmp_neq_f32_e64 s2, 0, v12
	s_delay_alu instid0(VALU_DEP_1) | instskip(NEXT) | instid1(SALU_CYCLE_1)
	s_or_b32 s2, vcc_lo, s2
	s_or_not1_b32 s2, s2, exec_lo
; %bb.7:
	s_or_b32 exec_lo, exec_lo, s3
	s_and_saveexec_b32 s3, s2
	s_cbranch_execz .LBB91_29
; %bb.8:
	s_load_b64 s[2:3], s[0:1], 0x0
	v_lshrrev_b32_e32 v1, 4, v0
	s_delay_alu instid0(VALU_DEP_1) | instskip(SKIP_1) | instid1(VALU_DEP_1)
	v_lshl_or_b32 v1, s15, 3, v1
	s_waitcnt lgkmcnt(0)
	v_cmp_gt_i32_e32 vcc_lo, s2, v1
	s_and_b32 exec_lo, exec_lo, vcc_lo
	s_cbranch_execz .LBB91_29
; %bb.9:
	s_load_b256 s[4:11], s[0:1], 0x10
	v_ashrrev_i32_e32 v2, 31, v1
	v_and_b32_e32 v0, 15, v0
	s_cmp_lg_u32 s3, 0
	s_delay_alu instid0(VALU_DEP_2) | instskip(SKIP_1) | instid1(VALU_DEP_1)
	v_lshlrev_b64 v[2:3], 2, v[1:2]
	s_waitcnt lgkmcnt(0)
	v_add_co_u32 v2, vcc_lo, s4, v2
	s_delay_alu instid0(VALU_DEP_2) | instskip(SKIP_4) | instid1(VALU_DEP_2)
	v_add_co_ci_u32_e32 v3, vcc_lo, s5, v3, vcc_lo
	global_load_b64 v[2:3], v[2:3], off
	s_waitcnt vmcnt(0)
	v_subrev_nc_u32_e32 v2, s12, v2
	v_subrev_nc_u32_e32 v16, s12, v3
	v_add_nc_u32_e32 v2, v2, v0
	s_delay_alu instid0(VALU_DEP_1)
	v_cmp_lt_i32_e64 s2, v2, v16
	s_cbranch_scc0 .LBB91_18
; %bb.10:
	v_dual_mov_b32 v13, 0 :: v_dual_mov_b32 v18, 0
	v_dual_mov_b32 v17, 0 :: v_dual_mov_b32 v14, 0
	v_mov_b32_e32 v19, 0
	v_mov_b32_e32 v15, 0
	s_mov_b32 s3, 0
	s_and_saveexec_b32 s4, s2
	s_cbranch_execz .LBB91_14
; %bb.11:
	v_mad_u64_u32 v[3:4], null, v2, 15, 14
	v_dual_mov_b32 v6, 0 :: v_dual_mov_b32 v7, v2
	v_dual_mov_b32 v13, 0 :: v_dual_mov_b32 v18, 0
	;; [unrolled: 1-line block ×3, first 2 shown]
	v_mov_b32_e32 v19, 0
	v_mov_b32_e32 v15, 0
	s_mov_b32 s5, 0
.LBB91_12:                              ; =>This Inner Loop Header: Depth=1
	v_ashrrev_i32_e32 v8, 31, v7
	s_delay_alu instid0(VALU_DEP_1) | instskip(SKIP_1) | instid1(VALU_DEP_2)
	v_lshlrev_b64 v[4:5], 2, v[7:8]
	v_add_nc_u32_e32 v7, 16, v7
	v_add_co_u32 v4, vcc_lo, s6, v4
	s_delay_alu instid0(VALU_DEP_3) | instskip(SKIP_2) | instid1(VALU_DEP_1)
	v_add_co_ci_u32_e32 v5, vcc_lo, s7, v5, vcc_lo
	global_load_b32 v8, v[4:5], off
	v_dual_mov_b32 v4, v6 :: v_dual_add_nc_u32 v5, -14, v3
	v_lshlrev_b64 v[22:23], 3, v[5:6]
	v_add_nc_u32_e32 v5, -13, v3
	s_delay_alu instid0(VALU_DEP_3) | instskip(NEXT) | instid1(VALU_DEP_2)
	v_lshlrev_b64 v[24:25], 3, v[3:4]
	v_lshlrev_b64 v[26:27], 3, v[5:6]
	v_add_nc_u32_e32 v5, -12, v3
	v_add_co_u32 v22, vcc_lo, s8, v22
	v_add_co_ci_u32_e32 v23, vcc_lo, s9, v23, vcc_lo
	s_delay_alu instid0(VALU_DEP_3) | instskip(SKIP_4) | instid1(VALU_DEP_4)
	v_lshlrev_b64 v[28:29], 3, v[5:6]
	v_add_nc_u32_e32 v5, -11, v3
	v_add_co_u32 v24, vcc_lo, s8, v24
	v_add_co_ci_u32_e32 v25, vcc_lo, s9, v25, vcc_lo
	v_add_co_u32 v26, vcc_lo, s8, v26
	v_lshlrev_b64 v[4:5], 3, v[5:6]
	v_add_co_ci_u32_e32 v27, vcc_lo, s9, v27, vcc_lo
	v_add_co_u32 v28, vcc_lo, s8, v28
	v_add_co_ci_u32_e32 v29, vcc_lo, s9, v29, vcc_lo
	s_delay_alu instid0(VALU_DEP_4)
	v_add_co_u32 v4, vcc_lo, s8, v4
	v_add_co_ci_u32_e32 v5, vcc_lo, s9, v5, vcc_lo
	s_clause 0x3
	global_load_b64 v[22:23], v[22:23], off
	global_load_b64 v[26:27], v[26:27], off
	;; [unrolled: 1-line block ×4, first 2 shown]
	v_mov_b32_e32 v21, v6
	s_waitcnt vmcnt(4)
	v_subrev_nc_u32_e32 v4, s12, v8
	s_delay_alu instid0(VALU_DEP_1) | instskip(NEXT) | instid1(VALU_DEP_1)
	v_lshl_add_u32 v20, v4, 2, v4
	v_lshlrev_b64 v[32:33], 3, v[20:21]
	v_add_nc_u32_e32 v5, 1, v20
	s_delay_alu instid0(VALU_DEP_1) | instskip(NEXT) | instid1(VALU_DEP_3)
	v_lshlrev_b64 v[34:35], 3, v[5:6]
	v_add_co_u32 v32, vcc_lo, s10, v32
	s_delay_alu instid0(VALU_DEP_4) | instskip(NEXT) | instid1(VALU_DEP_3)
	v_add_co_ci_u32_e32 v33, vcc_lo, s11, v33, vcc_lo
	v_add_co_u32 v34, vcc_lo, s10, v34
	global_load_b64 v[32:33], v[32:33], off
	v_add_co_ci_u32_e32 v35, vcc_lo, s11, v35, vcc_lo
	global_load_b64 v[34:35], v[34:35], off
	s_waitcnt vmcnt(1)
	v_fmac_f32_e32 v17, v22, v32
	v_fmac_f32_e32 v14, v29, v32
	;; [unrolled: 1-line block ×5, first 2 shown]
	v_fma_f32 v8, -v23, v33, v17
	v_dual_fmac_f32 v14, v28, v33 :: v_dual_add_nc_u32 v5, -10, v3
	v_dual_fmac_f32 v18, v28, v32 :: v_dual_fmac_f32 v13, v22, v33
	s_waitcnt vmcnt(0)
	s_delay_alu instid0(VALU_DEP_3)
	v_fmac_f32_e32 v8, v30, v34
	v_fma_f32 v17, -v27, v33, v19
	v_lshlrev_b64 v[36:37], 3, v[5:6]
	v_fmac_f32_e32 v15, v26, v33
	v_fma_f32 v18, -v29, v33, v18
	v_fma_f32 v8, -v31, v35, v8
	v_add_nc_u32_e32 v5, -9, v3
	v_fmac_f32_e32 v13, v31, v34
	v_add_co_u32 v36, vcc_lo, s8, v36
	v_add_co_ci_u32_e32 v37, vcc_lo, s9, v37, vcc_lo
	s_delay_alu instid0(VALU_DEP_4)
	v_lshlrev_b64 v[38:39], 3, v[5:6]
	v_add_nc_u32_e32 v5, -8, v3
	v_fmac_f32_e32 v13, v30, v35
	global_load_b64 v[36:37], v[36:37], off
	v_add_co_u32 v38, vcc_lo, s8, v38
	v_add_co_ci_u32_e32 v39, vcc_lo, s9, v39, vcc_lo
	v_lshlrev_b64 v[40:41], 3, v[5:6]
	global_load_b64 v[38:39], v[38:39], off
	v_add_co_u32 v40, vcc_lo, s8, v40
	v_add_co_ci_u32_e32 v41, vcc_lo, s9, v41, vcc_lo
	global_load_b64 v[40:41], v[40:41], off
	s_waitcnt vmcnt(2)
	v_fmac_f32_e32 v17, v36, v34
	v_fmac_f32_e32 v15, v37, v34
	s_delay_alu instid0(VALU_DEP_2) | instskip(SKIP_1) | instid1(VALU_DEP_2)
	v_fma_f32 v17, -v37, v35, v17
	s_waitcnt vmcnt(1)
	v_dual_fmac_f32 v15, v36, v35 :: v_dual_fmac_f32 v14, v39, v34
	v_dual_fmac_f32 v18, v38, v34 :: v_dual_add_nc_u32 v5, 2, v20
	s_delay_alu instid0(VALU_DEP_2) | instskip(NEXT) | instid1(VALU_DEP_2)
	v_fmac_f32_e32 v14, v38, v35
	v_lshlrev_b64 v[42:43], 3, v[5:6]
	s_delay_alu instid0(VALU_DEP_3) | instskip(NEXT) | instid1(VALU_DEP_2)
	v_fma_f32 v18, -v39, v35, v18
	v_add_co_u32 v42, vcc_lo, s10, v42
	s_delay_alu instid0(VALU_DEP_3) | instskip(SKIP_2) | instid1(VALU_DEP_1)
	v_add_co_ci_u32_e32 v43, vcc_lo, s11, v43, vcc_lo
	global_load_b64 v[42:43], v[42:43], off
	v_add_nc_u32_e32 v5, -7, v3
	v_lshlrev_b64 v[44:45], 3, v[5:6]
	s_delay_alu instid0(VALU_DEP_1) | instskip(NEXT) | instid1(VALU_DEP_2)
	v_add_co_u32 v44, vcc_lo, s8, v44
	v_add_co_ci_u32_e32 v45, vcc_lo, s9, v45, vcc_lo
	global_load_b64 v[44:45], v[44:45], off
	s_waitcnt vmcnt(1)
	v_fmac_f32_e32 v8, v40, v42
	v_fmac_f32_e32 v13, v41, v42
	s_delay_alu instid0(VALU_DEP_2) | instskip(SKIP_1) | instid1(VALU_DEP_3)
	v_fma_f32 v8, -v41, v43, v8
	v_add_nc_u32_e32 v5, -6, v3
	v_fmac_f32_e32 v13, v40, v43
	s_delay_alu instid0(VALU_DEP_2) | instskip(SKIP_1) | instid1(VALU_DEP_2)
	v_lshlrev_b64 v[46:47], 3, v[5:6]
	v_add_nc_u32_e32 v5, -5, v3
	v_add_co_u32 v46, vcc_lo, s8, v46
	s_delay_alu instid0(VALU_DEP_3) | instskip(NEXT) | instid1(VALU_DEP_3)
	v_add_co_ci_u32_e32 v47, vcc_lo, s9, v47, vcc_lo
	v_lshlrev_b64 v[48:49], 3, v[5:6]
	global_load_b64 v[46:47], v[46:47], off
	v_add_co_u32 v48, vcc_lo, s8, v48
	v_add_co_ci_u32_e32 v49, vcc_lo, s9, v49, vcc_lo
	global_load_b64 v[48:49], v[48:49], off
	s_waitcnt vmcnt(2)
	v_fmac_f32_e32 v17, v44, v42
	v_fmac_f32_e32 v15, v45, v42
	s_delay_alu instid0(VALU_DEP_2) | instskip(SKIP_1) | instid1(VALU_DEP_2)
	v_fma_f32 v17, -v45, v43, v17
	s_waitcnt vmcnt(1)
	v_dual_fmac_f32 v15, v44, v43 :: v_dual_fmac_f32 v14, v47, v42
	v_dual_fmac_f32 v18, v46, v42 :: v_dual_add_nc_u32 v5, 3, v20
	s_delay_alu instid0(VALU_DEP_2) | instskip(NEXT) | instid1(VALU_DEP_2)
	v_fmac_f32_e32 v14, v46, v43
	v_lshlrev_b64 v[50:51], 3, v[5:6]
	s_delay_alu instid0(VALU_DEP_3) | instskip(NEXT) | instid1(VALU_DEP_2)
	v_fma_f32 v18, -v47, v43, v18
	v_add_co_u32 v50, vcc_lo, s10, v50
	s_delay_alu instid0(VALU_DEP_3) | instskip(SKIP_2) | instid1(VALU_DEP_1)
	v_add_co_ci_u32_e32 v51, vcc_lo, s11, v51, vcc_lo
	global_load_b64 v[50:51], v[50:51], off
	v_add_nc_u32_e32 v5, -4, v3
	v_lshlrev_b64 v[52:53], 3, v[5:6]
	s_delay_alu instid0(VALU_DEP_1) | instskip(NEXT) | instid1(VALU_DEP_2)
	v_add_co_u32 v52, vcc_lo, s8, v52
	v_add_co_ci_u32_e32 v53, vcc_lo, s9, v53, vcc_lo
	s_waitcnt vmcnt(0)
	v_fmac_f32_e32 v8, v48, v50
	v_fmac_f32_e32 v13, v49, v50
	s_delay_alu instid0(VALU_DEP_2) | instskip(SKIP_1) | instid1(VALU_DEP_3)
	v_fma_f32 v8, -v49, v51, v8
	v_add_nc_u32_e32 v5, -3, v3
	v_fmac_f32_e32 v13, v48, v51
	s_delay_alu instid0(VALU_DEP_2) | instskip(SKIP_1) | instid1(VALU_DEP_1)
	v_lshlrev_b64 v[54:55], 3, v[5:6]
	v_add_nc_u32_e32 v5, -2, v3
	v_lshlrev_b64 v[56:57], 3, v[5:6]
	v_add_nc_u32_e32 v5, 4, v20
	global_load_b64 v[20:21], v[52:53], off
	v_add_co_u32 v52, vcc_lo, s8, v54
	v_add_co_ci_u32_e32 v53, vcc_lo, s9, v55, vcc_lo
	v_add_co_u32 v56, vcc_lo, s8, v56
	v_add_co_ci_u32_e32 v57, vcc_lo, s9, v57, vcc_lo
	s_clause 0x1
	global_load_b64 v[52:53], v[52:53], off
	global_load_b64 v[56:57], v[56:57], off
	s_waitcnt vmcnt(2)
	v_fmac_f32_e32 v17, v20, v50
	v_fmac_f32_e32 v15, v21, v50
	s_delay_alu instid0(VALU_DEP_2) | instskip(SKIP_1) | instid1(VALU_DEP_2)
	v_fma_f32 v19, -v21, v51, v17
	s_waitcnt vmcnt(1)
	v_dual_fmac_f32 v15, v20, v51 :: v_dual_fmac_f32 v14, v53, v50
	v_fmac_f32_e32 v18, v52, v50
	s_delay_alu instid0(VALU_DEP_2) | instskip(SKIP_2) | instid1(VALU_DEP_4)
	v_fmac_f32_e32 v14, v52, v51
	v_lshlrev_b64 v[54:55], 3, v[5:6]
	v_add_nc_u32_e32 v5, -1, v3
	v_fma_f32 v18, -v53, v51, v18
	v_add_nc_u32_e32 v3, 0xf0, v3
	s_delay_alu instid0(VALU_DEP_3) | instskip(SKIP_2) | instid1(VALU_DEP_3)
	v_lshlrev_b64 v[4:5], 3, v[5:6]
	v_add_co_u32 v54, vcc_lo, s10, v54
	v_add_co_ci_u32_e32 v55, vcc_lo, s11, v55, vcc_lo
	v_add_co_u32 v4, vcc_lo, s8, v4
	s_delay_alu instid0(VALU_DEP_4)
	v_add_co_ci_u32_e32 v5, vcc_lo, s9, v5, vcc_lo
	global_load_b64 v[54:55], v[54:55], off
	s_clause 0x1
	global_load_b64 v[4:5], v[4:5], off
	global_load_b64 v[24:25], v[24:25], off
	v_cmp_ge_i32_e32 vcc_lo, v7, v16
	s_or_b32 s5, vcc_lo, s5
	s_waitcnt vmcnt(2)
	v_fmac_f32_e32 v8, v56, v54
	v_fmac_f32_e32 v13, v57, v54
	s_waitcnt vmcnt(0)
	v_fmac_f32_e32 v14, v25, v54
	v_fmac_f32_e32 v19, v4, v54
	;; [unrolled: 1-line block ×4, first 2 shown]
	v_fma_f32 v17, -v57, v55, v8
	v_fmac_f32_e32 v13, v56, v55
	v_fma_f32 v19, -v5, v55, v19
	v_fmac_f32_e32 v15, v4, v55
	;; [unrolled: 2-line block ×3, first 2 shown]
	s_and_not1_b32 exec_lo, exec_lo, s5
	s_cbranch_execnz .LBB91_12
; %bb.13:
	s_or_b32 exec_lo, exec_lo, s5
.LBB91_14:
	s_delay_alu instid0(SALU_CYCLE_1) | instskip(NEXT) | instid1(SALU_CYCLE_1)
	s_or_b32 exec_lo, exec_lo, s4
	s_and_not1_b32 vcc_lo, exec_lo, s3
	s_cbranch_vccz .LBB91_19
	s_branch .LBB91_24
.LBB91_15:
	v_dual_mov_b32 v1, s4 :: v_dual_mov_b32 v2, s5
	flat_load_b32 v9, v[1:2]
	v_cndmask_b32_e64 v1, 0, 1, s6
	v_mov_b32_e32 v10, s5
	s_and_not1_b32 vcc_lo, exec_lo, s6
	s_cbranch_vccnz .LBB91_2
.LBB91_16:
	v_dual_mov_b32 v2, s4 :: v_dual_mov_b32 v3, s5
	flat_load_b32 v10, v[2:3] offset:4
	v_cmp_ne_u32_e32 vcc_lo, 1, v1
	v_mov_b32_e32 v11, s2
	s_cbranch_vccnz .LBB91_3
.LBB91_17:
	v_dual_mov_b32 v2, s2 :: v_dual_mov_b32 v3, s3
	flat_load_b32 v11, v[2:3]
	v_cmp_ne_u32_e32 vcc_lo, 1, v1
	v_mov_b32_e32 v12, s3
	s_cbranch_vccz .LBB91_4
	s_branch .LBB91_5
.LBB91_18:
                                        ; implicit-def: $vgpr13
                                        ; implicit-def: $vgpr17
                                        ; implicit-def: $vgpr18
                                        ; implicit-def: $vgpr14
                                        ; implicit-def: $vgpr19
                                        ; implicit-def: $vgpr15
.LBB91_19:
	v_dual_mov_b32 v13, 0 :: v_dual_mov_b32 v18, 0
	v_dual_mov_b32 v17, 0 :: v_dual_mov_b32 v14, 0
	v_mov_b32_e32 v19, 0
	v_mov_b32_e32 v15, 0
	s_and_saveexec_b32 s3, s2
	s_cbranch_execz .LBB91_23
; %bb.20:
	v_mad_u64_u32 v[4:5], null, v2, 15, 14
	v_dual_mov_b32 v7, 0 :: v_dual_mov_b32 v18, 0
	v_dual_mov_b32 v13, 0 :: v_dual_mov_b32 v14, 0
	v_mov_b32_e32 v17, 0
	v_mov_b32_e32 v19, 0
	v_mov_b32_e32 v15, 0
	s_mov_b32 s2, 0
.LBB91_21:                              ; =>This Inner Loop Header: Depth=1
	v_ashrrev_i32_e32 v3, 31, v2
	v_dual_mov_b32 v23, v7 :: v_dual_add_nc_u32 v20, -9, v4
	v_dual_mov_b32 v21, v7 :: v_dual_add_nc_u32 v22, -4, v4
	s_delay_alu instid0(VALU_DEP_3) | instskip(NEXT) | instid1(VALU_DEP_2)
	v_lshlrev_b64 v[5:6], 2, v[2:3]
	v_lshlrev_b64 v[20:21], 3, v[20:21]
	s_delay_alu instid0(VALU_DEP_2) | instskip(NEXT) | instid1(VALU_DEP_3)
	v_add_co_u32 v5, vcc_lo, s6, v5
	v_add_co_ci_u32_e32 v6, vcc_lo, s7, v6, vcc_lo
	global_load_b32 v3, v[5:6], off
	v_dual_mov_b32 v5, v7 :: v_dual_add_nc_u32 v6, -14, v4
	v_lshlrev_b64 v[22:23], 3, v[22:23]
	s_delay_alu instid0(VALU_DEP_2) | instskip(NEXT) | instid1(VALU_DEP_3)
	v_lshlrev_b64 v[27:28], 3, v[4:5]
	v_lshlrev_b64 v[25:26], 3, v[6:7]
	v_add_nc_u32_e32 v6, -13, v4
	s_delay_alu instid0(VALU_DEP_1) | instskip(NEXT) | instid1(VALU_DEP_3)
	v_lshlrev_b64 v[5:6], 3, v[6:7]
	v_add_co_u32 v25, vcc_lo, s8, v25
	s_delay_alu instid0(VALU_DEP_4)
	v_add_co_ci_u32_e32 v26, vcc_lo, s9, v26, vcc_lo
	v_add_co_u32 v20, vcc_lo, s8, v20
	v_add_co_ci_u32_e32 v21, vcc_lo, s9, v21, vcc_lo
	v_add_co_u32 v22, vcc_lo, s8, v22
	;; [unrolled: 2-line block ×4, first 2 shown]
	v_add_co_ci_u32_e32 v6, vcc_lo, s9, v6, vcc_lo
	s_clause 0x3
	global_load_b64 v[25:26], v[25:26], off
	global_load_b64 v[20:21], v[20:21], off
	;; [unrolled: 1-line block ×4, first 2 shown]
	v_mov_b32_e32 v24, v7
	s_waitcnt vmcnt(4)
	v_subrev_nc_u32_e32 v3, s12, v3
	s_delay_alu instid0(VALU_DEP_1) | instskip(NEXT) | instid1(VALU_DEP_1)
	v_lshl_add_u32 v23, v3, 2, v3
	v_lshlrev_b64 v[33:34], 3, v[23:24]
	s_delay_alu instid0(VALU_DEP_1) | instskip(NEXT) | instid1(VALU_DEP_2)
	v_add_co_u32 v33, vcc_lo, s10, v33
	v_add_co_ci_u32_e32 v34, vcc_lo, s11, v34, vcc_lo
	global_load_b64 v[33:34], v[33:34], off
	v_add_nc_u32_e32 v6, 1, v23
	s_delay_alu instid0(VALU_DEP_1) | instskip(NEXT) | instid1(VALU_DEP_1)
	v_lshlrev_b64 v[35:36], 3, v[6:7]
	v_add_co_u32 v35, vcc_lo, s10, v35
	s_delay_alu instid0(VALU_DEP_2) | instskip(SKIP_3) | instid1(VALU_DEP_1)
	v_add_co_ci_u32_e32 v36, vcc_lo, s11, v36, vcc_lo
	global_load_b64 v[35:36], v[35:36], off
	s_waitcnt vmcnt(1)
	v_dual_fmac_f32 v15, v21, v33 :: v_dual_add_nc_u32 v6, -8, v4
	v_lshlrev_b64 v[37:38], 3, v[6:7]
	v_dual_fmac_f32 v13, v26, v33 :: v_dual_add_nc_u32 v6, -3, v4
	v_fmac_f32_e32 v17, v25, v33
	s_delay_alu instid0(VALU_DEP_4) | instskip(NEXT) | instid1(VALU_DEP_4)
	v_dual_fmac_f32 v15, v20, v34 :: v_dual_fmac_f32 v18, v29, v33
	v_add_co_u32 v37, vcc_lo, s8, v37
	v_add_co_ci_u32_e32 v38, vcc_lo, s9, v38, vcc_lo
	v_fmac_f32_e32 v13, v25, v34
	v_lshlrev_b64 v[39:40], 3, v[6:7]
	v_add_nc_u32_e32 v6, -12, v4
	global_load_b64 v[37:38], v[37:38], off
	v_add_nc_u32_e32 v2, 16, v2
	v_fma_f32 v3, -v26, v34, v17
	v_fma_f32 v17, -v30, v34, v18
	v_lshlrev_b64 v[41:42], 3, v[6:7]
	s_waitcnt vmcnt(1)
	v_fmac_f32_e32 v13, v32, v35
	v_add_nc_u32_e32 v6, 2, v23
	v_add_co_u32 v39, vcc_lo, s8, v39
	v_add_co_ci_u32_e32 v40, vcc_lo, s9, v40, vcc_lo
	s_delay_alu instid0(VALU_DEP_4) | instskip(NEXT) | instid1(VALU_DEP_4)
	v_fmac_f32_e32 v13, v31, v36
	v_lshlrev_b64 v[43:44], 3, v[6:7]
	v_add_co_u32 v41, vcc_lo, s8, v41
	global_load_b64 v[39:40], v[39:40], off
	v_dual_fmac_f32 v3, v31, v35 :: v_dual_add_nc_u32 v6, -7, v4
	v_add_co_ci_u32_e32 v42, vcc_lo, s9, v42, vcc_lo
	v_add_co_u32 v43, vcc_lo, s10, v43
	v_add_co_ci_u32_e32 v44, vcc_lo, s11, v44, vcc_lo
	s_delay_alu instid0(VALU_DEP_4)
	v_lshlrev_b64 v[45:46], 3, v[6:7]
	global_load_b64 v[41:42], v[41:42], off
	v_add_nc_u32_e32 v6, -2, v4
	global_load_b64 v[43:44], v[43:44], off
	v_fma_f32 v3, -v32, v36, v3
	v_fmac_f32_e32 v19, v20, v33
	v_add_co_u32 v45, vcc_lo, s8, v45
	v_add_co_ci_u32_e32 v46, vcc_lo, s9, v46, vcc_lo
	s_delay_alu instid0(VALU_DEP_3)
	v_fma_f32 v8, -v21, v34, v19
	global_load_b64 v[45:46], v[45:46], off
	s_waitcnt vmcnt(4)
	v_fmac_f32_e32 v15, v38, v35
	v_lshlrev_b64 v[47:48], 3, v[6:7]
	v_add_nc_u32_e32 v6, -11, v4
	s_delay_alu instid0(VALU_DEP_3) | instskip(NEXT) | instid1(VALU_DEP_3)
	v_fmac_f32_e32 v15, v37, v36
	v_add_co_u32 v47, vcc_lo, s8, v47
	s_delay_alu instid0(VALU_DEP_4)
	v_add_co_ci_u32_e32 v48, vcc_lo, s9, v48, vcc_lo
	global_load_b64 v[47:48], v[47:48], off
	s_waitcnt vmcnt(4)
	v_fmac_f32_e32 v17, v39, v35
	v_lshlrev_b64 v[49:50], 3, v[6:7]
	v_add_nc_u32_e32 v6, 3, v23
	s_delay_alu instid0(VALU_DEP_3) | instskip(NEXT) | instid1(VALU_DEP_2)
	v_fma_f32 v17, -v40, v36, v17
	v_lshlrev_b64 v[51:52], 3, v[6:7]
	v_add_nc_u32_e32 v6, -6, v4
	v_add_co_u32 v49, vcc_lo, s8, v49
	v_add_co_ci_u32_e32 v50, vcc_lo, s9, v50, vcc_lo
	s_waitcnt vmcnt(2)
	v_fmac_f32_e32 v3, v41, v43
	v_lshlrev_b64 v[53:54], 3, v[6:7]
	v_dual_fmac_f32 v13, v42, v43 :: v_dual_add_nc_u32 v6, -1, v4
	v_add_co_u32 v51, vcc_lo, s10, v51
	global_load_b64 v[49:50], v[49:50], off
	v_add_co_ci_u32_e32 v52, vcc_lo, s11, v52, vcc_lo
	v_lshlrev_b64 v[55:56], 3, v[6:7]
	s_waitcnt vmcnt(2)
	v_dual_fmac_f32 v15, v46, v43 :: v_dual_add_nc_u32 v6, -10, v4
	v_add_co_u32 v53, vcc_lo, s8, v53
	v_add_co_ci_u32_e32 v54, vcc_lo, s9, v54, vcc_lo
	s_delay_alu instid0(VALU_DEP_3)
	v_lshlrev_b64 v[57:58], 3, v[6:7]
	v_dual_fmac_f32 v13, v41, v44 :: v_dual_add_nc_u32 v6, 4, v23
	global_load_b64 v[22:23], v[53:54], off
	v_add_co_u32 v53, vcc_lo, s8, v55
	v_add_co_ci_u32_e32 v54, vcc_lo, s9, v56, vcc_lo
	v_lshlrev_b64 v[55:56], 3, v[6:7]
	v_add_nc_u32_e32 v6, -5, v4
	global_load_b64 v[51:52], v[51:52], off
	v_add_co_u32 v57, vcc_lo, s8, v57
	v_add_co_ci_u32_e32 v58, vcc_lo, s9, v58, vcc_lo
	v_add_co_u32 v55, vcc_lo, s10, v55
	v_add_co_ci_u32_e32 v56, vcc_lo, s11, v56, vcc_lo
	s_clause 0x1
	global_load_b64 v[53:54], v[53:54], off
	global_load_b64 v[57:58], v[57:58], off
	v_dual_fmac_f32 v14, v30, v33 :: v_dual_fmac_f32 v15, v45, v44
	v_fma_f32 v3, -v42, v44, v3
	v_add_nc_u32_e32 v4, 0xf0, v4
	s_waitcnt vmcnt(5)
	s_delay_alu instid0(VALU_DEP_3) | instskip(SKIP_1) | instid1(VALU_DEP_2)
	v_dual_fmac_f32 v14, v29, v34 :: v_dual_fmac_f32 v17, v47, v43
	v_lshlrev_b64 v[5:6], 3, v[6:7]
	v_fma_f32 v17, -v48, v44, v17
	s_delay_alu instid0(VALU_DEP_2) | instskip(NEXT) | instid1(VALU_DEP_3)
	v_add_co_u32 v5, vcc_lo, s8, v5
	v_add_co_ci_u32_e32 v6, vcc_lo, s9, v6, vcc_lo
	global_load_b64 v[55:56], v[55:56], off
	s_clause 0x1
	global_load_b64 v[5:6], v[5:6], off
	global_load_b64 v[27:28], v[27:28], off
	v_cmp_ge_i32_e32 vcc_lo, v2, v16
	s_or_b32 s2, vcc_lo, s2
	s_waitcnt vmcnt(5)
	v_fmac_f32_e32 v15, v23, v51
	v_fmac_f32_e32 v13, v50, v51
	;; [unrolled: 1-line block ×8, first 2 shown]
	v_fma_f32 v8, -v38, v36, v8
	s_waitcnt vmcnt(4)
	v_fmac_f32_e32 v17, v53, v51
	v_fma_f32 v3, -v50, v52, v3
	s_delay_alu instid0(VALU_DEP_3) | instskip(NEXT) | instid1(VALU_DEP_3)
	v_fmac_f32_e32 v8, v45, v43
	v_fma_f32 v18, -v54, v52, v17
	s_delay_alu instid0(VALU_DEP_2)
	v_fma_f32 v8, -v46, v44, v8
	s_waitcnt vmcnt(2)
	v_fmac_f32_e32 v13, v58, v55
	v_fmac_f32_e32 v14, v48, v43
	;; [unrolled: 1-line block ×3, first 2 shown]
	s_waitcnt vmcnt(0)
	v_fmac_f32_e32 v18, v27, v55
	v_fmac_f32_e32 v15, v6, v55
	;; [unrolled: 1-line block ×5, first 2 shown]
	v_fma_f32 v17, -v58, v56, v3
	v_fmac_f32_e32 v15, v5, v56
	v_fma_f32 v18, -v28, v56, v18
	v_fmac_f32_e32 v14, v54, v51
	v_fma_f32 v8, -v23, v52, v8
	s_delay_alu instid0(VALU_DEP_2) | instskip(NEXT) | instid1(VALU_DEP_2)
	v_fmac_f32_e32 v14, v53, v52
	v_fmac_f32_e32 v8, v5, v55
	s_delay_alu instid0(VALU_DEP_2) | instskip(NEXT) | instid1(VALU_DEP_2)
	v_fmac_f32_e32 v14, v28, v55
	v_fma_f32 v19, -v6, v56, v8
	s_delay_alu instid0(VALU_DEP_2)
	v_fmac_f32_e32 v14, v27, v56
	s_and_not1_b32 exec_lo, exec_lo, s2
	s_cbranch_execnz .LBB91_21
; %bb.22:
	s_or_b32 exec_lo, exec_lo, s2
.LBB91_23:
	s_delay_alu instid0(SALU_CYCLE_1)
	s_or_b32 exec_lo, exec_lo, s3
.LBB91_24:
	v_mbcnt_lo_u32_b32 v2, -1, 0
	s_delay_alu instid0(VALU_DEP_1) | instskip(SKIP_1) | instid1(VALU_DEP_2)
	v_xor_b32_e32 v3, 8, v2
	v_xor_b32_e32 v16, 4, v2
	v_cmp_gt_i32_e32 vcc_lo, 32, v3
	v_cndmask_b32_e32 v3, v2, v3, vcc_lo
	s_delay_alu instid0(VALU_DEP_3) | instskip(SKIP_1) | instid1(VALU_DEP_1)
	v_cmp_gt_i32_e32 vcc_lo, 32, v16
	v_cndmask_b32_e32 v16, v2, v16, vcc_lo
	v_lshlrev_b32_e32 v16, 2, v16
	s_delay_alu instid0(VALU_DEP_4)
	v_lshlrev_b32_e32 v3, 2, v3
	ds_bpermute_b32 v4, v3, v17
	s_waitcnt lgkmcnt(0)
	v_add_f32_e32 v4, v17, v4
	ds_bpermute_b32 v5, v3, v13
	ds_bpermute_b32 v6, v3, v19
	ds_bpermute_b32 v7, v3, v15
	ds_bpermute_b32 v8, v3, v18
	ds_bpermute_b32 v3, v3, v14
	s_waitcnt lgkmcnt(3)
	v_dual_add_f32 v5, v13, v5 :: v_dual_add_f32 v6, v19, v6
	s_waitcnt lgkmcnt(1)
	v_dual_add_f32 v7, v15, v7 :: v_dual_add_f32 v8, v18, v8
	s_waitcnt lgkmcnt(0)
	v_add_f32_e32 v3, v14, v3
	ds_bpermute_b32 v13, v16, v4
	ds_bpermute_b32 v14, v16, v5
	;; [unrolled: 1-line block ×6, first 2 shown]
	v_xor_b32_e32 v19, 2, v2
	s_delay_alu instid0(VALU_DEP_1) | instskip(SKIP_2) | instid1(VALU_DEP_1)
	v_cmp_gt_i32_e32 vcc_lo, 32, v19
	s_waitcnt lgkmcnt(5)
	v_dual_cndmask_b32 v19, v2, v19 :: v_dual_add_f32 v4, v4, v13
	v_lshlrev_b32_e32 v19, 2, v19
	s_waitcnt lgkmcnt(3)
	v_dual_add_f32 v5, v5, v14 :: v_dual_add_f32 v6, v6, v15
	s_waitcnt lgkmcnt(1)
	v_dual_add_f32 v13, v7, v17 :: v_dual_add_f32 v14, v8, v18
	s_waitcnt lgkmcnt(0)
	v_add_f32_e32 v15, v3, v16
	ds_bpermute_b32 v3, v19, v4
	ds_bpermute_b32 v7, v19, v5
	;; [unrolled: 1-line block ×6, first 2 shown]
	v_xor_b32_e32 v19, 1, v2
	s_delay_alu instid0(VALU_DEP_1) | instskip(SKIP_3) | instid1(VALU_DEP_2)
	v_cmp_gt_i32_e32 vcc_lo, 32, v19
	v_cndmask_b32_e32 v2, v2, v19, vcc_lo
	v_cmp_eq_u32_e32 vcc_lo, 15, v0
	s_waitcnt lgkmcnt(5)
	v_dual_add_f32 v2, v4, v3 :: v_dual_lshlrev_b32 v19, 2, v2
	s_waitcnt lgkmcnt(4)
	v_add_f32_e32 v5, v5, v7
	s_waitcnt lgkmcnt(0)
	v_dual_add_f32 v7, v6, v8 :: v_dual_add_f32 v4, v15, v18
	v_dual_add_f32 v8, v13, v16 :: v_dual_add_f32 v3, v14, v17
	ds_bpermute_b32 v6, v19, v2
	ds_bpermute_b32 v15, v19, v5
	;; [unrolled: 1-line block ×6, first 2 shown]
	s_and_b32 exec_lo, exec_lo, vcc_lo
	s_cbranch_execz .LBB91_29
; %bb.25:
	s_load_b64 s[2:3], s[0:1], 0x38
	v_cmp_eq_f32_e32 vcc_lo, 0, v11
	v_cmp_eq_f32_e64 s0, 0, v12
	s_waitcnt lgkmcnt(0)
	v_add_f32_e32 v0, v2, v6
	v_dual_add_f32 v6, v5, v15 :: v_dual_add_f32 v3, v3, v13
	v_dual_add_f32 v2, v7, v16 :: v_dual_add_f32 v5, v8, v17
	v_add_f32_e32 v4, v4, v14
	s_and_b32 s0, vcc_lo, s0
	s_delay_alu instid0(SALU_CYCLE_1) | instskip(NEXT) | instid1(SALU_CYCLE_1)
	s_and_saveexec_b32 s1, s0
	s_xor_b32 s0, exec_lo, s1
	s_cbranch_execz .LBB91_27
; %bb.26:
	v_lshl_add_u32 v7, v1, 1, v1
	v_mul_f32_e64 v11, v6, -v10
	v_mul_f32_e32 v12, v6, v9
	v_mul_f32_e64 v13, v5, -v10
	v_mul_f32_e32 v14, v5, v9
	v_ashrrev_i32_e32 v8, 31, v7
	v_fmac_f32_e32 v11, v9, v0
	v_mul_f32_e64 v5, v4, -v10
	v_dual_mul_f32 v6, v4, v9 :: v_dual_fmac_f32 v13, v9, v2
	s_delay_alu instid0(VALU_DEP_4) | instskip(NEXT) | instid1(VALU_DEP_3)
	v_lshlrev_b64 v[7:8], 3, v[7:8]
	v_dual_fmac_f32 v12, v10, v0 :: v_dual_fmac_f32 v5, v9, v3
	v_fmac_f32_e32 v14, v10, v2
	s_delay_alu instid0(VALU_DEP_4) | instskip(NEXT) | instid1(VALU_DEP_4)
	v_fmac_f32_e32 v6, v10, v3
                                        ; implicit-def: $vgpr9
                                        ; implicit-def: $vgpr10
                                        ; implicit-def: $vgpr2
                                        ; implicit-def: $vgpr3
                                        ; implicit-def: $vgpr4
	v_add_co_u32 v0, vcc_lo, s2, v7
	v_add_co_ci_u32_e32 v1, vcc_lo, s3, v8, vcc_lo
	s_clause 0x1
	global_store_b128 v[0:1], v[11:14], off
	global_store_b64 v[0:1], v[5:6], off offset:16
                                        ; implicit-def: $vgpr11
                                        ; implicit-def: $vgpr12
                                        ; implicit-def: $vgpr1
                                        ; implicit-def: $vgpr0
                                        ; implicit-def: $vgpr6
                                        ; implicit-def: $vgpr5
.LBB91_27:
	s_and_not1_saveexec_b32 s0, s0
	s_cbranch_execz .LBB91_29
; %bb.28:
	v_lshl_add_u32 v7, v1, 1, v1
	v_mul_f32_e64 v21, v5, -v10
	v_mul_f32_e64 v22, v4, -v10
	s_delay_alu instid0(VALU_DEP_3) | instskip(NEXT) | instid1(VALU_DEP_1)
	v_ashrrev_i32_e32 v8, 31, v7
	v_lshlrev_b64 v[7:8], 3, v[7:8]
	s_delay_alu instid0(VALU_DEP_1) | instskip(NEXT) | instid1(VALU_DEP_2)
	v_add_co_u32 v17, vcc_lo, s2, v7
	v_add_co_ci_u32_e32 v18, vcc_lo, s3, v8, vcc_lo
	v_mul_f32_e64 v7, v6, -v10
	v_mul_f32_e32 v6, v6, v9
	s_clause 0x1
	global_load_b128 v[13:16], v[17:18], off
	global_load_b64 v[19:20], v[17:18], off offset:16
	v_fmac_f32_e32 v7, v9, v0
	v_dual_mul_f32 v1, v4, v9 :: v_dual_fmac_f32 v6, v10, v0
	v_mul_f32_e32 v8, v5, v9
	v_fmac_f32_e32 v21, v9, v2
	s_delay_alu instid0(VALU_DEP_3) | instskip(SKIP_1) | instid1(VALU_DEP_3)
	v_fmac_f32_e32 v1, v10, v3
	s_waitcnt vmcnt(1)
	v_dual_fmac_f32 v8, v10, v2 :: v_dual_fmac_f32 v7, v11, v13
	v_fmac_f32_e32 v6, v12, v13
	s_waitcnt vmcnt(0)
	v_fmac_f32_e32 v1, v12, v19
	v_fmac_f32_e32 v21, v11, v15
	;; [unrolled: 1-line block ×3, first 2 shown]
	v_fma_f32 v5, -v12, v14, v7
	v_fmac_f32_e32 v6, v11, v14
	v_dual_fmac_f32 v22, v9, v3 :: v_dual_fmac_f32 v1, v11, v20
	v_fma_f32 v7, -v12, v16, v21
	v_fmac_f32_e32 v8, v11, v16
	s_delay_alu instid0(VALU_DEP_3) | instskip(NEXT) | instid1(VALU_DEP_1)
	v_fmac_f32_e32 v22, v11, v19
	v_fma_f32 v0, -v12, v20, v22
	s_clause 0x1
	global_store_b128 v[17:18], v[5:8], off
	global_store_b64 v[17:18], v[0:1], off offset:16
.LBB91_29:
	s_nop 0
	s_sendmsg sendmsg(MSG_DEALLOC_VGPRS)
	s_endpgm
	.section	.rodata,"a",@progbits
	.p2align	6, 0x0
	.amdhsa_kernel _ZN9rocsparseL19gebsrmvn_3xn_kernelILj128ELj5ELj16E21rocsparse_complex_numIfEEEvi20rocsparse_direction_NS_24const_host_device_scalarIT2_EEPKiS8_PKS5_SA_S6_PS5_21rocsparse_index_base_b
		.amdhsa_group_segment_fixed_size 0
		.amdhsa_private_segment_fixed_size 0
		.amdhsa_kernarg_size 72
		.amdhsa_user_sgpr_count 15
		.amdhsa_user_sgpr_dispatch_ptr 0
		.amdhsa_user_sgpr_queue_ptr 0
		.amdhsa_user_sgpr_kernarg_segment_ptr 1
		.amdhsa_user_sgpr_dispatch_id 0
		.amdhsa_user_sgpr_private_segment_size 0
		.amdhsa_wavefront_size32 1
		.amdhsa_uses_dynamic_stack 0
		.amdhsa_enable_private_segment 0
		.amdhsa_system_sgpr_workgroup_id_x 1
		.amdhsa_system_sgpr_workgroup_id_y 0
		.amdhsa_system_sgpr_workgroup_id_z 0
		.amdhsa_system_sgpr_workgroup_info 0
		.amdhsa_system_vgpr_workitem_id 0
		.amdhsa_next_free_vgpr 59
		.amdhsa_next_free_sgpr 16
		.amdhsa_reserve_vcc 1
		.amdhsa_float_round_mode_32 0
		.amdhsa_float_round_mode_16_64 0
		.amdhsa_float_denorm_mode_32 3
		.amdhsa_float_denorm_mode_16_64 3
		.amdhsa_dx10_clamp 1
		.amdhsa_ieee_mode 1
		.amdhsa_fp16_overflow 0
		.amdhsa_workgroup_processor_mode 1
		.amdhsa_memory_ordered 1
		.amdhsa_forward_progress 0
		.amdhsa_shared_vgpr_count 0
		.amdhsa_exception_fp_ieee_invalid_op 0
		.amdhsa_exception_fp_denorm_src 0
		.amdhsa_exception_fp_ieee_div_zero 0
		.amdhsa_exception_fp_ieee_overflow 0
		.amdhsa_exception_fp_ieee_underflow 0
		.amdhsa_exception_fp_ieee_inexact 0
		.amdhsa_exception_int_div_zero 0
	.end_amdhsa_kernel
	.section	.text._ZN9rocsparseL19gebsrmvn_3xn_kernelILj128ELj5ELj16E21rocsparse_complex_numIfEEEvi20rocsparse_direction_NS_24const_host_device_scalarIT2_EEPKiS8_PKS5_SA_S6_PS5_21rocsparse_index_base_b,"axG",@progbits,_ZN9rocsparseL19gebsrmvn_3xn_kernelILj128ELj5ELj16E21rocsparse_complex_numIfEEEvi20rocsparse_direction_NS_24const_host_device_scalarIT2_EEPKiS8_PKS5_SA_S6_PS5_21rocsparse_index_base_b,comdat
.Lfunc_end91:
	.size	_ZN9rocsparseL19gebsrmvn_3xn_kernelILj128ELj5ELj16E21rocsparse_complex_numIfEEEvi20rocsparse_direction_NS_24const_host_device_scalarIT2_EEPKiS8_PKS5_SA_S6_PS5_21rocsparse_index_base_b, .Lfunc_end91-_ZN9rocsparseL19gebsrmvn_3xn_kernelILj128ELj5ELj16E21rocsparse_complex_numIfEEEvi20rocsparse_direction_NS_24const_host_device_scalarIT2_EEPKiS8_PKS5_SA_S6_PS5_21rocsparse_index_base_b
                                        ; -- End function
	.section	.AMDGPU.csdata,"",@progbits
; Kernel info:
; codeLenInByte = 3812
; NumSgprs: 18
; NumVgprs: 59
; ScratchSize: 0
; MemoryBound: 0
; FloatMode: 240
; IeeeMode: 1
; LDSByteSize: 0 bytes/workgroup (compile time only)
; SGPRBlocks: 2
; VGPRBlocks: 7
; NumSGPRsForWavesPerEU: 18
; NumVGPRsForWavesPerEU: 59
; Occupancy: 16
; WaveLimiterHint : 1
; COMPUTE_PGM_RSRC2:SCRATCH_EN: 0
; COMPUTE_PGM_RSRC2:USER_SGPR: 15
; COMPUTE_PGM_RSRC2:TRAP_HANDLER: 0
; COMPUTE_PGM_RSRC2:TGID_X_EN: 1
; COMPUTE_PGM_RSRC2:TGID_Y_EN: 0
; COMPUTE_PGM_RSRC2:TGID_Z_EN: 0
; COMPUTE_PGM_RSRC2:TIDIG_COMP_CNT: 0
	.section	.text._ZN9rocsparseL19gebsrmvn_3xn_kernelILj128ELj5ELj32E21rocsparse_complex_numIfEEEvi20rocsparse_direction_NS_24const_host_device_scalarIT2_EEPKiS8_PKS5_SA_S6_PS5_21rocsparse_index_base_b,"axG",@progbits,_ZN9rocsparseL19gebsrmvn_3xn_kernelILj128ELj5ELj32E21rocsparse_complex_numIfEEEvi20rocsparse_direction_NS_24const_host_device_scalarIT2_EEPKiS8_PKS5_SA_S6_PS5_21rocsparse_index_base_b,comdat
	.globl	_ZN9rocsparseL19gebsrmvn_3xn_kernelILj128ELj5ELj32E21rocsparse_complex_numIfEEEvi20rocsparse_direction_NS_24const_host_device_scalarIT2_EEPKiS8_PKS5_SA_S6_PS5_21rocsparse_index_base_b ; -- Begin function _ZN9rocsparseL19gebsrmvn_3xn_kernelILj128ELj5ELj32E21rocsparse_complex_numIfEEEvi20rocsparse_direction_NS_24const_host_device_scalarIT2_EEPKiS8_PKS5_SA_S6_PS5_21rocsparse_index_base_b
	.p2align	8
	.type	_ZN9rocsparseL19gebsrmvn_3xn_kernelILj128ELj5ELj32E21rocsparse_complex_numIfEEEvi20rocsparse_direction_NS_24const_host_device_scalarIT2_EEPKiS8_PKS5_SA_S6_PS5_21rocsparse_index_base_b,@function
_ZN9rocsparseL19gebsrmvn_3xn_kernelILj128ELj5ELj32E21rocsparse_complex_numIfEEEvi20rocsparse_direction_NS_24const_host_device_scalarIT2_EEPKiS8_PKS5_SA_S6_PS5_21rocsparse_index_base_b: ; @_ZN9rocsparseL19gebsrmvn_3xn_kernelILj128ELj5ELj32E21rocsparse_complex_numIfEEEvi20rocsparse_direction_NS_24const_host_device_scalarIT2_EEPKiS8_PKS5_SA_S6_PS5_21rocsparse_index_base_b
; %bb.0:
	s_clause 0x2
	s_load_b64 s[12:13], s[0:1], 0x40
	s_load_b64 s[4:5], s[0:1], 0x8
	;; [unrolled: 1-line block ×3, first 2 shown]
	s_waitcnt lgkmcnt(0)
	s_bitcmp1_b32 s13, 0
	v_mov_b32_e32 v9, s4
	s_cselect_b32 s6, -1, 0
	s_delay_alu instid0(SALU_CYCLE_1)
	s_and_b32 vcc_lo, exec_lo, s6
	s_xor_b32 s6, s6, -1
	s_cbranch_vccz .LBB92_15
; %bb.1:
	v_cndmask_b32_e64 v1, 0, 1, s6
	v_mov_b32_e32 v10, s5
	s_and_not1_b32 vcc_lo, exec_lo, s6
	s_cbranch_vccz .LBB92_16
.LBB92_2:
	s_delay_alu instid0(VALU_DEP_2)
	v_cmp_ne_u32_e32 vcc_lo, 1, v1
	v_mov_b32_e32 v11, s2
	s_cbranch_vccz .LBB92_17
.LBB92_3:
	v_cmp_ne_u32_e32 vcc_lo, 1, v1
	v_mov_b32_e32 v12, s3
	s_cbranch_vccnz .LBB92_5
.LBB92_4:
	v_dual_mov_b32 v1, s2 :: v_dual_mov_b32 v2, s3
	flat_load_b32 v12, v[1:2] offset:4
.LBB92_5:
	s_waitcnt vmcnt(0) lgkmcnt(0)
	v_cmp_eq_f32_e32 vcc_lo, 0, v9
	v_cmp_eq_f32_e64 s2, 0, v10
	s_delay_alu instid0(VALU_DEP_1)
	s_and_b32 s4, vcc_lo, s2
	s_mov_b32 s2, -1
	s_and_saveexec_b32 s3, s4
; %bb.6:
	v_cmp_neq_f32_e32 vcc_lo, 1.0, v11
	v_cmp_neq_f32_e64 s2, 0, v12
	s_delay_alu instid0(VALU_DEP_1) | instskip(NEXT) | instid1(SALU_CYCLE_1)
	s_or_b32 s2, vcc_lo, s2
	s_or_not1_b32 s2, s2, exec_lo
; %bb.7:
	s_or_b32 exec_lo, exec_lo, s3
	s_and_saveexec_b32 s3, s2
	s_cbranch_execz .LBB92_29
; %bb.8:
	s_load_b64 s[2:3], s[0:1], 0x0
	v_lshrrev_b32_e32 v1, 5, v0
	s_delay_alu instid0(VALU_DEP_1) | instskip(SKIP_1) | instid1(VALU_DEP_1)
	v_lshl_or_b32 v1, s15, 2, v1
	s_waitcnt lgkmcnt(0)
	v_cmp_gt_i32_e32 vcc_lo, s2, v1
	s_and_b32 exec_lo, exec_lo, vcc_lo
	s_cbranch_execz .LBB92_29
; %bb.9:
	s_load_b256 s[4:11], s[0:1], 0x10
	v_ashrrev_i32_e32 v2, 31, v1
	v_and_b32_e32 v0, 31, v0
	s_cmp_lg_u32 s3, 0
	s_delay_alu instid0(VALU_DEP_2) | instskip(SKIP_1) | instid1(VALU_DEP_1)
	v_lshlrev_b64 v[2:3], 2, v[1:2]
	s_waitcnt lgkmcnt(0)
	v_add_co_u32 v2, vcc_lo, s4, v2
	s_delay_alu instid0(VALU_DEP_2) | instskip(SKIP_4) | instid1(VALU_DEP_2)
	v_add_co_ci_u32_e32 v3, vcc_lo, s5, v3, vcc_lo
	global_load_b64 v[2:3], v[2:3], off
	s_waitcnt vmcnt(0)
	v_subrev_nc_u32_e32 v2, s12, v2
	v_subrev_nc_u32_e32 v16, s12, v3
	v_add_nc_u32_e32 v2, v2, v0
	s_delay_alu instid0(VALU_DEP_1)
	v_cmp_lt_i32_e64 s2, v2, v16
	s_cbranch_scc0 .LBB92_18
; %bb.10:
	v_dual_mov_b32 v13, 0 :: v_dual_mov_b32 v18, 0
	v_dual_mov_b32 v17, 0 :: v_dual_mov_b32 v14, 0
	v_mov_b32_e32 v19, 0
	v_mov_b32_e32 v15, 0
	s_mov_b32 s3, 0
	s_and_saveexec_b32 s4, s2
	s_cbranch_execz .LBB92_14
; %bb.11:
	v_mad_u64_u32 v[3:4], null, v2, 15, 14
	v_dual_mov_b32 v6, 0 :: v_dual_mov_b32 v7, v2
	v_dual_mov_b32 v13, 0 :: v_dual_mov_b32 v18, 0
	;; [unrolled: 1-line block ×3, first 2 shown]
	v_mov_b32_e32 v19, 0
	v_mov_b32_e32 v15, 0
	s_mov_b32 s5, 0
.LBB92_12:                              ; =>This Inner Loop Header: Depth=1
	v_ashrrev_i32_e32 v8, 31, v7
	s_delay_alu instid0(VALU_DEP_1) | instskip(SKIP_1) | instid1(VALU_DEP_2)
	v_lshlrev_b64 v[4:5], 2, v[7:8]
	v_add_nc_u32_e32 v7, 32, v7
	v_add_co_u32 v4, vcc_lo, s6, v4
	s_delay_alu instid0(VALU_DEP_3) | instskip(SKIP_2) | instid1(VALU_DEP_1)
	v_add_co_ci_u32_e32 v5, vcc_lo, s7, v5, vcc_lo
	global_load_b32 v8, v[4:5], off
	v_dual_mov_b32 v4, v6 :: v_dual_add_nc_u32 v5, -14, v3
	v_lshlrev_b64 v[22:23], 3, v[5:6]
	v_add_nc_u32_e32 v5, -13, v3
	s_delay_alu instid0(VALU_DEP_3) | instskip(NEXT) | instid1(VALU_DEP_2)
	v_lshlrev_b64 v[24:25], 3, v[3:4]
	v_lshlrev_b64 v[26:27], 3, v[5:6]
	v_add_nc_u32_e32 v5, -12, v3
	v_add_co_u32 v22, vcc_lo, s8, v22
	v_add_co_ci_u32_e32 v23, vcc_lo, s9, v23, vcc_lo
	s_delay_alu instid0(VALU_DEP_3) | instskip(SKIP_4) | instid1(VALU_DEP_4)
	v_lshlrev_b64 v[28:29], 3, v[5:6]
	v_add_nc_u32_e32 v5, -11, v3
	v_add_co_u32 v24, vcc_lo, s8, v24
	v_add_co_ci_u32_e32 v25, vcc_lo, s9, v25, vcc_lo
	v_add_co_u32 v26, vcc_lo, s8, v26
	v_lshlrev_b64 v[4:5], 3, v[5:6]
	v_add_co_ci_u32_e32 v27, vcc_lo, s9, v27, vcc_lo
	v_add_co_u32 v28, vcc_lo, s8, v28
	v_add_co_ci_u32_e32 v29, vcc_lo, s9, v29, vcc_lo
	s_delay_alu instid0(VALU_DEP_4)
	v_add_co_u32 v4, vcc_lo, s8, v4
	v_add_co_ci_u32_e32 v5, vcc_lo, s9, v5, vcc_lo
	s_clause 0x3
	global_load_b64 v[22:23], v[22:23], off
	global_load_b64 v[26:27], v[26:27], off
	;; [unrolled: 1-line block ×4, first 2 shown]
	v_mov_b32_e32 v21, v6
	s_waitcnt vmcnt(4)
	v_subrev_nc_u32_e32 v4, s12, v8
	s_delay_alu instid0(VALU_DEP_1) | instskip(NEXT) | instid1(VALU_DEP_1)
	v_lshl_add_u32 v20, v4, 2, v4
	v_lshlrev_b64 v[32:33], 3, v[20:21]
	v_add_nc_u32_e32 v5, 1, v20
	s_delay_alu instid0(VALU_DEP_1) | instskip(NEXT) | instid1(VALU_DEP_3)
	v_lshlrev_b64 v[34:35], 3, v[5:6]
	v_add_co_u32 v32, vcc_lo, s10, v32
	s_delay_alu instid0(VALU_DEP_4) | instskip(NEXT) | instid1(VALU_DEP_3)
	v_add_co_ci_u32_e32 v33, vcc_lo, s11, v33, vcc_lo
	v_add_co_u32 v34, vcc_lo, s10, v34
	global_load_b64 v[32:33], v[32:33], off
	v_add_co_ci_u32_e32 v35, vcc_lo, s11, v35, vcc_lo
	global_load_b64 v[34:35], v[34:35], off
	s_waitcnt vmcnt(1)
	v_fmac_f32_e32 v17, v22, v32
	v_fmac_f32_e32 v14, v29, v32
	;; [unrolled: 1-line block ×5, first 2 shown]
	v_fma_f32 v8, -v23, v33, v17
	v_dual_fmac_f32 v14, v28, v33 :: v_dual_add_nc_u32 v5, -10, v3
	v_dual_fmac_f32 v18, v28, v32 :: v_dual_fmac_f32 v13, v22, v33
	s_waitcnt vmcnt(0)
	s_delay_alu instid0(VALU_DEP_3)
	v_fmac_f32_e32 v8, v30, v34
	v_fma_f32 v17, -v27, v33, v19
	v_lshlrev_b64 v[36:37], 3, v[5:6]
	v_fmac_f32_e32 v15, v26, v33
	v_fma_f32 v18, -v29, v33, v18
	v_fma_f32 v8, -v31, v35, v8
	v_add_nc_u32_e32 v5, -9, v3
	v_fmac_f32_e32 v13, v31, v34
	v_add_co_u32 v36, vcc_lo, s8, v36
	v_add_co_ci_u32_e32 v37, vcc_lo, s9, v37, vcc_lo
	s_delay_alu instid0(VALU_DEP_4)
	v_lshlrev_b64 v[38:39], 3, v[5:6]
	v_add_nc_u32_e32 v5, -8, v3
	v_fmac_f32_e32 v13, v30, v35
	global_load_b64 v[36:37], v[36:37], off
	v_add_co_u32 v38, vcc_lo, s8, v38
	v_add_co_ci_u32_e32 v39, vcc_lo, s9, v39, vcc_lo
	v_lshlrev_b64 v[40:41], 3, v[5:6]
	global_load_b64 v[38:39], v[38:39], off
	v_add_co_u32 v40, vcc_lo, s8, v40
	v_add_co_ci_u32_e32 v41, vcc_lo, s9, v41, vcc_lo
	global_load_b64 v[40:41], v[40:41], off
	s_waitcnt vmcnt(2)
	v_fmac_f32_e32 v17, v36, v34
	v_fmac_f32_e32 v15, v37, v34
	s_delay_alu instid0(VALU_DEP_2) | instskip(SKIP_1) | instid1(VALU_DEP_2)
	v_fma_f32 v17, -v37, v35, v17
	s_waitcnt vmcnt(1)
	v_dual_fmac_f32 v15, v36, v35 :: v_dual_fmac_f32 v14, v39, v34
	v_dual_fmac_f32 v18, v38, v34 :: v_dual_add_nc_u32 v5, 2, v20
	s_delay_alu instid0(VALU_DEP_2) | instskip(NEXT) | instid1(VALU_DEP_2)
	v_fmac_f32_e32 v14, v38, v35
	v_lshlrev_b64 v[42:43], 3, v[5:6]
	s_delay_alu instid0(VALU_DEP_3) | instskip(NEXT) | instid1(VALU_DEP_2)
	v_fma_f32 v18, -v39, v35, v18
	v_add_co_u32 v42, vcc_lo, s10, v42
	s_delay_alu instid0(VALU_DEP_3) | instskip(SKIP_2) | instid1(VALU_DEP_1)
	v_add_co_ci_u32_e32 v43, vcc_lo, s11, v43, vcc_lo
	global_load_b64 v[42:43], v[42:43], off
	v_add_nc_u32_e32 v5, -7, v3
	v_lshlrev_b64 v[44:45], 3, v[5:6]
	s_delay_alu instid0(VALU_DEP_1) | instskip(NEXT) | instid1(VALU_DEP_2)
	v_add_co_u32 v44, vcc_lo, s8, v44
	v_add_co_ci_u32_e32 v45, vcc_lo, s9, v45, vcc_lo
	global_load_b64 v[44:45], v[44:45], off
	s_waitcnt vmcnt(1)
	v_fmac_f32_e32 v8, v40, v42
	v_fmac_f32_e32 v13, v41, v42
	s_delay_alu instid0(VALU_DEP_2) | instskip(SKIP_1) | instid1(VALU_DEP_3)
	v_fma_f32 v8, -v41, v43, v8
	v_add_nc_u32_e32 v5, -6, v3
	v_fmac_f32_e32 v13, v40, v43
	s_delay_alu instid0(VALU_DEP_2) | instskip(SKIP_1) | instid1(VALU_DEP_2)
	v_lshlrev_b64 v[46:47], 3, v[5:6]
	v_add_nc_u32_e32 v5, -5, v3
	v_add_co_u32 v46, vcc_lo, s8, v46
	s_delay_alu instid0(VALU_DEP_3) | instskip(NEXT) | instid1(VALU_DEP_3)
	v_add_co_ci_u32_e32 v47, vcc_lo, s9, v47, vcc_lo
	v_lshlrev_b64 v[48:49], 3, v[5:6]
	global_load_b64 v[46:47], v[46:47], off
	v_add_co_u32 v48, vcc_lo, s8, v48
	v_add_co_ci_u32_e32 v49, vcc_lo, s9, v49, vcc_lo
	global_load_b64 v[48:49], v[48:49], off
	s_waitcnt vmcnt(2)
	v_fmac_f32_e32 v17, v44, v42
	v_fmac_f32_e32 v15, v45, v42
	s_delay_alu instid0(VALU_DEP_2) | instskip(SKIP_1) | instid1(VALU_DEP_2)
	v_fma_f32 v17, -v45, v43, v17
	s_waitcnt vmcnt(1)
	v_dual_fmac_f32 v15, v44, v43 :: v_dual_fmac_f32 v14, v47, v42
	v_dual_fmac_f32 v18, v46, v42 :: v_dual_add_nc_u32 v5, 3, v20
	s_delay_alu instid0(VALU_DEP_2) | instskip(NEXT) | instid1(VALU_DEP_2)
	v_fmac_f32_e32 v14, v46, v43
	v_lshlrev_b64 v[50:51], 3, v[5:6]
	s_delay_alu instid0(VALU_DEP_3) | instskip(NEXT) | instid1(VALU_DEP_2)
	v_fma_f32 v18, -v47, v43, v18
	v_add_co_u32 v50, vcc_lo, s10, v50
	s_delay_alu instid0(VALU_DEP_3) | instskip(SKIP_2) | instid1(VALU_DEP_1)
	v_add_co_ci_u32_e32 v51, vcc_lo, s11, v51, vcc_lo
	global_load_b64 v[50:51], v[50:51], off
	v_add_nc_u32_e32 v5, -4, v3
	v_lshlrev_b64 v[52:53], 3, v[5:6]
	s_delay_alu instid0(VALU_DEP_1) | instskip(NEXT) | instid1(VALU_DEP_2)
	v_add_co_u32 v52, vcc_lo, s8, v52
	v_add_co_ci_u32_e32 v53, vcc_lo, s9, v53, vcc_lo
	s_waitcnt vmcnt(0)
	v_fmac_f32_e32 v8, v48, v50
	v_fmac_f32_e32 v13, v49, v50
	s_delay_alu instid0(VALU_DEP_2) | instskip(SKIP_1) | instid1(VALU_DEP_3)
	v_fma_f32 v8, -v49, v51, v8
	v_add_nc_u32_e32 v5, -3, v3
	v_fmac_f32_e32 v13, v48, v51
	s_delay_alu instid0(VALU_DEP_2) | instskip(SKIP_1) | instid1(VALU_DEP_1)
	v_lshlrev_b64 v[54:55], 3, v[5:6]
	v_add_nc_u32_e32 v5, -2, v3
	v_lshlrev_b64 v[56:57], 3, v[5:6]
	v_add_nc_u32_e32 v5, 4, v20
	global_load_b64 v[20:21], v[52:53], off
	v_add_co_u32 v52, vcc_lo, s8, v54
	v_add_co_ci_u32_e32 v53, vcc_lo, s9, v55, vcc_lo
	v_add_co_u32 v56, vcc_lo, s8, v56
	v_add_co_ci_u32_e32 v57, vcc_lo, s9, v57, vcc_lo
	s_clause 0x1
	global_load_b64 v[52:53], v[52:53], off
	global_load_b64 v[56:57], v[56:57], off
	s_waitcnt vmcnt(2)
	v_fmac_f32_e32 v17, v20, v50
	v_fmac_f32_e32 v15, v21, v50
	s_delay_alu instid0(VALU_DEP_2) | instskip(SKIP_1) | instid1(VALU_DEP_2)
	v_fma_f32 v19, -v21, v51, v17
	s_waitcnt vmcnt(1)
	v_dual_fmac_f32 v15, v20, v51 :: v_dual_fmac_f32 v14, v53, v50
	v_fmac_f32_e32 v18, v52, v50
	s_delay_alu instid0(VALU_DEP_2) | instskip(SKIP_2) | instid1(VALU_DEP_4)
	v_fmac_f32_e32 v14, v52, v51
	v_lshlrev_b64 v[54:55], 3, v[5:6]
	v_add_nc_u32_e32 v5, -1, v3
	v_fma_f32 v18, -v53, v51, v18
	v_add_nc_u32_e32 v3, 0x1e0, v3
	s_delay_alu instid0(VALU_DEP_3) | instskip(SKIP_2) | instid1(VALU_DEP_3)
	v_lshlrev_b64 v[4:5], 3, v[5:6]
	v_add_co_u32 v54, vcc_lo, s10, v54
	v_add_co_ci_u32_e32 v55, vcc_lo, s11, v55, vcc_lo
	v_add_co_u32 v4, vcc_lo, s8, v4
	s_delay_alu instid0(VALU_DEP_4)
	v_add_co_ci_u32_e32 v5, vcc_lo, s9, v5, vcc_lo
	global_load_b64 v[54:55], v[54:55], off
	s_clause 0x1
	global_load_b64 v[4:5], v[4:5], off
	global_load_b64 v[24:25], v[24:25], off
	v_cmp_ge_i32_e32 vcc_lo, v7, v16
	s_or_b32 s5, vcc_lo, s5
	s_waitcnt vmcnt(2)
	v_fmac_f32_e32 v8, v56, v54
	v_fmac_f32_e32 v13, v57, v54
	s_waitcnt vmcnt(0)
	v_fmac_f32_e32 v14, v25, v54
	v_fmac_f32_e32 v19, v4, v54
	;; [unrolled: 1-line block ×4, first 2 shown]
	v_fma_f32 v17, -v57, v55, v8
	v_fmac_f32_e32 v13, v56, v55
	v_fma_f32 v19, -v5, v55, v19
	v_fmac_f32_e32 v15, v4, v55
	;; [unrolled: 2-line block ×3, first 2 shown]
	s_and_not1_b32 exec_lo, exec_lo, s5
	s_cbranch_execnz .LBB92_12
; %bb.13:
	s_or_b32 exec_lo, exec_lo, s5
.LBB92_14:
	s_delay_alu instid0(SALU_CYCLE_1) | instskip(NEXT) | instid1(SALU_CYCLE_1)
	s_or_b32 exec_lo, exec_lo, s4
	s_and_not1_b32 vcc_lo, exec_lo, s3
	s_cbranch_vccz .LBB92_19
	s_branch .LBB92_24
.LBB92_15:
	v_dual_mov_b32 v1, s4 :: v_dual_mov_b32 v2, s5
	flat_load_b32 v9, v[1:2]
	v_cndmask_b32_e64 v1, 0, 1, s6
	v_mov_b32_e32 v10, s5
	s_and_not1_b32 vcc_lo, exec_lo, s6
	s_cbranch_vccnz .LBB92_2
.LBB92_16:
	v_dual_mov_b32 v2, s4 :: v_dual_mov_b32 v3, s5
	flat_load_b32 v10, v[2:3] offset:4
	v_cmp_ne_u32_e32 vcc_lo, 1, v1
	v_mov_b32_e32 v11, s2
	s_cbranch_vccnz .LBB92_3
.LBB92_17:
	v_dual_mov_b32 v2, s2 :: v_dual_mov_b32 v3, s3
	flat_load_b32 v11, v[2:3]
	v_cmp_ne_u32_e32 vcc_lo, 1, v1
	v_mov_b32_e32 v12, s3
	s_cbranch_vccz .LBB92_4
	s_branch .LBB92_5
.LBB92_18:
                                        ; implicit-def: $vgpr13
                                        ; implicit-def: $vgpr17
                                        ; implicit-def: $vgpr18
                                        ; implicit-def: $vgpr14
                                        ; implicit-def: $vgpr19
                                        ; implicit-def: $vgpr15
.LBB92_19:
	v_dual_mov_b32 v13, 0 :: v_dual_mov_b32 v18, 0
	v_dual_mov_b32 v17, 0 :: v_dual_mov_b32 v14, 0
	v_mov_b32_e32 v19, 0
	v_mov_b32_e32 v15, 0
	s_and_saveexec_b32 s3, s2
	s_cbranch_execz .LBB92_23
; %bb.20:
	v_mad_u64_u32 v[4:5], null, v2, 15, 14
	v_dual_mov_b32 v7, 0 :: v_dual_mov_b32 v18, 0
	v_dual_mov_b32 v13, 0 :: v_dual_mov_b32 v14, 0
	v_mov_b32_e32 v17, 0
	v_mov_b32_e32 v19, 0
	;; [unrolled: 1-line block ×3, first 2 shown]
	s_mov_b32 s2, 0
.LBB92_21:                              ; =>This Inner Loop Header: Depth=1
	v_ashrrev_i32_e32 v3, 31, v2
	v_dual_mov_b32 v23, v7 :: v_dual_add_nc_u32 v20, -9, v4
	v_dual_mov_b32 v21, v7 :: v_dual_add_nc_u32 v22, -4, v4
	s_delay_alu instid0(VALU_DEP_3) | instskip(NEXT) | instid1(VALU_DEP_2)
	v_lshlrev_b64 v[5:6], 2, v[2:3]
	v_lshlrev_b64 v[20:21], 3, v[20:21]
	s_delay_alu instid0(VALU_DEP_2) | instskip(NEXT) | instid1(VALU_DEP_3)
	v_add_co_u32 v5, vcc_lo, s6, v5
	v_add_co_ci_u32_e32 v6, vcc_lo, s7, v6, vcc_lo
	global_load_b32 v3, v[5:6], off
	v_dual_mov_b32 v5, v7 :: v_dual_add_nc_u32 v6, -14, v4
	v_lshlrev_b64 v[22:23], 3, v[22:23]
	s_delay_alu instid0(VALU_DEP_2) | instskip(NEXT) | instid1(VALU_DEP_3)
	v_lshlrev_b64 v[27:28], 3, v[4:5]
	v_lshlrev_b64 v[25:26], 3, v[6:7]
	v_add_nc_u32_e32 v6, -13, v4
	s_delay_alu instid0(VALU_DEP_1) | instskip(NEXT) | instid1(VALU_DEP_3)
	v_lshlrev_b64 v[5:6], 3, v[6:7]
	v_add_co_u32 v25, vcc_lo, s8, v25
	s_delay_alu instid0(VALU_DEP_4)
	v_add_co_ci_u32_e32 v26, vcc_lo, s9, v26, vcc_lo
	v_add_co_u32 v20, vcc_lo, s8, v20
	v_add_co_ci_u32_e32 v21, vcc_lo, s9, v21, vcc_lo
	v_add_co_u32 v22, vcc_lo, s8, v22
	;; [unrolled: 2-line block ×4, first 2 shown]
	v_add_co_ci_u32_e32 v6, vcc_lo, s9, v6, vcc_lo
	s_clause 0x3
	global_load_b64 v[25:26], v[25:26], off
	global_load_b64 v[20:21], v[20:21], off
	;; [unrolled: 1-line block ×4, first 2 shown]
	v_mov_b32_e32 v24, v7
	s_waitcnt vmcnt(4)
	v_subrev_nc_u32_e32 v3, s12, v3
	s_delay_alu instid0(VALU_DEP_1) | instskip(NEXT) | instid1(VALU_DEP_1)
	v_lshl_add_u32 v23, v3, 2, v3
	v_lshlrev_b64 v[33:34], 3, v[23:24]
	s_delay_alu instid0(VALU_DEP_1) | instskip(NEXT) | instid1(VALU_DEP_2)
	v_add_co_u32 v33, vcc_lo, s10, v33
	v_add_co_ci_u32_e32 v34, vcc_lo, s11, v34, vcc_lo
	global_load_b64 v[33:34], v[33:34], off
	v_add_nc_u32_e32 v6, 1, v23
	s_delay_alu instid0(VALU_DEP_1) | instskip(NEXT) | instid1(VALU_DEP_1)
	v_lshlrev_b64 v[35:36], 3, v[6:7]
	v_add_co_u32 v35, vcc_lo, s10, v35
	s_delay_alu instid0(VALU_DEP_2) | instskip(SKIP_3) | instid1(VALU_DEP_1)
	v_add_co_ci_u32_e32 v36, vcc_lo, s11, v36, vcc_lo
	global_load_b64 v[35:36], v[35:36], off
	s_waitcnt vmcnt(1)
	v_dual_fmac_f32 v15, v21, v33 :: v_dual_add_nc_u32 v6, -8, v4
	v_lshlrev_b64 v[37:38], 3, v[6:7]
	v_dual_fmac_f32 v13, v26, v33 :: v_dual_add_nc_u32 v6, -3, v4
	v_fmac_f32_e32 v17, v25, v33
	s_delay_alu instid0(VALU_DEP_4) | instskip(NEXT) | instid1(VALU_DEP_4)
	v_dual_fmac_f32 v15, v20, v34 :: v_dual_fmac_f32 v18, v29, v33
	v_add_co_u32 v37, vcc_lo, s8, v37
	v_add_co_ci_u32_e32 v38, vcc_lo, s9, v38, vcc_lo
	v_fmac_f32_e32 v13, v25, v34
	v_lshlrev_b64 v[39:40], 3, v[6:7]
	v_add_nc_u32_e32 v6, -12, v4
	global_load_b64 v[37:38], v[37:38], off
	v_add_nc_u32_e32 v2, 32, v2
	v_fma_f32 v3, -v26, v34, v17
	v_fma_f32 v17, -v30, v34, v18
	v_lshlrev_b64 v[41:42], 3, v[6:7]
	s_waitcnt vmcnt(1)
	v_fmac_f32_e32 v13, v32, v35
	v_add_nc_u32_e32 v6, 2, v23
	v_add_co_u32 v39, vcc_lo, s8, v39
	v_add_co_ci_u32_e32 v40, vcc_lo, s9, v40, vcc_lo
	s_delay_alu instid0(VALU_DEP_4) | instskip(NEXT) | instid1(VALU_DEP_4)
	v_fmac_f32_e32 v13, v31, v36
	v_lshlrev_b64 v[43:44], 3, v[6:7]
	v_add_co_u32 v41, vcc_lo, s8, v41
	global_load_b64 v[39:40], v[39:40], off
	v_dual_fmac_f32 v3, v31, v35 :: v_dual_add_nc_u32 v6, -7, v4
	v_add_co_ci_u32_e32 v42, vcc_lo, s9, v42, vcc_lo
	v_add_co_u32 v43, vcc_lo, s10, v43
	v_add_co_ci_u32_e32 v44, vcc_lo, s11, v44, vcc_lo
	s_delay_alu instid0(VALU_DEP_4)
	v_lshlrev_b64 v[45:46], 3, v[6:7]
	global_load_b64 v[41:42], v[41:42], off
	v_add_nc_u32_e32 v6, -2, v4
	global_load_b64 v[43:44], v[43:44], off
	v_fma_f32 v3, -v32, v36, v3
	v_fmac_f32_e32 v19, v20, v33
	v_add_co_u32 v45, vcc_lo, s8, v45
	v_add_co_ci_u32_e32 v46, vcc_lo, s9, v46, vcc_lo
	s_delay_alu instid0(VALU_DEP_3)
	v_fma_f32 v8, -v21, v34, v19
	global_load_b64 v[45:46], v[45:46], off
	s_waitcnt vmcnt(4)
	v_fmac_f32_e32 v15, v38, v35
	v_lshlrev_b64 v[47:48], 3, v[6:7]
	v_add_nc_u32_e32 v6, -11, v4
	s_delay_alu instid0(VALU_DEP_3) | instskip(NEXT) | instid1(VALU_DEP_3)
	v_fmac_f32_e32 v15, v37, v36
	v_add_co_u32 v47, vcc_lo, s8, v47
	s_delay_alu instid0(VALU_DEP_4)
	v_add_co_ci_u32_e32 v48, vcc_lo, s9, v48, vcc_lo
	global_load_b64 v[47:48], v[47:48], off
	s_waitcnt vmcnt(4)
	v_fmac_f32_e32 v17, v39, v35
	v_lshlrev_b64 v[49:50], 3, v[6:7]
	v_add_nc_u32_e32 v6, 3, v23
	s_delay_alu instid0(VALU_DEP_3) | instskip(NEXT) | instid1(VALU_DEP_2)
	v_fma_f32 v17, -v40, v36, v17
	v_lshlrev_b64 v[51:52], 3, v[6:7]
	v_add_nc_u32_e32 v6, -6, v4
	v_add_co_u32 v49, vcc_lo, s8, v49
	v_add_co_ci_u32_e32 v50, vcc_lo, s9, v50, vcc_lo
	s_waitcnt vmcnt(2)
	v_fmac_f32_e32 v3, v41, v43
	v_lshlrev_b64 v[53:54], 3, v[6:7]
	v_dual_fmac_f32 v13, v42, v43 :: v_dual_add_nc_u32 v6, -1, v4
	v_add_co_u32 v51, vcc_lo, s10, v51
	global_load_b64 v[49:50], v[49:50], off
	v_add_co_ci_u32_e32 v52, vcc_lo, s11, v52, vcc_lo
	v_lshlrev_b64 v[55:56], 3, v[6:7]
	s_waitcnt vmcnt(2)
	v_dual_fmac_f32 v15, v46, v43 :: v_dual_add_nc_u32 v6, -10, v4
	v_add_co_u32 v53, vcc_lo, s8, v53
	v_add_co_ci_u32_e32 v54, vcc_lo, s9, v54, vcc_lo
	s_delay_alu instid0(VALU_DEP_3)
	v_lshlrev_b64 v[57:58], 3, v[6:7]
	v_dual_fmac_f32 v13, v41, v44 :: v_dual_add_nc_u32 v6, 4, v23
	global_load_b64 v[22:23], v[53:54], off
	v_add_co_u32 v53, vcc_lo, s8, v55
	v_add_co_ci_u32_e32 v54, vcc_lo, s9, v56, vcc_lo
	v_lshlrev_b64 v[55:56], 3, v[6:7]
	v_add_nc_u32_e32 v6, -5, v4
	global_load_b64 v[51:52], v[51:52], off
	v_add_co_u32 v57, vcc_lo, s8, v57
	v_add_co_ci_u32_e32 v58, vcc_lo, s9, v58, vcc_lo
	v_add_co_u32 v55, vcc_lo, s10, v55
	v_add_co_ci_u32_e32 v56, vcc_lo, s11, v56, vcc_lo
	s_clause 0x1
	global_load_b64 v[53:54], v[53:54], off
	global_load_b64 v[57:58], v[57:58], off
	v_dual_fmac_f32 v14, v30, v33 :: v_dual_fmac_f32 v15, v45, v44
	v_fma_f32 v3, -v42, v44, v3
	v_add_nc_u32_e32 v4, 0x1e0, v4
	s_waitcnt vmcnt(5)
	s_delay_alu instid0(VALU_DEP_3) | instskip(SKIP_1) | instid1(VALU_DEP_2)
	v_dual_fmac_f32 v14, v29, v34 :: v_dual_fmac_f32 v17, v47, v43
	v_lshlrev_b64 v[5:6], 3, v[6:7]
	v_fma_f32 v17, -v48, v44, v17
	s_delay_alu instid0(VALU_DEP_2) | instskip(NEXT) | instid1(VALU_DEP_3)
	v_add_co_u32 v5, vcc_lo, s8, v5
	v_add_co_ci_u32_e32 v6, vcc_lo, s9, v6, vcc_lo
	global_load_b64 v[55:56], v[55:56], off
	s_clause 0x1
	global_load_b64 v[5:6], v[5:6], off
	global_load_b64 v[27:28], v[27:28], off
	v_cmp_ge_i32_e32 vcc_lo, v2, v16
	s_or_b32 s2, vcc_lo, s2
	s_waitcnt vmcnt(5)
	v_fmac_f32_e32 v15, v23, v51
	v_fmac_f32_e32 v13, v50, v51
	v_fmac_f32_e32 v14, v40, v35
	v_fmac_f32_e32 v8, v37, v35
	v_fmac_f32_e32 v3, v49, v51
	v_fmac_f32_e32 v15, v22, v52
	v_fmac_f32_e32 v13, v49, v52
	v_fmac_f32_e32 v14, v39, v36
	v_fma_f32 v8, -v38, v36, v8
	s_waitcnt vmcnt(4)
	v_fmac_f32_e32 v17, v53, v51
	v_fma_f32 v3, -v50, v52, v3
	s_delay_alu instid0(VALU_DEP_3) | instskip(NEXT) | instid1(VALU_DEP_3)
	v_fmac_f32_e32 v8, v45, v43
	v_fma_f32 v18, -v54, v52, v17
	s_delay_alu instid0(VALU_DEP_2)
	v_fma_f32 v8, -v46, v44, v8
	s_waitcnt vmcnt(2)
	v_fmac_f32_e32 v13, v58, v55
	v_fmac_f32_e32 v14, v48, v43
	;; [unrolled: 1-line block ×3, first 2 shown]
	s_waitcnt vmcnt(0)
	v_fmac_f32_e32 v18, v27, v55
	v_fmac_f32_e32 v15, v6, v55
	;; [unrolled: 1-line block ×5, first 2 shown]
	v_fma_f32 v17, -v58, v56, v3
	v_fmac_f32_e32 v15, v5, v56
	v_fma_f32 v18, -v28, v56, v18
	v_fmac_f32_e32 v14, v54, v51
	v_fma_f32 v8, -v23, v52, v8
	s_delay_alu instid0(VALU_DEP_2) | instskip(NEXT) | instid1(VALU_DEP_2)
	v_fmac_f32_e32 v14, v53, v52
	v_fmac_f32_e32 v8, v5, v55
	s_delay_alu instid0(VALU_DEP_2) | instskip(NEXT) | instid1(VALU_DEP_2)
	v_fmac_f32_e32 v14, v28, v55
	v_fma_f32 v19, -v6, v56, v8
	s_delay_alu instid0(VALU_DEP_2)
	v_fmac_f32_e32 v14, v27, v56
	s_and_not1_b32 exec_lo, exec_lo, s2
	s_cbranch_execnz .LBB92_21
; %bb.22:
	s_or_b32 exec_lo, exec_lo, s2
.LBB92_23:
	s_delay_alu instid0(SALU_CYCLE_1)
	s_or_b32 exec_lo, exec_lo, s3
.LBB92_24:
	v_mbcnt_lo_u32_b32 v2, -1, 0
	s_delay_alu instid0(VALU_DEP_1) | instskip(SKIP_1) | instid1(VALU_DEP_2)
	v_xor_b32_e32 v3, 16, v2
	v_xor_b32_e32 v16, 8, v2
	v_cmp_gt_i32_e32 vcc_lo, 32, v3
	v_cndmask_b32_e32 v3, v2, v3, vcc_lo
	s_delay_alu instid0(VALU_DEP_3) | instskip(SKIP_1) | instid1(VALU_DEP_1)
	v_cmp_gt_i32_e32 vcc_lo, 32, v16
	v_cndmask_b32_e32 v16, v2, v16, vcc_lo
	v_lshlrev_b32_e32 v16, 2, v16
	s_delay_alu instid0(VALU_DEP_4)
	v_lshlrev_b32_e32 v3, 2, v3
	ds_bpermute_b32 v4, v3, v17
	s_waitcnt lgkmcnt(0)
	v_add_f32_e32 v4, v17, v4
	ds_bpermute_b32 v5, v3, v13
	ds_bpermute_b32 v6, v3, v19
	;; [unrolled: 1-line block ×5, first 2 shown]
	s_waitcnt lgkmcnt(3)
	v_dual_add_f32 v5, v13, v5 :: v_dual_add_f32 v6, v19, v6
	s_waitcnt lgkmcnt(1)
	v_dual_add_f32 v7, v15, v7 :: v_dual_add_f32 v8, v18, v8
	s_waitcnt lgkmcnt(0)
	v_add_f32_e32 v3, v14, v3
	ds_bpermute_b32 v13, v16, v4
	ds_bpermute_b32 v14, v16, v5
	;; [unrolled: 1-line block ×4, first 2 shown]
	v_xor_b32_e32 v19, 4, v2
	ds_bpermute_b32 v17, v16, v7
	ds_bpermute_b32 v16, v16, v3
	v_cmp_gt_i32_e32 vcc_lo, 32, v19
	s_waitcnt lgkmcnt(5)
	v_dual_cndmask_b32 v19, v2, v19 :: v_dual_add_f32 v4, v4, v13
	s_delay_alu instid0(VALU_DEP_1)
	v_lshlrev_b32_e32 v19, 2, v19
	s_waitcnt lgkmcnt(3)
	v_dual_add_f32 v5, v5, v14 :: v_dual_add_f32 v6, v6, v15
	s_waitcnt lgkmcnt(2)
	v_add_f32_e32 v8, v8, v18
	ds_bpermute_b32 v13, v19, v4
	s_waitcnt lgkmcnt(1)
	v_add_f32_e32 v3, v3, v16
	ds_bpermute_b32 v15, v19, v6
	v_add_f32_e32 v7, v7, v17
	ds_bpermute_b32 v14, v19, v5
	ds_bpermute_b32 v17, v19, v8
	s_waitcnt lgkmcnt(3)
	v_add_f32_e32 v4, v4, v13
	ds_bpermute_b32 v18, v19, v3
	s_waitcnt lgkmcnt(3)
	v_add_f32_e32 v6, v6, v15
	ds_bpermute_b32 v16, v19, v7
	v_xor_b32_e32 v19, 2, v2
	s_waitcnt lgkmcnt(2)
	v_dual_add_f32 v5, v5, v14 :: v_dual_add_f32 v14, v8, v17
	s_delay_alu instid0(VALU_DEP_2)
	v_cmp_gt_i32_e32 vcc_lo, 32, v19
	v_cndmask_b32_e32 v19, v2, v19, vcc_lo
	s_waitcnt lgkmcnt(1)
	v_add_f32_e32 v15, v3, v18
	s_waitcnt lgkmcnt(0)
	v_add_f32_e32 v13, v7, v16
	v_lshlrev_b32_e32 v19, 2, v19
	ds_bpermute_b32 v7, v19, v5
	ds_bpermute_b32 v8, v19, v6
	;; [unrolled: 1-line block ×3, first 2 shown]
	s_waitcnt lgkmcnt(2)
	v_add_f32_e32 v5, v5, v7
	s_waitcnt lgkmcnt(1)
	v_add_f32_e32 v7, v6, v8
	;; [unrolled: 2-line block ×3, first 2 shown]
	ds_bpermute_b32 v3, v19, v4
	ds_bpermute_b32 v17, v19, v14
	;; [unrolled: 1-line block ×3, first 2 shown]
	v_xor_b32_e32 v19, 1, v2
	s_delay_alu instid0(VALU_DEP_1) | instskip(SKIP_3) | instid1(VALU_DEP_2)
	v_cmp_gt_i32_e32 vcc_lo, 32, v19
	v_cndmask_b32_e32 v2, v2, v19, vcc_lo
	v_cmp_eq_u32_e32 vcc_lo, 31, v0
	s_waitcnt lgkmcnt(2)
	v_dual_add_f32 v2, v4, v3 :: v_dual_lshlrev_b32 v19, 2, v2
	s_waitcnt lgkmcnt(0)
	v_dual_add_f32 v3, v14, v17 :: v_dual_add_f32 v4, v15, v18
	ds_bpermute_b32 v15, v19, v5
	ds_bpermute_b32 v16, v19, v7
	;; [unrolled: 1-line block ×6, first 2 shown]
	s_and_b32 exec_lo, exec_lo, vcc_lo
	s_cbranch_execz .LBB92_29
; %bb.25:
	s_load_b64 s[2:3], s[0:1], 0x38
	v_cmp_eq_f32_e32 vcc_lo, 0, v11
	v_cmp_eq_f32_e64 s0, 0, v12
	s_waitcnt lgkmcnt(0)
	v_add_f32_e32 v0, v2, v6
	v_dual_add_f32 v6, v5, v15 :: v_dual_add_f32 v3, v3, v13
	v_dual_add_f32 v2, v7, v16 :: v_dual_add_f32 v5, v8, v17
	v_add_f32_e32 v4, v4, v14
	s_and_b32 s0, vcc_lo, s0
	s_delay_alu instid0(SALU_CYCLE_1) | instskip(NEXT) | instid1(SALU_CYCLE_1)
	s_and_saveexec_b32 s1, s0
	s_xor_b32 s0, exec_lo, s1
	s_cbranch_execz .LBB92_27
; %bb.26:
	v_lshl_add_u32 v7, v1, 1, v1
	v_mul_f32_e64 v11, v6, -v10
	v_mul_f32_e32 v12, v6, v9
	v_mul_f32_e64 v13, v5, -v10
	v_mul_f32_e32 v14, v5, v9
	v_ashrrev_i32_e32 v8, 31, v7
	v_fmac_f32_e32 v11, v9, v0
	v_mul_f32_e64 v5, v4, -v10
	v_dual_mul_f32 v6, v4, v9 :: v_dual_fmac_f32 v13, v9, v2
	s_delay_alu instid0(VALU_DEP_4) | instskip(NEXT) | instid1(VALU_DEP_3)
	v_lshlrev_b64 v[7:8], 3, v[7:8]
	v_dual_fmac_f32 v12, v10, v0 :: v_dual_fmac_f32 v5, v9, v3
	v_fmac_f32_e32 v14, v10, v2
	s_delay_alu instid0(VALU_DEP_4) | instskip(NEXT) | instid1(VALU_DEP_4)
	v_fmac_f32_e32 v6, v10, v3
                                        ; implicit-def: $vgpr9
                                        ; implicit-def: $vgpr10
                                        ; implicit-def: $vgpr2
                                        ; implicit-def: $vgpr3
                                        ; implicit-def: $vgpr4
	v_add_co_u32 v0, vcc_lo, s2, v7
	v_add_co_ci_u32_e32 v1, vcc_lo, s3, v8, vcc_lo
	s_clause 0x1
	global_store_b128 v[0:1], v[11:14], off
	global_store_b64 v[0:1], v[5:6], off offset:16
                                        ; implicit-def: $vgpr11
                                        ; implicit-def: $vgpr12
                                        ; implicit-def: $vgpr1
                                        ; implicit-def: $vgpr0
                                        ; implicit-def: $vgpr6
                                        ; implicit-def: $vgpr5
.LBB92_27:
	s_and_not1_saveexec_b32 s0, s0
	s_cbranch_execz .LBB92_29
; %bb.28:
	v_lshl_add_u32 v7, v1, 1, v1
	v_mul_f32_e64 v21, v5, -v10
	v_mul_f32_e64 v22, v4, -v10
	s_delay_alu instid0(VALU_DEP_3) | instskip(NEXT) | instid1(VALU_DEP_1)
	v_ashrrev_i32_e32 v8, 31, v7
	v_lshlrev_b64 v[7:8], 3, v[7:8]
	s_delay_alu instid0(VALU_DEP_1) | instskip(NEXT) | instid1(VALU_DEP_2)
	v_add_co_u32 v17, vcc_lo, s2, v7
	v_add_co_ci_u32_e32 v18, vcc_lo, s3, v8, vcc_lo
	v_mul_f32_e64 v7, v6, -v10
	v_mul_f32_e32 v6, v6, v9
	s_clause 0x1
	global_load_b128 v[13:16], v[17:18], off
	global_load_b64 v[19:20], v[17:18], off offset:16
	v_fmac_f32_e32 v7, v9, v0
	v_dual_mul_f32 v1, v4, v9 :: v_dual_fmac_f32 v6, v10, v0
	v_mul_f32_e32 v8, v5, v9
	v_fmac_f32_e32 v21, v9, v2
	s_delay_alu instid0(VALU_DEP_3) | instskip(SKIP_1) | instid1(VALU_DEP_3)
	v_fmac_f32_e32 v1, v10, v3
	s_waitcnt vmcnt(1)
	v_dual_fmac_f32 v8, v10, v2 :: v_dual_fmac_f32 v7, v11, v13
	v_fmac_f32_e32 v6, v12, v13
	s_waitcnt vmcnt(0)
	v_fmac_f32_e32 v1, v12, v19
	v_fmac_f32_e32 v21, v11, v15
	;; [unrolled: 1-line block ×3, first 2 shown]
	v_fma_f32 v5, -v12, v14, v7
	v_fmac_f32_e32 v6, v11, v14
	v_dual_fmac_f32 v22, v9, v3 :: v_dual_fmac_f32 v1, v11, v20
	v_fma_f32 v7, -v12, v16, v21
	v_fmac_f32_e32 v8, v11, v16
	s_delay_alu instid0(VALU_DEP_3) | instskip(NEXT) | instid1(VALU_DEP_1)
	v_fmac_f32_e32 v22, v11, v19
	v_fma_f32 v0, -v12, v20, v22
	s_clause 0x1
	global_store_b128 v[17:18], v[5:8], off
	global_store_b64 v[17:18], v[0:1], off offset:16
.LBB92_29:
	s_nop 0
	s_sendmsg sendmsg(MSG_DEALLOC_VGPRS)
	s_endpgm
	.section	.rodata,"a",@progbits
	.p2align	6, 0x0
	.amdhsa_kernel _ZN9rocsparseL19gebsrmvn_3xn_kernelILj128ELj5ELj32E21rocsparse_complex_numIfEEEvi20rocsparse_direction_NS_24const_host_device_scalarIT2_EEPKiS8_PKS5_SA_S6_PS5_21rocsparse_index_base_b
		.amdhsa_group_segment_fixed_size 0
		.amdhsa_private_segment_fixed_size 0
		.amdhsa_kernarg_size 72
		.amdhsa_user_sgpr_count 15
		.amdhsa_user_sgpr_dispatch_ptr 0
		.amdhsa_user_sgpr_queue_ptr 0
		.amdhsa_user_sgpr_kernarg_segment_ptr 1
		.amdhsa_user_sgpr_dispatch_id 0
		.amdhsa_user_sgpr_private_segment_size 0
		.amdhsa_wavefront_size32 1
		.amdhsa_uses_dynamic_stack 0
		.amdhsa_enable_private_segment 0
		.amdhsa_system_sgpr_workgroup_id_x 1
		.amdhsa_system_sgpr_workgroup_id_y 0
		.amdhsa_system_sgpr_workgroup_id_z 0
		.amdhsa_system_sgpr_workgroup_info 0
		.amdhsa_system_vgpr_workitem_id 0
		.amdhsa_next_free_vgpr 59
		.amdhsa_next_free_sgpr 16
		.amdhsa_reserve_vcc 1
		.amdhsa_float_round_mode_32 0
		.amdhsa_float_round_mode_16_64 0
		.amdhsa_float_denorm_mode_32 3
		.amdhsa_float_denorm_mode_16_64 3
		.amdhsa_dx10_clamp 1
		.amdhsa_ieee_mode 1
		.amdhsa_fp16_overflow 0
		.amdhsa_workgroup_processor_mode 1
		.amdhsa_memory_ordered 1
		.amdhsa_forward_progress 0
		.amdhsa_shared_vgpr_count 0
		.amdhsa_exception_fp_ieee_invalid_op 0
		.amdhsa_exception_fp_denorm_src 0
		.amdhsa_exception_fp_ieee_div_zero 0
		.amdhsa_exception_fp_ieee_overflow 0
		.amdhsa_exception_fp_ieee_underflow 0
		.amdhsa_exception_fp_ieee_inexact 0
		.amdhsa_exception_int_div_zero 0
	.end_amdhsa_kernel
	.section	.text._ZN9rocsparseL19gebsrmvn_3xn_kernelILj128ELj5ELj32E21rocsparse_complex_numIfEEEvi20rocsparse_direction_NS_24const_host_device_scalarIT2_EEPKiS8_PKS5_SA_S6_PS5_21rocsparse_index_base_b,"axG",@progbits,_ZN9rocsparseL19gebsrmvn_3xn_kernelILj128ELj5ELj32E21rocsparse_complex_numIfEEEvi20rocsparse_direction_NS_24const_host_device_scalarIT2_EEPKiS8_PKS5_SA_S6_PS5_21rocsparse_index_base_b,comdat
.Lfunc_end92:
	.size	_ZN9rocsparseL19gebsrmvn_3xn_kernelILj128ELj5ELj32E21rocsparse_complex_numIfEEEvi20rocsparse_direction_NS_24const_host_device_scalarIT2_EEPKiS8_PKS5_SA_S6_PS5_21rocsparse_index_base_b, .Lfunc_end92-_ZN9rocsparseL19gebsrmvn_3xn_kernelILj128ELj5ELj32E21rocsparse_complex_numIfEEEvi20rocsparse_direction_NS_24const_host_device_scalarIT2_EEPKiS8_PKS5_SA_S6_PS5_21rocsparse_index_base_b
                                        ; -- End function
	.section	.AMDGPU.csdata,"",@progbits
; Kernel info:
; codeLenInByte = 3932
; NumSgprs: 18
; NumVgprs: 59
; ScratchSize: 0
; MemoryBound: 0
; FloatMode: 240
; IeeeMode: 1
; LDSByteSize: 0 bytes/workgroup (compile time only)
; SGPRBlocks: 2
; VGPRBlocks: 7
; NumSGPRsForWavesPerEU: 18
; NumVGPRsForWavesPerEU: 59
; Occupancy: 16
; WaveLimiterHint : 1
; COMPUTE_PGM_RSRC2:SCRATCH_EN: 0
; COMPUTE_PGM_RSRC2:USER_SGPR: 15
; COMPUTE_PGM_RSRC2:TRAP_HANDLER: 0
; COMPUTE_PGM_RSRC2:TGID_X_EN: 1
; COMPUTE_PGM_RSRC2:TGID_Y_EN: 0
; COMPUTE_PGM_RSRC2:TGID_Z_EN: 0
; COMPUTE_PGM_RSRC2:TIDIG_COMP_CNT: 0
	.section	.text._ZN9rocsparseL19gebsrmvn_3xn_kernelILj128ELj5ELj64E21rocsparse_complex_numIfEEEvi20rocsparse_direction_NS_24const_host_device_scalarIT2_EEPKiS8_PKS5_SA_S6_PS5_21rocsparse_index_base_b,"axG",@progbits,_ZN9rocsparseL19gebsrmvn_3xn_kernelILj128ELj5ELj64E21rocsparse_complex_numIfEEEvi20rocsparse_direction_NS_24const_host_device_scalarIT2_EEPKiS8_PKS5_SA_S6_PS5_21rocsparse_index_base_b,comdat
	.globl	_ZN9rocsparseL19gebsrmvn_3xn_kernelILj128ELj5ELj64E21rocsparse_complex_numIfEEEvi20rocsparse_direction_NS_24const_host_device_scalarIT2_EEPKiS8_PKS5_SA_S6_PS5_21rocsparse_index_base_b ; -- Begin function _ZN9rocsparseL19gebsrmvn_3xn_kernelILj128ELj5ELj64E21rocsparse_complex_numIfEEEvi20rocsparse_direction_NS_24const_host_device_scalarIT2_EEPKiS8_PKS5_SA_S6_PS5_21rocsparse_index_base_b
	.p2align	8
	.type	_ZN9rocsparseL19gebsrmvn_3xn_kernelILj128ELj5ELj64E21rocsparse_complex_numIfEEEvi20rocsparse_direction_NS_24const_host_device_scalarIT2_EEPKiS8_PKS5_SA_S6_PS5_21rocsparse_index_base_b,@function
_ZN9rocsparseL19gebsrmvn_3xn_kernelILj128ELj5ELj64E21rocsparse_complex_numIfEEEvi20rocsparse_direction_NS_24const_host_device_scalarIT2_EEPKiS8_PKS5_SA_S6_PS5_21rocsparse_index_base_b: ; @_ZN9rocsparseL19gebsrmvn_3xn_kernelILj128ELj5ELj64E21rocsparse_complex_numIfEEEvi20rocsparse_direction_NS_24const_host_device_scalarIT2_EEPKiS8_PKS5_SA_S6_PS5_21rocsparse_index_base_b
; %bb.0:
	s_clause 0x2
	s_load_b64 s[12:13], s[0:1], 0x40
	s_load_b64 s[4:5], s[0:1], 0x8
	;; [unrolled: 1-line block ×3, first 2 shown]
	s_waitcnt lgkmcnt(0)
	s_bitcmp1_b32 s13, 0
	v_mov_b32_e32 v9, s4
	s_cselect_b32 s6, -1, 0
	s_delay_alu instid0(SALU_CYCLE_1)
	s_and_b32 vcc_lo, exec_lo, s6
	s_xor_b32 s6, s6, -1
	s_cbranch_vccz .LBB93_15
; %bb.1:
	v_cndmask_b32_e64 v1, 0, 1, s6
	v_mov_b32_e32 v10, s5
	s_and_not1_b32 vcc_lo, exec_lo, s6
	s_cbranch_vccz .LBB93_16
.LBB93_2:
	s_delay_alu instid0(VALU_DEP_2)
	v_cmp_ne_u32_e32 vcc_lo, 1, v1
	v_mov_b32_e32 v11, s2
	s_cbranch_vccz .LBB93_17
.LBB93_3:
	v_cmp_ne_u32_e32 vcc_lo, 1, v1
	v_mov_b32_e32 v12, s3
	s_cbranch_vccnz .LBB93_5
.LBB93_4:
	v_dual_mov_b32 v1, s2 :: v_dual_mov_b32 v2, s3
	flat_load_b32 v12, v[1:2] offset:4
.LBB93_5:
	s_waitcnt vmcnt(0) lgkmcnt(0)
	v_cmp_eq_f32_e32 vcc_lo, 0, v9
	v_cmp_eq_f32_e64 s2, 0, v10
	s_delay_alu instid0(VALU_DEP_1)
	s_and_b32 s4, vcc_lo, s2
	s_mov_b32 s2, -1
	s_and_saveexec_b32 s3, s4
; %bb.6:
	v_cmp_neq_f32_e32 vcc_lo, 1.0, v11
	v_cmp_neq_f32_e64 s2, 0, v12
	s_delay_alu instid0(VALU_DEP_1) | instskip(NEXT) | instid1(SALU_CYCLE_1)
	s_or_b32 s2, vcc_lo, s2
	s_or_not1_b32 s2, s2, exec_lo
; %bb.7:
	s_or_b32 exec_lo, exec_lo, s3
	s_and_saveexec_b32 s3, s2
	s_cbranch_execz .LBB93_29
; %bb.8:
	s_load_b64 s[2:3], s[0:1], 0x0
	v_lshrrev_b32_e32 v1, 6, v0
	s_delay_alu instid0(VALU_DEP_1) | instskip(SKIP_1) | instid1(VALU_DEP_1)
	v_lshl_or_b32 v1, s15, 1, v1
	s_waitcnt lgkmcnt(0)
	v_cmp_gt_i32_e32 vcc_lo, s2, v1
	s_and_b32 exec_lo, exec_lo, vcc_lo
	s_cbranch_execz .LBB93_29
; %bb.9:
	s_load_b256 s[4:11], s[0:1], 0x10
	v_ashrrev_i32_e32 v2, 31, v1
	v_and_b32_e32 v0, 63, v0
	s_cmp_lg_u32 s3, 0
	s_delay_alu instid0(VALU_DEP_2) | instskip(SKIP_1) | instid1(VALU_DEP_1)
	v_lshlrev_b64 v[2:3], 2, v[1:2]
	s_waitcnt lgkmcnt(0)
	v_add_co_u32 v2, vcc_lo, s4, v2
	s_delay_alu instid0(VALU_DEP_2) | instskip(SKIP_4) | instid1(VALU_DEP_2)
	v_add_co_ci_u32_e32 v3, vcc_lo, s5, v3, vcc_lo
	global_load_b64 v[2:3], v[2:3], off
	s_waitcnt vmcnt(0)
	v_subrev_nc_u32_e32 v2, s12, v2
	v_subrev_nc_u32_e32 v16, s12, v3
	v_add_nc_u32_e32 v2, v2, v0
	s_delay_alu instid0(VALU_DEP_1)
	v_cmp_lt_i32_e64 s2, v2, v16
	s_cbranch_scc0 .LBB93_18
; %bb.10:
	v_dual_mov_b32 v13, 0 :: v_dual_mov_b32 v18, 0
	v_dual_mov_b32 v17, 0 :: v_dual_mov_b32 v14, 0
	v_mov_b32_e32 v19, 0
	v_mov_b32_e32 v15, 0
	s_mov_b32 s3, 0
	s_and_saveexec_b32 s4, s2
	s_cbranch_execz .LBB93_14
; %bb.11:
	v_mad_u64_u32 v[3:4], null, v2, 15, 14
	v_dual_mov_b32 v6, 0 :: v_dual_mov_b32 v7, v2
	v_dual_mov_b32 v13, 0 :: v_dual_mov_b32 v18, 0
	;; [unrolled: 1-line block ×3, first 2 shown]
	v_mov_b32_e32 v19, 0
	v_mov_b32_e32 v15, 0
	s_mov_b32 s5, 0
.LBB93_12:                              ; =>This Inner Loop Header: Depth=1
	v_ashrrev_i32_e32 v8, 31, v7
	s_delay_alu instid0(VALU_DEP_1) | instskip(SKIP_1) | instid1(VALU_DEP_2)
	v_lshlrev_b64 v[4:5], 2, v[7:8]
	v_add_nc_u32_e32 v7, 64, v7
	v_add_co_u32 v4, vcc_lo, s6, v4
	s_delay_alu instid0(VALU_DEP_3) | instskip(SKIP_2) | instid1(VALU_DEP_1)
	v_add_co_ci_u32_e32 v5, vcc_lo, s7, v5, vcc_lo
	global_load_b32 v8, v[4:5], off
	v_dual_mov_b32 v4, v6 :: v_dual_add_nc_u32 v5, -14, v3
	v_lshlrev_b64 v[22:23], 3, v[5:6]
	v_add_nc_u32_e32 v5, -13, v3
	s_delay_alu instid0(VALU_DEP_3) | instskip(NEXT) | instid1(VALU_DEP_2)
	v_lshlrev_b64 v[24:25], 3, v[3:4]
	v_lshlrev_b64 v[26:27], 3, v[5:6]
	v_add_nc_u32_e32 v5, -12, v3
	v_add_co_u32 v22, vcc_lo, s8, v22
	v_add_co_ci_u32_e32 v23, vcc_lo, s9, v23, vcc_lo
	s_delay_alu instid0(VALU_DEP_3) | instskip(SKIP_4) | instid1(VALU_DEP_4)
	v_lshlrev_b64 v[28:29], 3, v[5:6]
	v_add_nc_u32_e32 v5, -11, v3
	v_add_co_u32 v24, vcc_lo, s8, v24
	v_add_co_ci_u32_e32 v25, vcc_lo, s9, v25, vcc_lo
	v_add_co_u32 v26, vcc_lo, s8, v26
	v_lshlrev_b64 v[4:5], 3, v[5:6]
	v_add_co_ci_u32_e32 v27, vcc_lo, s9, v27, vcc_lo
	v_add_co_u32 v28, vcc_lo, s8, v28
	v_add_co_ci_u32_e32 v29, vcc_lo, s9, v29, vcc_lo
	s_delay_alu instid0(VALU_DEP_4)
	v_add_co_u32 v4, vcc_lo, s8, v4
	v_add_co_ci_u32_e32 v5, vcc_lo, s9, v5, vcc_lo
	s_clause 0x3
	global_load_b64 v[22:23], v[22:23], off
	global_load_b64 v[26:27], v[26:27], off
	;; [unrolled: 1-line block ×4, first 2 shown]
	v_mov_b32_e32 v21, v6
	s_waitcnt vmcnt(4)
	v_subrev_nc_u32_e32 v4, s12, v8
	s_delay_alu instid0(VALU_DEP_1) | instskip(NEXT) | instid1(VALU_DEP_1)
	v_lshl_add_u32 v20, v4, 2, v4
	v_lshlrev_b64 v[32:33], 3, v[20:21]
	v_add_nc_u32_e32 v5, 1, v20
	s_delay_alu instid0(VALU_DEP_1) | instskip(NEXT) | instid1(VALU_DEP_3)
	v_lshlrev_b64 v[34:35], 3, v[5:6]
	v_add_co_u32 v32, vcc_lo, s10, v32
	s_delay_alu instid0(VALU_DEP_4) | instskip(NEXT) | instid1(VALU_DEP_3)
	v_add_co_ci_u32_e32 v33, vcc_lo, s11, v33, vcc_lo
	v_add_co_u32 v34, vcc_lo, s10, v34
	global_load_b64 v[32:33], v[32:33], off
	v_add_co_ci_u32_e32 v35, vcc_lo, s11, v35, vcc_lo
	global_load_b64 v[34:35], v[34:35], off
	s_waitcnt vmcnt(1)
	v_fmac_f32_e32 v17, v22, v32
	v_fmac_f32_e32 v14, v29, v32
	;; [unrolled: 1-line block ×5, first 2 shown]
	v_fma_f32 v8, -v23, v33, v17
	v_dual_fmac_f32 v14, v28, v33 :: v_dual_add_nc_u32 v5, -10, v3
	v_dual_fmac_f32 v18, v28, v32 :: v_dual_fmac_f32 v13, v22, v33
	s_waitcnt vmcnt(0)
	s_delay_alu instid0(VALU_DEP_3)
	v_fmac_f32_e32 v8, v30, v34
	v_fma_f32 v17, -v27, v33, v19
	v_lshlrev_b64 v[36:37], 3, v[5:6]
	v_fmac_f32_e32 v15, v26, v33
	v_fma_f32 v18, -v29, v33, v18
	v_fma_f32 v8, -v31, v35, v8
	v_add_nc_u32_e32 v5, -9, v3
	v_fmac_f32_e32 v13, v31, v34
	v_add_co_u32 v36, vcc_lo, s8, v36
	v_add_co_ci_u32_e32 v37, vcc_lo, s9, v37, vcc_lo
	s_delay_alu instid0(VALU_DEP_4)
	v_lshlrev_b64 v[38:39], 3, v[5:6]
	v_add_nc_u32_e32 v5, -8, v3
	v_fmac_f32_e32 v13, v30, v35
	global_load_b64 v[36:37], v[36:37], off
	v_add_co_u32 v38, vcc_lo, s8, v38
	v_add_co_ci_u32_e32 v39, vcc_lo, s9, v39, vcc_lo
	v_lshlrev_b64 v[40:41], 3, v[5:6]
	global_load_b64 v[38:39], v[38:39], off
	v_add_co_u32 v40, vcc_lo, s8, v40
	v_add_co_ci_u32_e32 v41, vcc_lo, s9, v41, vcc_lo
	global_load_b64 v[40:41], v[40:41], off
	s_waitcnt vmcnt(2)
	v_fmac_f32_e32 v17, v36, v34
	v_fmac_f32_e32 v15, v37, v34
	s_delay_alu instid0(VALU_DEP_2) | instskip(SKIP_1) | instid1(VALU_DEP_2)
	v_fma_f32 v17, -v37, v35, v17
	s_waitcnt vmcnt(1)
	v_dual_fmac_f32 v15, v36, v35 :: v_dual_fmac_f32 v14, v39, v34
	v_dual_fmac_f32 v18, v38, v34 :: v_dual_add_nc_u32 v5, 2, v20
	s_delay_alu instid0(VALU_DEP_2) | instskip(NEXT) | instid1(VALU_DEP_2)
	v_fmac_f32_e32 v14, v38, v35
	v_lshlrev_b64 v[42:43], 3, v[5:6]
	s_delay_alu instid0(VALU_DEP_3) | instskip(NEXT) | instid1(VALU_DEP_2)
	v_fma_f32 v18, -v39, v35, v18
	v_add_co_u32 v42, vcc_lo, s10, v42
	s_delay_alu instid0(VALU_DEP_3) | instskip(SKIP_2) | instid1(VALU_DEP_1)
	v_add_co_ci_u32_e32 v43, vcc_lo, s11, v43, vcc_lo
	global_load_b64 v[42:43], v[42:43], off
	v_add_nc_u32_e32 v5, -7, v3
	v_lshlrev_b64 v[44:45], 3, v[5:6]
	s_delay_alu instid0(VALU_DEP_1) | instskip(NEXT) | instid1(VALU_DEP_2)
	v_add_co_u32 v44, vcc_lo, s8, v44
	v_add_co_ci_u32_e32 v45, vcc_lo, s9, v45, vcc_lo
	global_load_b64 v[44:45], v[44:45], off
	s_waitcnt vmcnt(1)
	v_fmac_f32_e32 v8, v40, v42
	v_fmac_f32_e32 v13, v41, v42
	s_delay_alu instid0(VALU_DEP_2) | instskip(SKIP_1) | instid1(VALU_DEP_3)
	v_fma_f32 v8, -v41, v43, v8
	v_add_nc_u32_e32 v5, -6, v3
	v_fmac_f32_e32 v13, v40, v43
	s_delay_alu instid0(VALU_DEP_2) | instskip(SKIP_1) | instid1(VALU_DEP_2)
	v_lshlrev_b64 v[46:47], 3, v[5:6]
	v_add_nc_u32_e32 v5, -5, v3
	v_add_co_u32 v46, vcc_lo, s8, v46
	s_delay_alu instid0(VALU_DEP_3) | instskip(NEXT) | instid1(VALU_DEP_3)
	v_add_co_ci_u32_e32 v47, vcc_lo, s9, v47, vcc_lo
	v_lshlrev_b64 v[48:49], 3, v[5:6]
	global_load_b64 v[46:47], v[46:47], off
	v_add_co_u32 v48, vcc_lo, s8, v48
	v_add_co_ci_u32_e32 v49, vcc_lo, s9, v49, vcc_lo
	global_load_b64 v[48:49], v[48:49], off
	s_waitcnt vmcnt(2)
	v_fmac_f32_e32 v17, v44, v42
	v_fmac_f32_e32 v15, v45, v42
	s_delay_alu instid0(VALU_DEP_2) | instskip(SKIP_1) | instid1(VALU_DEP_2)
	v_fma_f32 v17, -v45, v43, v17
	s_waitcnt vmcnt(1)
	v_dual_fmac_f32 v15, v44, v43 :: v_dual_fmac_f32 v14, v47, v42
	v_dual_fmac_f32 v18, v46, v42 :: v_dual_add_nc_u32 v5, 3, v20
	s_delay_alu instid0(VALU_DEP_2) | instskip(NEXT) | instid1(VALU_DEP_2)
	v_fmac_f32_e32 v14, v46, v43
	v_lshlrev_b64 v[50:51], 3, v[5:6]
	s_delay_alu instid0(VALU_DEP_3) | instskip(NEXT) | instid1(VALU_DEP_2)
	v_fma_f32 v18, -v47, v43, v18
	v_add_co_u32 v50, vcc_lo, s10, v50
	s_delay_alu instid0(VALU_DEP_3) | instskip(SKIP_2) | instid1(VALU_DEP_1)
	v_add_co_ci_u32_e32 v51, vcc_lo, s11, v51, vcc_lo
	global_load_b64 v[50:51], v[50:51], off
	v_add_nc_u32_e32 v5, -4, v3
	v_lshlrev_b64 v[52:53], 3, v[5:6]
	s_delay_alu instid0(VALU_DEP_1) | instskip(NEXT) | instid1(VALU_DEP_2)
	v_add_co_u32 v52, vcc_lo, s8, v52
	v_add_co_ci_u32_e32 v53, vcc_lo, s9, v53, vcc_lo
	s_waitcnt vmcnt(0)
	v_fmac_f32_e32 v8, v48, v50
	v_fmac_f32_e32 v13, v49, v50
	s_delay_alu instid0(VALU_DEP_2) | instskip(SKIP_1) | instid1(VALU_DEP_3)
	v_fma_f32 v8, -v49, v51, v8
	v_add_nc_u32_e32 v5, -3, v3
	v_fmac_f32_e32 v13, v48, v51
	s_delay_alu instid0(VALU_DEP_2) | instskip(SKIP_1) | instid1(VALU_DEP_1)
	v_lshlrev_b64 v[54:55], 3, v[5:6]
	v_add_nc_u32_e32 v5, -2, v3
	v_lshlrev_b64 v[56:57], 3, v[5:6]
	v_add_nc_u32_e32 v5, 4, v20
	global_load_b64 v[20:21], v[52:53], off
	v_add_co_u32 v52, vcc_lo, s8, v54
	v_add_co_ci_u32_e32 v53, vcc_lo, s9, v55, vcc_lo
	v_add_co_u32 v56, vcc_lo, s8, v56
	v_add_co_ci_u32_e32 v57, vcc_lo, s9, v57, vcc_lo
	s_clause 0x1
	global_load_b64 v[52:53], v[52:53], off
	global_load_b64 v[56:57], v[56:57], off
	s_waitcnt vmcnt(2)
	v_fmac_f32_e32 v17, v20, v50
	v_fmac_f32_e32 v15, v21, v50
	s_delay_alu instid0(VALU_DEP_2) | instskip(SKIP_1) | instid1(VALU_DEP_2)
	v_fma_f32 v19, -v21, v51, v17
	s_waitcnt vmcnt(1)
	v_dual_fmac_f32 v15, v20, v51 :: v_dual_fmac_f32 v14, v53, v50
	v_fmac_f32_e32 v18, v52, v50
	s_delay_alu instid0(VALU_DEP_2) | instskip(SKIP_2) | instid1(VALU_DEP_4)
	v_fmac_f32_e32 v14, v52, v51
	v_lshlrev_b64 v[54:55], 3, v[5:6]
	v_add_nc_u32_e32 v5, -1, v3
	v_fma_f32 v18, -v53, v51, v18
	v_add_nc_u32_e32 v3, 0x3c0, v3
	s_delay_alu instid0(VALU_DEP_3) | instskip(SKIP_2) | instid1(VALU_DEP_3)
	v_lshlrev_b64 v[4:5], 3, v[5:6]
	v_add_co_u32 v54, vcc_lo, s10, v54
	v_add_co_ci_u32_e32 v55, vcc_lo, s11, v55, vcc_lo
	v_add_co_u32 v4, vcc_lo, s8, v4
	s_delay_alu instid0(VALU_DEP_4)
	v_add_co_ci_u32_e32 v5, vcc_lo, s9, v5, vcc_lo
	global_load_b64 v[54:55], v[54:55], off
	s_clause 0x1
	global_load_b64 v[4:5], v[4:5], off
	global_load_b64 v[24:25], v[24:25], off
	v_cmp_ge_i32_e32 vcc_lo, v7, v16
	s_or_b32 s5, vcc_lo, s5
	s_waitcnt vmcnt(2)
	v_fmac_f32_e32 v8, v56, v54
	v_fmac_f32_e32 v13, v57, v54
	s_waitcnt vmcnt(0)
	v_fmac_f32_e32 v14, v25, v54
	v_fmac_f32_e32 v19, v4, v54
	;; [unrolled: 1-line block ×4, first 2 shown]
	v_fma_f32 v17, -v57, v55, v8
	v_fmac_f32_e32 v13, v56, v55
	v_fma_f32 v19, -v5, v55, v19
	v_fmac_f32_e32 v15, v4, v55
	;; [unrolled: 2-line block ×3, first 2 shown]
	s_and_not1_b32 exec_lo, exec_lo, s5
	s_cbranch_execnz .LBB93_12
; %bb.13:
	s_or_b32 exec_lo, exec_lo, s5
.LBB93_14:
	s_delay_alu instid0(SALU_CYCLE_1) | instskip(NEXT) | instid1(SALU_CYCLE_1)
	s_or_b32 exec_lo, exec_lo, s4
	s_and_not1_b32 vcc_lo, exec_lo, s3
	s_cbranch_vccz .LBB93_19
	s_branch .LBB93_24
.LBB93_15:
	v_dual_mov_b32 v1, s4 :: v_dual_mov_b32 v2, s5
	flat_load_b32 v9, v[1:2]
	v_cndmask_b32_e64 v1, 0, 1, s6
	v_mov_b32_e32 v10, s5
	s_and_not1_b32 vcc_lo, exec_lo, s6
	s_cbranch_vccnz .LBB93_2
.LBB93_16:
	v_dual_mov_b32 v2, s4 :: v_dual_mov_b32 v3, s5
	flat_load_b32 v10, v[2:3] offset:4
	v_cmp_ne_u32_e32 vcc_lo, 1, v1
	v_mov_b32_e32 v11, s2
	s_cbranch_vccnz .LBB93_3
.LBB93_17:
	v_dual_mov_b32 v2, s2 :: v_dual_mov_b32 v3, s3
	flat_load_b32 v11, v[2:3]
	v_cmp_ne_u32_e32 vcc_lo, 1, v1
	v_mov_b32_e32 v12, s3
	s_cbranch_vccz .LBB93_4
	s_branch .LBB93_5
.LBB93_18:
                                        ; implicit-def: $vgpr13
                                        ; implicit-def: $vgpr17
                                        ; implicit-def: $vgpr18
                                        ; implicit-def: $vgpr14
                                        ; implicit-def: $vgpr19
                                        ; implicit-def: $vgpr15
.LBB93_19:
	v_dual_mov_b32 v13, 0 :: v_dual_mov_b32 v18, 0
	v_dual_mov_b32 v17, 0 :: v_dual_mov_b32 v14, 0
	v_mov_b32_e32 v19, 0
	v_mov_b32_e32 v15, 0
	s_and_saveexec_b32 s3, s2
	s_cbranch_execz .LBB93_23
; %bb.20:
	v_mad_u64_u32 v[4:5], null, v2, 15, 14
	v_dual_mov_b32 v7, 0 :: v_dual_mov_b32 v18, 0
	v_dual_mov_b32 v13, 0 :: v_dual_mov_b32 v14, 0
	v_mov_b32_e32 v17, 0
	v_mov_b32_e32 v19, 0
	;; [unrolled: 1-line block ×3, first 2 shown]
	s_mov_b32 s2, 0
.LBB93_21:                              ; =>This Inner Loop Header: Depth=1
	v_ashrrev_i32_e32 v3, 31, v2
	v_dual_mov_b32 v23, v7 :: v_dual_add_nc_u32 v20, -9, v4
	v_dual_mov_b32 v21, v7 :: v_dual_add_nc_u32 v22, -4, v4
	s_delay_alu instid0(VALU_DEP_3) | instskip(NEXT) | instid1(VALU_DEP_2)
	v_lshlrev_b64 v[5:6], 2, v[2:3]
	v_lshlrev_b64 v[20:21], 3, v[20:21]
	s_delay_alu instid0(VALU_DEP_2) | instskip(NEXT) | instid1(VALU_DEP_3)
	v_add_co_u32 v5, vcc_lo, s6, v5
	v_add_co_ci_u32_e32 v6, vcc_lo, s7, v6, vcc_lo
	global_load_b32 v3, v[5:6], off
	v_dual_mov_b32 v5, v7 :: v_dual_add_nc_u32 v6, -14, v4
	v_lshlrev_b64 v[22:23], 3, v[22:23]
	s_delay_alu instid0(VALU_DEP_2) | instskip(NEXT) | instid1(VALU_DEP_3)
	v_lshlrev_b64 v[27:28], 3, v[4:5]
	v_lshlrev_b64 v[25:26], 3, v[6:7]
	v_add_nc_u32_e32 v6, -13, v4
	s_delay_alu instid0(VALU_DEP_1) | instskip(NEXT) | instid1(VALU_DEP_3)
	v_lshlrev_b64 v[5:6], 3, v[6:7]
	v_add_co_u32 v25, vcc_lo, s8, v25
	s_delay_alu instid0(VALU_DEP_4)
	v_add_co_ci_u32_e32 v26, vcc_lo, s9, v26, vcc_lo
	v_add_co_u32 v20, vcc_lo, s8, v20
	v_add_co_ci_u32_e32 v21, vcc_lo, s9, v21, vcc_lo
	v_add_co_u32 v22, vcc_lo, s8, v22
	;; [unrolled: 2-line block ×4, first 2 shown]
	v_add_co_ci_u32_e32 v6, vcc_lo, s9, v6, vcc_lo
	s_clause 0x3
	global_load_b64 v[25:26], v[25:26], off
	global_load_b64 v[20:21], v[20:21], off
	;; [unrolled: 1-line block ×4, first 2 shown]
	v_mov_b32_e32 v24, v7
	s_waitcnt vmcnt(4)
	v_subrev_nc_u32_e32 v3, s12, v3
	s_delay_alu instid0(VALU_DEP_1) | instskip(NEXT) | instid1(VALU_DEP_1)
	v_lshl_add_u32 v23, v3, 2, v3
	v_lshlrev_b64 v[33:34], 3, v[23:24]
	s_delay_alu instid0(VALU_DEP_1) | instskip(NEXT) | instid1(VALU_DEP_2)
	v_add_co_u32 v33, vcc_lo, s10, v33
	v_add_co_ci_u32_e32 v34, vcc_lo, s11, v34, vcc_lo
	global_load_b64 v[33:34], v[33:34], off
	v_add_nc_u32_e32 v6, 1, v23
	s_delay_alu instid0(VALU_DEP_1) | instskip(NEXT) | instid1(VALU_DEP_1)
	v_lshlrev_b64 v[35:36], 3, v[6:7]
	v_add_co_u32 v35, vcc_lo, s10, v35
	s_delay_alu instid0(VALU_DEP_2) | instskip(SKIP_3) | instid1(VALU_DEP_1)
	v_add_co_ci_u32_e32 v36, vcc_lo, s11, v36, vcc_lo
	global_load_b64 v[35:36], v[35:36], off
	s_waitcnt vmcnt(1)
	v_dual_fmac_f32 v15, v21, v33 :: v_dual_add_nc_u32 v6, -8, v4
	v_lshlrev_b64 v[37:38], 3, v[6:7]
	v_dual_fmac_f32 v13, v26, v33 :: v_dual_add_nc_u32 v6, -3, v4
	v_fmac_f32_e32 v17, v25, v33
	s_delay_alu instid0(VALU_DEP_4) | instskip(NEXT) | instid1(VALU_DEP_4)
	v_dual_fmac_f32 v15, v20, v34 :: v_dual_fmac_f32 v18, v29, v33
	v_add_co_u32 v37, vcc_lo, s8, v37
	v_add_co_ci_u32_e32 v38, vcc_lo, s9, v38, vcc_lo
	v_fmac_f32_e32 v13, v25, v34
	v_lshlrev_b64 v[39:40], 3, v[6:7]
	v_add_nc_u32_e32 v6, -12, v4
	global_load_b64 v[37:38], v[37:38], off
	v_add_nc_u32_e32 v2, 64, v2
	v_fma_f32 v3, -v26, v34, v17
	v_fma_f32 v17, -v30, v34, v18
	v_lshlrev_b64 v[41:42], 3, v[6:7]
	s_waitcnt vmcnt(1)
	v_fmac_f32_e32 v13, v32, v35
	v_add_nc_u32_e32 v6, 2, v23
	v_add_co_u32 v39, vcc_lo, s8, v39
	v_add_co_ci_u32_e32 v40, vcc_lo, s9, v40, vcc_lo
	s_delay_alu instid0(VALU_DEP_4) | instskip(NEXT) | instid1(VALU_DEP_4)
	v_fmac_f32_e32 v13, v31, v36
	v_lshlrev_b64 v[43:44], 3, v[6:7]
	v_add_co_u32 v41, vcc_lo, s8, v41
	global_load_b64 v[39:40], v[39:40], off
	v_dual_fmac_f32 v3, v31, v35 :: v_dual_add_nc_u32 v6, -7, v4
	v_add_co_ci_u32_e32 v42, vcc_lo, s9, v42, vcc_lo
	v_add_co_u32 v43, vcc_lo, s10, v43
	v_add_co_ci_u32_e32 v44, vcc_lo, s11, v44, vcc_lo
	s_delay_alu instid0(VALU_DEP_4)
	v_lshlrev_b64 v[45:46], 3, v[6:7]
	global_load_b64 v[41:42], v[41:42], off
	v_add_nc_u32_e32 v6, -2, v4
	global_load_b64 v[43:44], v[43:44], off
	v_fma_f32 v3, -v32, v36, v3
	v_fmac_f32_e32 v19, v20, v33
	v_add_co_u32 v45, vcc_lo, s8, v45
	v_add_co_ci_u32_e32 v46, vcc_lo, s9, v46, vcc_lo
	s_delay_alu instid0(VALU_DEP_3)
	v_fma_f32 v8, -v21, v34, v19
	global_load_b64 v[45:46], v[45:46], off
	s_waitcnt vmcnt(4)
	v_fmac_f32_e32 v15, v38, v35
	v_lshlrev_b64 v[47:48], 3, v[6:7]
	v_add_nc_u32_e32 v6, -11, v4
	s_delay_alu instid0(VALU_DEP_3) | instskip(NEXT) | instid1(VALU_DEP_3)
	v_fmac_f32_e32 v15, v37, v36
	v_add_co_u32 v47, vcc_lo, s8, v47
	s_delay_alu instid0(VALU_DEP_4)
	v_add_co_ci_u32_e32 v48, vcc_lo, s9, v48, vcc_lo
	global_load_b64 v[47:48], v[47:48], off
	s_waitcnt vmcnt(4)
	v_fmac_f32_e32 v17, v39, v35
	v_lshlrev_b64 v[49:50], 3, v[6:7]
	v_add_nc_u32_e32 v6, 3, v23
	s_delay_alu instid0(VALU_DEP_3) | instskip(NEXT) | instid1(VALU_DEP_2)
	v_fma_f32 v17, -v40, v36, v17
	v_lshlrev_b64 v[51:52], 3, v[6:7]
	v_add_nc_u32_e32 v6, -6, v4
	v_add_co_u32 v49, vcc_lo, s8, v49
	v_add_co_ci_u32_e32 v50, vcc_lo, s9, v50, vcc_lo
	s_waitcnt vmcnt(2)
	v_fmac_f32_e32 v3, v41, v43
	v_lshlrev_b64 v[53:54], 3, v[6:7]
	v_dual_fmac_f32 v13, v42, v43 :: v_dual_add_nc_u32 v6, -1, v4
	v_add_co_u32 v51, vcc_lo, s10, v51
	global_load_b64 v[49:50], v[49:50], off
	v_add_co_ci_u32_e32 v52, vcc_lo, s11, v52, vcc_lo
	v_lshlrev_b64 v[55:56], 3, v[6:7]
	s_waitcnt vmcnt(2)
	v_dual_fmac_f32 v15, v46, v43 :: v_dual_add_nc_u32 v6, -10, v4
	v_add_co_u32 v53, vcc_lo, s8, v53
	v_add_co_ci_u32_e32 v54, vcc_lo, s9, v54, vcc_lo
	s_delay_alu instid0(VALU_DEP_3)
	v_lshlrev_b64 v[57:58], 3, v[6:7]
	v_dual_fmac_f32 v13, v41, v44 :: v_dual_add_nc_u32 v6, 4, v23
	global_load_b64 v[22:23], v[53:54], off
	v_add_co_u32 v53, vcc_lo, s8, v55
	v_add_co_ci_u32_e32 v54, vcc_lo, s9, v56, vcc_lo
	v_lshlrev_b64 v[55:56], 3, v[6:7]
	v_add_nc_u32_e32 v6, -5, v4
	global_load_b64 v[51:52], v[51:52], off
	v_add_co_u32 v57, vcc_lo, s8, v57
	v_add_co_ci_u32_e32 v58, vcc_lo, s9, v58, vcc_lo
	v_add_co_u32 v55, vcc_lo, s10, v55
	v_add_co_ci_u32_e32 v56, vcc_lo, s11, v56, vcc_lo
	s_clause 0x1
	global_load_b64 v[53:54], v[53:54], off
	global_load_b64 v[57:58], v[57:58], off
	v_dual_fmac_f32 v14, v30, v33 :: v_dual_fmac_f32 v15, v45, v44
	v_fma_f32 v3, -v42, v44, v3
	v_add_nc_u32_e32 v4, 0x3c0, v4
	s_waitcnt vmcnt(5)
	s_delay_alu instid0(VALU_DEP_3) | instskip(SKIP_1) | instid1(VALU_DEP_2)
	v_dual_fmac_f32 v14, v29, v34 :: v_dual_fmac_f32 v17, v47, v43
	v_lshlrev_b64 v[5:6], 3, v[6:7]
	v_fma_f32 v17, -v48, v44, v17
	s_delay_alu instid0(VALU_DEP_2) | instskip(NEXT) | instid1(VALU_DEP_3)
	v_add_co_u32 v5, vcc_lo, s8, v5
	v_add_co_ci_u32_e32 v6, vcc_lo, s9, v6, vcc_lo
	global_load_b64 v[55:56], v[55:56], off
	s_clause 0x1
	global_load_b64 v[5:6], v[5:6], off
	global_load_b64 v[27:28], v[27:28], off
	v_cmp_ge_i32_e32 vcc_lo, v2, v16
	s_or_b32 s2, vcc_lo, s2
	s_waitcnt vmcnt(5)
	v_fmac_f32_e32 v15, v23, v51
	v_fmac_f32_e32 v13, v50, v51
	;; [unrolled: 1-line block ×8, first 2 shown]
	v_fma_f32 v8, -v38, v36, v8
	s_waitcnt vmcnt(4)
	v_fmac_f32_e32 v17, v53, v51
	v_fma_f32 v3, -v50, v52, v3
	s_delay_alu instid0(VALU_DEP_3) | instskip(NEXT) | instid1(VALU_DEP_3)
	v_fmac_f32_e32 v8, v45, v43
	v_fma_f32 v18, -v54, v52, v17
	s_delay_alu instid0(VALU_DEP_2)
	v_fma_f32 v8, -v46, v44, v8
	s_waitcnt vmcnt(2)
	v_fmac_f32_e32 v13, v58, v55
	v_fmac_f32_e32 v14, v48, v43
	;; [unrolled: 1-line block ×3, first 2 shown]
	s_waitcnt vmcnt(0)
	v_fmac_f32_e32 v18, v27, v55
	v_fmac_f32_e32 v15, v6, v55
	v_fmac_f32_e32 v13, v57, v56
	v_fmac_f32_e32 v14, v47, v44
	v_fmac_f32_e32 v8, v22, v51
	v_fma_f32 v17, -v58, v56, v3
	v_fmac_f32_e32 v15, v5, v56
	v_fma_f32 v18, -v28, v56, v18
	v_fmac_f32_e32 v14, v54, v51
	v_fma_f32 v8, -v23, v52, v8
	s_delay_alu instid0(VALU_DEP_2) | instskip(NEXT) | instid1(VALU_DEP_2)
	v_fmac_f32_e32 v14, v53, v52
	v_fmac_f32_e32 v8, v5, v55
	s_delay_alu instid0(VALU_DEP_2) | instskip(NEXT) | instid1(VALU_DEP_2)
	v_fmac_f32_e32 v14, v28, v55
	v_fma_f32 v19, -v6, v56, v8
	s_delay_alu instid0(VALU_DEP_2)
	v_fmac_f32_e32 v14, v27, v56
	s_and_not1_b32 exec_lo, exec_lo, s2
	s_cbranch_execnz .LBB93_21
; %bb.22:
	s_or_b32 exec_lo, exec_lo, s2
.LBB93_23:
	s_delay_alu instid0(SALU_CYCLE_1)
	s_or_b32 exec_lo, exec_lo, s3
.LBB93_24:
	v_mbcnt_lo_u32_b32 v2, -1, 0
	s_delay_alu instid0(VALU_DEP_1) | instskip(SKIP_1) | instid1(VALU_DEP_2)
	v_or_b32_e32 v3, 32, v2
	v_xor_b32_e32 v16, 16, v2
	v_cmp_gt_i32_e32 vcc_lo, 32, v3
	v_cndmask_b32_e32 v3, v2, v3, vcc_lo
	s_delay_alu instid0(VALU_DEP_3) | instskip(SKIP_1) | instid1(VALU_DEP_1)
	v_cmp_gt_i32_e32 vcc_lo, 32, v16
	v_cndmask_b32_e32 v16, v2, v16, vcc_lo
	v_lshlrev_b32_e32 v16, 2, v16
	s_delay_alu instid0(VALU_DEP_4)
	v_lshlrev_b32_e32 v3, 2, v3
	ds_bpermute_b32 v4, v3, v17
	s_waitcnt lgkmcnt(0)
	v_add_f32_e32 v4, v17, v4
	ds_bpermute_b32 v5, v3, v13
	ds_bpermute_b32 v6, v3, v19
	;; [unrolled: 1-line block ×5, first 2 shown]
	s_waitcnt lgkmcnt(3)
	v_dual_add_f32 v5, v13, v5 :: v_dual_add_f32 v6, v19, v6
	s_waitcnt lgkmcnt(1)
	v_dual_add_f32 v7, v15, v7 :: v_dual_add_f32 v8, v18, v8
	s_waitcnt lgkmcnt(0)
	v_add_f32_e32 v3, v14, v3
	ds_bpermute_b32 v13, v16, v4
	ds_bpermute_b32 v14, v16, v5
	;; [unrolled: 1-line block ×4, first 2 shown]
	v_xor_b32_e32 v19, 8, v2
	ds_bpermute_b32 v17, v16, v7
	ds_bpermute_b32 v16, v16, v3
	v_cmp_gt_i32_e32 vcc_lo, 32, v19
	s_waitcnt lgkmcnt(5)
	v_dual_cndmask_b32 v19, v2, v19 :: v_dual_add_f32 v4, v4, v13
	s_delay_alu instid0(VALU_DEP_1)
	v_lshlrev_b32_e32 v19, 2, v19
	s_waitcnt lgkmcnt(3)
	v_dual_add_f32 v5, v5, v14 :: v_dual_add_f32 v6, v6, v15
	s_waitcnt lgkmcnt(2)
	v_add_f32_e32 v8, v8, v18
	ds_bpermute_b32 v13, v19, v4
	s_waitcnt lgkmcnt(1)
	v_add_f32_e32 v3, v3, v16
	ds_bpermute_b32 v15, v19, v6
	v_add_f32_e32 v7, v7, v17
	ds_bpermute_b32 v17, v19, v8
	ds_bpermute_b32 v14, v19, v5
	s_waitcnt lgkmcnt(3)
	v_add_f32_e32 v4, v4, v13
	ds_bpermute_b32 v18, v19, v3
	s_waitcnt lgkmcnt(3)
	v_add_f32_e32 v6, v6, v15
	ds_bpermute_b32 v16, v19, v7
	v_xor_b32_e32 v19, 4, v2
	s_waitcnt lgkmcnt(3)
	v_add_f32_e32 v8, v8, v17
	s_delay_alu instid0(VALU_DEP_2) | instskip(SKIP_1) | instid1(VALU_DEP_1)
	v_cmp_gt_i32_e32 vcc_lo, 32, v19
	v_cndmask_b32_e32 v19, v2, v19, vcc_lo
	v_lshlrev_b32_e32 v19, 2, v19
	s_waitcnt lgkmcnt(1)
	v_add_f32_e32 v3, v3, v18
	ds_bpermute_b32 v13, v19, v4
	s_waitcnt lgkmcnt(0)
	v_add_f32_e32 v4, v4, v13
	ds_bpermute_b32 v15, v19, v6
	v_add_f32_e32 v5, v5, v14
	ds_bpermute_b32 v17, v19, v8
	;; [unrolled: 2-line block ×3, first 2 shown]
	s_waitcnt lgkmcnt(2)
	v_add_f32_e32 v6, v6, v15
	ds_bpermute_b32 v14, v19, v5
	s_waitcnt lgkmcnt(1)
	v_add_f32_e32 v15, v3, v18
	s_waitcnt lgkmcnt(0)
	v_dual_add_f32 v5, v5, v14 :: v_dual_add_f32 v14, v8, v17
	ds_bpermute_b32 v16, v19, v7
	v_xor_b32_e32 v19, 2, v2
	s_delay_alu instid0(VALU_DEP_1) | instskip(SKIP_3) | instid1(VALU_DEP_1)
	v_cmp_gt_i32_e32 vcc_lo, 32, v19
	s_waitcnt lgkmcnt(0)
	v_add_f32_e32 v13, v7, v16
	v_cndmask_b32_e32 v19, v2, v19, vcc_lo
	v_lshlrev_b32_e32 v19, 2, v19
	ds_bpermute_b32 v3, v19, v4
	ds_bpermute_b32 v7, v19, v5
	;; [unrolled: 1-line block ×6, first 2 shown]
	v_xor_b32_e32 v19, 1, v2
	s_delay_alu instid0(VALU_DEP_1) | instskip(SKIP_3) | instid1(VALU_DEP_2)
	v_cmp_gt_i32_e32 vcc_lo, 32, v19
	v_cndmask_b32_e32 v2, v2, v19, vcc_lo
	v_cmp_eq_u32_e32 vcc_lo, 63, v0
	s_waitcnt lgkmcnt(5)
	v_dual_add_f32 v2, v4, v3 :: v_dual_lshlrev_b32 v19, 2, v2
	s_waitcnt lgkmcnt(4)
	v_add_f32_e32 v5, v5, v7
	s_waitcnt lgkmcnt(0)
	v_dual_add_f32 v7, v6, v8 :: v_dual_add_f32 v4, v15, v18
	v_dual_add_f32 v8, v13, v16 :: v_dual_add_f32 v3, v14, v17
	ds_bpermute_b32 v6, v19, v2
	ds_bpermute_b32 v15, v19, v5
	;; [unrolled: 1-line block ×6, first 2 shown]
	s_and_b32 exec_lo, exec_lo, vcc_lo
	s_cbranch_execz .LBB93_29
; %bb.25:
	s_load_b64 s[2:3], s[0:1], 0x38
	v_cmp_eq_f32_e32 vcc_lo, 0, v11
	v_cmp_eq_f32_e64 s0, 0, v12
	s_waitcnt lgkmcnt(0)
	v_add_f32_e32 v0, v2, v6
	v_dual_add_f32 v6, v5, v15 :: v_dual_add_f32 v3, v3, v13
	v_dual_add_f32 v2, v7, v16 :: v_dual_add_f32 v5, v8, v17
	v_add_f32_e32 v4, v4, v14
	s_and_b32 s0, vcc_lo, s0
	s_delay_alu instid0(SALU_CYCLE_1) | instskip(NEXT) | instid1(SALU_CYCLE_1)
	s_and_saveexec_b32 s1, s0
	s_xor_b32 s0, exec_lo, s1
	s_cbranch_execz .LBB93_27
; %bb.26:
	v_lshl_add_u32 v7, v1, 1, v1
	v_mul_f32_e64 v11, v6, -v10
	v_mul_f32_e32 v12, v6, v9
	v_mul_f32_e64 v13, v5, -v10
	v_mul_f32_e32 v14, v5, v9
	v_ashrrev_i32_e32 v8, 31, v7
	v_fmac_f32_e32 v11, v9, v0
	v_mul_f32_e64 v5, v4, -v10
	v_dual_mul_f32 v6, v4, v9 :: v_dual_fmac_f32 v13, v9, v2
	s_delay_alu instid0(VALU_DEP_4) | instskip(NEXT) | instid1(VALU_DEP_3)
	v_lshlrev_b64 v[7:8], 3, v[7:8]
	v_dual_fmac_f32 v12, v10, v0 :: v_dual_fmac_f32 v5, v9, v3
	v_fmac_f32_e32 v14, v10, v2
	s_delay_alu instid0(VALU_DEP_4) | instskip(NEXT) | instid1(VALU_DEP_4)
	v_fmac_f32_e32 v6, v10, v3
                                        ; implicit-def: $vgpr9
                                        ; implicit-def: $vgpr10
                                        ; implicit-def: $vgpr2
                                        ; implicit-def: $vgpr3
                                        ; implicit-def: $vgpr4
	v_add_co_u32 v0, vcc_lo, s2, v7
	v_add_co_ci_u32_e32 v1, vcc_lo, s3, v8, vcc_lo
	s_clause 0x1
	global_store_b128 v[0:1], v[11:14], off
	global_store_b64 v[0:1], v[5:6], off offset:16
                                        ; implicit-def: $vgpr11
                                        ; implicit-def: $vgpr12
                                        ; implicit-def: $vgpr1
                                        ; implicit-def: $vgpr0
                                        ; implicit-def: $vgpr6
                                        ; implicit-def: $vgpr5
.LBB93_27:
	s_and_not1_saveexec_b32 s0, s0
	s_cbranch_execz .LBB93_29
; %bb.28:
	v_lshl_add_u32 v7, v1, 1, v1
	v_mul_f32_e64 v21, v5, -v10
	v_mul_f32_e64 v22, v4, -v10
	s_delay_alu instid0(VALU_DEP_3) | instskip(NEXT) | instid1(VALU_DEP_1)
	v_ashrrev_i32_e32 v8, 31, v7
	v_lshlrev_b64 v[7:8], 3, v[7:8]
	s_delay_alu instid0(VALU_DEP_1) | instskip(NEXT) | instid1(VALU_DEP_2)
	v_add_co_u32 v17, vcc_lo, s2, v7
	v_add_co_ci_u32_e32 v18, vcc_lo, s3, v8, vcc_lo
	v_mul_f32_e64 v7, v6, -v10
	v_mul_f32_e32 v6, v6, v9
	s_clause 0x1
	global_load_b128 v[13:16], v[17:18], off
	global_load_b64 v[19:20], v[17:18], off offset:16
	v_fmac_f32_e32 v7, v9, v0
	v_dual_mul_f32 v1, v4, v9 :: v_dual_fmac_f32 v6, v10, v0
	v_mul_f32_e32 v8, v5, v9
	v_fmac_f32_e32 v21, v9, v2
	s_delay_alu instid0(VALU_DEP_3) | instskip(SKIP_1) | instid1(VALU_DEP_3)
	v_fmac_f32_e32 v1, v10, v3
	s_waitcnt vmcnt(1)
	v_dual_fmac_f32 v8, v10, v2 :: v_dual_fmac_f32 v7, v11, v13
	v_fmac_f32_e32 v6, v12, v13
	s_waitcnt vmcnt(0)
	v_fmac_f32_e32 v1, v12, v19
	v_fmac_f32_e32 v21, v11, v15
	;; [unrolled: 1-line block ×3, first 2 shown]
	v_fma_f32 v5, -v12, v14, v7
	v_fmac_f32_e32 v6, v11, v14
	v_dual_fmac_f32 v22, v9, v3 :: v_dual_fmac_f32 v1, v11, v20
	v_fma_f32 v7, -v12, v16, v21
	v_fmac_f32_e32 v8, v11, v16
	s_delay_alu instid0(VALU_DEP_3) | instskip(NEXT) | instid1(VALU_DEP_1)
	v_fmac_f32_e32 v22, v11, v19
	v_fma_f32 v0, -v12, v20, v22
	s_clause 0x1
	global_store_b128 v[17:18], v[5:8], off
	global_store_b64 v[17:18], v[0:1], off offset:16
.LBB93_29:
	s_nop 0
	s_sendmsg sendmsg(MSG_DEALLOC_VGPRS)
	s_endpgm
	.section	.rodata,"a",@progbits
	.p2align	6, 0x0
	.amdhsa_kernel _ZN9rocsparseL19gebsrmvn_3xn_kernelILj128ELj5ELj64E21rocsparse_complex_numIfEEEvi20rocsparse_direction_NS_24const_host_device_scalarIT2_EEPKiS8_PKS5_SA_S6_PS5_21rocsparse_index_base_b
		.amdhsa_group_segment_fixed_size 0
		.amdhsa_private_segment_fixed_size 0
		.amdhsa_kernarg_size 72
		.amdhsa_user_sgpr_count 15
		.amdhsa_user_sgpr_dispatch_ptr 0
		.amdhsa_user_sgpr_queue_ptr 0
		.amdhsa_user_sgpr_kernarg_segment_ptr 1
		.amdhsa_user_sgpr_dispatch_id 0
		.amdhsa_user_sgpr_private_segment_size 0
		.amdhsa_wavefront_size32 1
		.amdhsa_uses_dynamic_stack 0
		.amdhsa_enable_private_segment 0
		.amdhsa_system_sgpr_workgroup_id_x 1
		.amdhsa_system_sgpr_workgroup_id_y 0
		.amdhsa_system_sgpr_workgroup_id_z 0
		.amdhsa_system_sgpr_workgroup_info 0
		.amdhsa_system_vgpr_workitem_id 0
		.amdhsa_next_free_vgpr 59
		.amdhsa_next_free_sgpr 16
		.amdhsa_reserve_vcc 1
		.amdhsa_float_round_mode_32 0
		.amdhsa_float_round_mode_16_64 0
		.amdhsa_float_denorm_mode_32 3
		.amdhsa_float_denorm_mode_16_64 3
		.amdhsa_dx10_clamp 1
		.amdhsa_ieee_mode 1
		.amdhsa_fp16_overflow 0
		.amdhsa_workgroup_processor_mode 1
		.amdhsa_memory_ordered 1
		.amdhsa_forward_progress 0
		.amdhsa_shared_vgpr_count 0
		.amdhsa_exception_fp_ieee_invalid_op 0
		.amdhsa_exception_fp_denorm_src 0
		.amdhsa_exception_fp_ieee_div_zero 0
		.amdhsa_exception_fp_ieee_overflow 0
		.amdhsa_exception_fp_ieee_underflow 0
		.amdhsa_exception_fp_ieee_inexact 0
		.amdhsa_exception_int_div_zero 0
	.end_amdhsa_kernel
	.section	.text._ZN9rocsparseL19gebsrmvn_3xn_kernelILj128ELj5ELj64E21rocsparse_complex_numIfEEEvi20rocsparse_direction_NS_24const_host_device_scalarIT2_EEPKiS8_PKS5_SA_S6_PS5_21rocsparse_index_base_b,"axG",@progbits,_ZN9rocsparseL19gebsrmvn_3xn_kernelILj128ELj5ELj64E21rocsparse_complex_numIfEEEvi20rocsparse_direction_NS_24const_host_device_scalarIT2_EEPKiS8_PKS5_SA_S6_PS5_21rocsparse_index_base_b,comdat
.Lfunc_end93:
	.size	_ZN9rocsparseL19gebsrmvn_3xn_kernelILj128ELj5ELj64E21rocsparse_complex_numIfEEEvi20rocsparse_direction_NS_24const_host_device_scalarIT2_EEPKiS8_PKS5_SA_S6_PS5_21rocsparse_index_base_b, .Lfunc_end93-_ZN9rocsparseL19gebsrmvn_3xn_kernelILj128ELj5ELj64E21rocsparse_complex_numIfEEEvi20rocsparse_direction_NS_24const_host_device_scalarIT2_EEPKiS8_PKS5_SA_S6_PS5_21rocsparse_index_base_b
                                        ; -- End function
	.section	.AMDGPU.csdata,"",@progbits
; Kernel info:
; codeLenInByte = 4032
; NumSgprs: 18
; NumVgprs: 59
; ScratchSize: 0
; MemoryBound: 0
; FloatMode: 240
; IeeeMode: 1
; LDSByteSize: 0 bytes/workgroup (compile time only)
; SGPRBlocks: 2
; VGPRBlocks: 7
; NumSGPRsForWavesPerEU: 18
; NumVGPRsForWavesPerEU: 59
; Occupancy: 16
; WaveLimiterHint : 1
; COMPUTE_PGM_RSRC2:SCRATCH_EN: 0
; COMPUTE_PGM_RSRC2:USER_SGPR: 15
; COMPUTE_PGM_RSRC2:TRAP_HANDLER: 0
; COMPUTE_PGM_RSRC2:TGID_X_EN: 1
; COMPUTE_PGM_RSRC2:TGID_Y_EN: 0
; COMPUTE_PGM_RSRC2:TGID_Z_EN: 0
; COMPUTE_PGM_RSRC2:TIDIG_COMP_CNT: 0
	.section	.text._ZN9rocsparseL19gebsrmvn_3xn_kernelILj128ELj6ELj4E21rocsparse_complex_numIfEEEvi20rocsparse_direction_NS_24const_host_device_scalarIT2_EEPKiS8_PKS5_SA_S6_PS5_21rocsparse_index_base_b,"axG",@progbits,_ZN9rocsparseL19gebsrmvn_3xn_kernelILj128ELj6ELj4E21rocsparse_complex_numIfEEEvi20rocsparse_direction_NS_24const_host_device_scalarIT2_EEPKiS8_PKS5_SA_S6_PS5_21rocsparse_index_base_b,comdat
	.globl	_ZN9rocsparseL19gebsrmvn_3xn_kernelILj128ELj6ELj4E21rocsparse_complex_numIfEEEvi20rocsparse_direction_NS_24const_host_device_scalarIT2_EEPKiS8_PKS5_SA_S6_PS5_21rocsparse_index_base_b ; -- Begin function _ZN9rocsparseL19gebsrmvn_3xn_kernelILj128ELj6ELj4E21rocsparse_complex_numIfEEEvi20rocsparse_direction_NS_24const_host_device_scalarIT2_EEPKiS8_PKS5_SA_S6_PS5_21rocsparse_index_base_b
	.p2align	8
	.type	_ZN9rocsparseL19gebsrmvn_3xn_kernelILj128ELj6ELj4E21rocsparse_complex_numIfEEEvi20rocsparse_direction_NS_24const_host_device_scalarIT2_EEPKiS8_PKS5_SA_S6_PS5_21rocsparse_index_base_b,@function
_ZN9rocsparseL19gebsrmvn_3xn_kernelILj128ELj6ELj4E21rocsparse_complex_numIfEEEvi20rocsparse_direction_NS_24const_host_device_scalarIT2_EEPKiS8_PKS5_SA_S6_PS5_21rocsparse_index_base_b: ; @_ZN9rocsparseL19gebsrmvn_3xn_kernelILj128ELj6ELj4E21rocsparse_complex_numIfEEEvi20rocsparse_direction_NS_24const_host_device_scalarIT2_EEPKiS8_PKS5_SA_S6_PS5_21rocsparse_index_base_b
; %bb.0:
	s_clause 0x2
	s_load_b64 s[12:13], s[0:1], 0x40
	s_load_b64 s[4:5], s[0:1], 0x8
	;; [unrolled: 1-line block ×3, first 2 shown]
	s_waitcnt lgkmcnt(0)
	s_bitcmp1_b32 s13, 0
	v_mov_b32_e32 v9, s4
	s_cselect_b32 s6, -1, 0
	s_delay_alu instid0(SALU_CYCLE_1)
	s_and_b32 vcc_lo, exec_lo, s6
	s_xor_b32 s6, s6, -1
	s_cbranch_vccz .LBB94_15
; %bb.1:
	v_cndmask_b32_e64 v1, 0, 1, s6
	v_mov_b32_e32 v10, s5
	s_and_not1_b32 vcc_lo, exec_lo, s6
	s_cbranch_vccz .LBB94_16
.LBB94_2:
	s_delay_alu instid0(VALU_DEP_2)
	v_cmp_ne_u32_e32 vcc_lo, 1, v1
	v_mov_b32_e32 v11, s2
	s_cbranch_vccz .LBB94_17
.LBB94_3:
	v_cmp_ne_u32_e32 vcc_lo, 1, v1
	v_mov_b32_e32 v12, s3
	s_cbranch_vccnz .LBB94_5
.LBB94_4:
	v_dual_mov_b32 v1, s2 :: v_dual_mov_b32 v2, s3
	flat_load_b32 v12, v[1:2] offset:4
.LBB94_5:
	s_waitcnt vmcnt(0) lgkmcnt(0)
	v_cmp_eq_f32_e32 vcc_lo, 0, v9
	v_cmp_eq_f32_e64 s2, 0, v10
	s_delay_alu instid0(VALU_DEP_1)
	s_and_b32 s4, vcc_lo, s2
	s_mov_b32 s2, -1
	s_and_saveexec_b32 s3, s4
; %bb.6:
	v_cmp_neq_f32_e32 vcc_lo, 1.0, v11
	v_cmp_neq_f32_e64 s2, 0, v12
	s_delay_alu instid0(VALU_DEP_1) | instskip(NEXT) | instid1(SALU_CYCLE_1)
	s_or_b32 s2, vcc_lo, s2
	s_or_not1_b32 s2, s2, exec_lo
; %bb.7:
	s_or_b32 exec_lo, exec_lo, s3
	s_and_saveexec_b32 s3, s2
	s_cbranch_execz .LBB94_29
; %bb.8:
	s_load_b64 s[2:3], s[0:1], 0x0
	v_lshrrev_b32_e32 v1, 2, v0
	s_delay_alu instid0(VALU_DEP_1) | instskip(SKIP_1) | instid1(VALU_DEP_1)
	v_lshl_or_b32 v1, s15, 5, v1
	s_waitcnt lgkmcnt(0)
	v_cmp_gt_i32_e32 vcc_lo, s2, v1
	s_and_b32 exec_lo, exec_lo, vcc_lo
	s_cbranch_execz .LBB94_29
; %bb.9:
	s_load_b256 s[4:11], s[0:1], 0x10
	v_ashrrev_i32_e32 v2, 31, v1
	v_and_b32_e32 v0, 3, v0
	s_cmp_lg_u32 s3, 0
	s_delay_alu instid0(VALU_DEP_2) | instskip(SKIP_1) | instid1(VALU_DEP_1)
	v_lshlrev_b64 v[2:3], 2, v[1:2]
	s_waitcnt lgkmcnt(0)
	v_add_co_u32 v2, vcc_lo, s4, v2
	s_delay_alu instid0(VALU_DEP_2) | instskip(SKIP_4) | instid1(VALU_DEP_2)
	v_add_co_ci_u32_e32 v3, vcc_lo, s5, v3, vcc_lo
	global_load_b64 v[2:3], v[2:3], off
	s_waitcnt vmcnt(0)
	v_subrev_nc_u32_e32 v2, s12, v2
	v_subrev_nc_u32_e32 v16, s12, v3
	v_add_nc_u32_e32 v2, v2, v0
	s_delay_alu instid0(VALU_DEP_1)
	v_cmp_lt_i32_e64 s2, v2, v16
	s_cbranch_scc0 .LBB94_18
; %bb.10:
	v_dual_mov_b32 v13, 0 :: v_dual_mov_b32 v18, 0
	v_dual_mov_b32 v17, 0 :: v_dual_mov_b32 v14, 0
	v_mov_b32_e32 v19, 0
	v_mov_b32_e32 v15, 0
	s_mov_b32 s3, 0
	s_and_saveexec_b32 s4, s2
	s_cbranch_execz .LBB94_14
; %bb.11:
	v_mad_u64_u32 v[3:4], null, v2, 18, 17
	v_dual_mov_b32 v6, 0 :: v_dual_mov_b32 v7, v2
	v_dual_mov_b32 v13, 0 :: v_dual_mov_b32 v18, 0
	;; [unrolled: 1-line block ×3, first 2 shown]
	v_mov_b32_e32 v19, 0
	v_mov_b32_e32 v15, 0
	s_mov_b32 s5, 0
.LBB94_12:                              ; =>This Inner Loop Header: Depth=1
	v_ashrrev_i32_e32 v8, 31, v7
	s_delay_alu instid0(VALU_DEP_1) | instskip(NEXT) | instid1(VALU_DEP_1)
	v_lshlrev_b64 v[4:5], 2, v[7:8]
	v_add_co_u32 v4, vcc_lo, s6, v4
	s_delay_alu instid0(VALU_DEP_2) | instskip(SKIP_3) | instid1(VALU_DEP_2)
	v_add_co_ci_u32_e32 v5, vcc_lo, s7, v5, vcc_lo
	global_load_b32 v8, v[4:5], off
	v_subrev_nc_u32_e32 v5, 17, v3
	v_mov_b32_e32 v4, v6
	v_lshlrev_b64 v[20:21], 3, v[5:6]
	v_add_nc_u32_e32 v5, -15, v3
	s_delay_alu instid0(VALU_DEP_3) | instskip(NEXT) | instid1(VALU_DEP_2)
	v_lshlrev_b64 v[22:23], 3, v[3:4]
	v_lshlrev_b64 v[24:25], 3, v[5:6]
	s_delay_alu instid0(VALU_DEP_4) | instskip(SKIP_1) | instid1(VALU_DEP_4)
	v_add_co_u32 v20, vcc_lo, s8, v20
	v_add_co_ci_u32_e32 v21, vcc_lo, s9, v21, vcc_lo
	v_add_co_u32 v26, vcc_lo, s8, v22
	v_add_co_ci_u32_e32 v27, vcc_lo, s9, v23, vcc_lo
	;; [unrolled: 2-line block ×3, first 2 shown]
	s_clause 0x2
	global_load_b128 v[20:23], v[20:21], off
	global_load_b64 v[36:37], v[26:27], off
	global_load_b64 v[38:39], v[24:25], off
	v_add_nc_u32_e32 v5, -14, v3
	v_mov_b32_e32 v33, v6
	s_delay_alu instid0(VALU_DEP_2) | instskip(SKIP_1) | instid1(VALU_DEP_1)
	v_lshlrev_b64 v[28:29], 3, v[5:6]
	v_add_nc_u32_e32 v5, -13, v3
	v_lshlrev_b64 v[26:27], 3, v[5:6]
	s_delay_alu instid0(VALU_DEP_3) | instskip(NEXT) | instid1(VALU_DEP_4)
	v_add_co_u32 v24, vcc_lo, s8, v28
	v_add_co_ci_u32_e32 v25, vcc_lo, s9, v29, vcc_lo
	s_delay_alu instid0(VALU_DEP_3) | instskip(NEXT) | instid1(VALU_DEP_4)
	v_add_co_u32 v26, vcc_lo, s8, v26
	v_add_co_ci_u32_e32 v27, vcc_lo, s9, v27, vcc_lo
	s_clause 0x1
	global_load_b64 v[40:41], v[24:25], off
	global_load_b64 v[42:43], v[26:27], off
	v_add_nc_u32_e32 v5, -12, v3
	s_delay_alu instid0(VALU_DEP_1) | instskip(SKIP_1) | instid1(VALU_DEP_1)
	v_lshlrev_b64 v[28:29], 3, v[5:6]
	v_add_nc_u32_e32 v5, -11, v3
	v_lshlrev_b64 v[4:5], 3, v[5:6]
	s_delay_alu instid0(VALU_DEP_3) | instskip(NEXT) | instid1(VALU_DEP_4)
	v_add_co_u32 v24, vcc_lo, s8, v28
	v_add_co_ci_u32_e32 v25, vcc_lo, s9, v29, vcc_lo
	s_delay_alu instid0(VALU_DEP_3) | instskip(NEXT) | instid1(VALU_DEP_4)
	v_add_co_u32 v4, vcc_lo, s8, v4
	v_add_co_ci_u32_e32 v5, vcc_lo, s9, v5, vcc_lo
	s_clause 0x1
	global_load_b64 v[44:45], v[24:25], off
	global_load_b64 v[46:47], v[4:5], off
	s_waitcnt vmcnt(7)
	v_subrev_nc_u32_e32 v4, s12, v8
	s_delay_alu instid0(VALU_DEP_1) | instskip(NEXT) | instid1(VALU_DEP_1)
	v_mul_lo_u32 v32, v4, 6
	v_lshlrev_b64 v[24:25], 3, v[32:33]
	s_delay_alu instid0(VALU_DEP_1) | instskip(NEXT) | instid1(VALU_DEP_2)
	v_add_co_u32 v24, vcc_lo, s10, v24
	v_add_co_ci_u32_e32 v25, vcc_lo, s11, v25, vcc_lo
	global_load_b128 v[24:27], v[24:25], off
	v_add_nc_u32_e32 v5, 2, v32
	s_delay_alu instid0(VALU_DEP_1) | instskip(SKIP_1) | instid1(VALU_DEP_1)
	v_lshlrev_b64 v[28:29], 3, v[5:6]
	v_add_nc_u32_e32 v5, -10, v3
	v_lshlrev_b64 v[30:31], 3, v[5:6]
	s_delay_alu instid0(VALU_DEP_3) | instskip(NEXT) | instid1(VALU_DEP_4)
	v_add_co_u32 v28, vcc_lo, s10, v28
	v_add_co_ci_u32_e32 v29, vcc_lo, s11, v29, vcc_lo
	s_delay_alu instid0(VALU_DEP_3) | instskip(NEXT) | instid1(VALU_DEP_4)
	v_add_co_u32 v48, vcc_lo, s8, v30
	v_add_co_ci_u32_e32 v49, vcc_lo, s9, v31, vcc_lo
	global_load_b128 v[28:31], v[28:29], off
	global_load_b64 v[48:49], v[48:49], off
	s_waitcnt vmcnt(2)
	v_fmac_f32_e32 v18, v38, v24
	v_fmac_f32_e32 v14, v39, v24
	;; [unrolled: 1-line block ×3, first 2 shown]
	s_delay_alu instid0(VALU_DEP_3) | instskip(NEXT) | instid1(VALU_DEP_3)
	v_fma_f32 v18, -v39, v25, v18
	v_fmac_f32_e32 v14, v38, v25
	s_delay_alu instid0(VALU_DEP_3) | instskip(NEXT) | instid1(VALU_DEP_3)
	v_fma_f32 v8, -v21, v25, v17
	v_fmac_f32_e32 v18, v44, v26
	s_delay_alu instid0(VALU_DEP_3) | instskip(NEXT) | instid1(VALU_DEP_3)
	v_fmac_f32_e32 v14, v45, v26
	v_dual_fmac_f32 v13, v21, v24 :: v_dual_fmac_f32 v8, v40, v26
	s_delay_alu instid0(VALU_DEP_3) | instskip(NEXT) | instid1(VALU_DEP_3)
	v_fma_f32 v18, -v45, v27, v18
	v_fmac_f32_e32 v14, v44, v27
	v_add_nc_u32_e32 v5, -9, v3
	s_delay_alu instid0(VALU_DEP_4) | instskip(SKIP_1) | instid1(VALU_DEP_3)
	v_fma_f32 v8, -v41, v27, v8
	v_fmac_f32_e32 v13, v20, v25
	v_lshlrev_b64 v[33:34], 3, v[5:6]
	s_waitcnt vmcnt(1)
	s_delay_alu instid0(VALU_DEP_2) | instskip(NEXT) | instid1(VALU_DEP_1)
	v_dual_fmac_f32 v8, v46, v28 :: v_dual_fmac_f32 v13, v41, v26
	v_fma_f32 v8, -v47, v29, v8
	s_delay_alu instid0(VALU_DEP_3) | instskip(NEXT) | instid1(VALU_DEP_4)
	v_add_co_u32 v33, vcc_lo, s8, v33
	v_add_co_ci_u32_e32 v34, vcc_lo, s9, v34, vcc_lo
	s_delay_alu instid0(VALU_DEP_4) | instskip(SKIP_3) | instid1(VALU_DEP_2)
	v_fmac_f32_e32 v13, v40, v27
	global_load_b64 v[54:55], v[33:34], off
	v_add_nc_u32_e32 v5, -8, v3
	v_fmac_f32_e32 v13, v47, v28
	v_lshlrev_b64 v[50:51], 3, v[5:6]
	v_add_nc_u32_e32 v5, -7, v3
	s_delay_alu instid0(VALU_DEP_3) | instskip(NEXT) | instid1(VALU_DEP_2)
	v_fmac_f32_e32 v13, v46, v29
	v_lshlrev_b64 v[52:53], 3, v[5:6]
	s_delay_alu instid0(VALU_DEP_4) | instskip(SKIP_1) | instid1(VALU_DEP_3)
	v_add_co_u32 v50, vcc_lo, s8, v50
	v_add_co_ci_u32_e32 v51, vcc_lo, s9, v51, vcc_lo
	v_add_co_u32 v52, vcc_lo, s8, v52
	s_delay_alu instid0(VALU_DEP_4)
	v_add_co_ci_u32_e32 v53, vcc_lo, s9, v53, vcc_lo
	global_load_b64 v[50:51], v[50:51], off
	v_add_nc_u32_e32 v5, -6, v3
	global_load_b64 v[52:53], v[52:53], off
	v_lshlrev_b64 v[33:34], 3, v[5:6]
	s_waitcnt vmcnt(2)
	v_fmac_f32_e32 v18, v54, v28
	v_fmac_f32_e32 v14, v55, v28
	s_delay_alu instid0(VALU_DEP_2) | instskip(NEXT) | instid1(VALU_DEP_2)
	v_fma_f32 v18, -v55, v29, v18
	v_dual_fmac_f32 v14, v54, v29 :: v_dual_add_nc_u32 v5, -5, v3
	s_delay_alu instid0(VALU_DEP_1)
	v_lshlrev_b64 v[56:57], 3, v[5:6]
	v_add_nc_u32_e32 v5, 4, v32
	v_add_co_u32 v32, vcc_lo, s8, v33
	v_add_co_ci_u32_e32 v33, vcc_lo, s9, v34, vcc_lo
	global_load_b64 v[58:59], v[32:33], off
	v_add_co_u32 v32, vcc_lo, s8, v56
	v_add_co_ci_u32_e32 v33, vcc_lo, s9, v57, vcc_lo
	s_waitcnt vmcnt(0)
	v_fmac_f32_e32 v14, v59, v30
	v_lshlrev_b64 v[34:35], 3, v[5:6]
	v_dual_fmac_f32 v18, v58, v30 :: v_dual_add_nc_u32 v5, -4, v3
	s_delay_alu instid0(VALU_DEP_3) | instskip(NEXT) | instid1(VALU_DEP_2)
	v_fmac_f32_e32 v14, v58, v31
	v_lshlrev_b64 v[56:57], 3, v[5:6]
	s_delay_alu instid0(VALU_DEP_3) | instskip(SKIP_3) | instid1(VALU_DEP_3)
	v_fma_f32 v18, -v59, v31, v18
	v_add_nc_u32_e32 v5, -3, v3
	v_add_co_u32 v34, vcc_lo, s10, v34
	v_add_co_ci_u32_e32 v35, vcc_lo, s11, v35, vcc_lo
	v_lshlrev_b64 v[62:63], 3, v[5:6]
	v_add_co_u32 v56, vcc_lo, s8, v56
	v_add_co_ci_u32_e32 v57, vcc_lo, s9, v57, vcc_lo
	s_delay_alu instid0(VALU_DEP_3) | instskip(NEXT) | instid1(VALU_DEP_4)
	v_add_co_u32 v62, vcc_lo, s8, v62
	v_add_co_ci_u32_e32 v63, vcc_lo, s9, v63, vcc_lo
	s_clause 0x2
	global_load_b64 v[56:57], v[56:57], off
	global_load_b64 v[62:63], v[62:63], off
	;; [unrolled: 1-line block ×3, first 2 shown]
	global_load_b128 v[32:35], v[34:35], off
	v_dual_fmac_f32 v8, v50, v30 :: v_dual_add_nc_u32 v5, -2, v3
	v_fmac_f32_e32 v13, v51, v30
	s_delay_alu instid0(VALU_DEP_2) | instskip(SKIP_1) | instid1(VALU_DEP_2)
	v_fma_f32 v8, -v51, v31, v8
	s_waitcnt vmcnt(0)
	v_dual_fmac_f32 v13, v50, v31 :: v_dual_fmac_f32 v14, v63, v32
	s_delay_alu instid0(VALU_DEP_2) | instskip(SKIP_2) | instid1(VALU_DEP_4)
	v_fmac_f32_e32 v8, v60, v32
	v_lshlrev_b64 v[64:65], 3, v[5:6]
	v_add_nc_u32_e32 v7, 4, v7
	v_dual_fmac_f32 v13, v61, v32 :: v_dual_fmac_f32 v14, v62, v33
	s_delay_alu instid0(VALU_DEP_4) | instskip(SKIP_3) | instid1(VALU_DEP_3)
	v_fma_f32 v8, -v61, v33, v8
	v_add_nc_u32_e32 v5, -1, v3
	v_add_co_u32 v64, vcc_lo, s8, v64
	v_add_co_ci_u32_e32 v65, vcc_lo, s9, v65, vcc_lo
	v_lshlrev_b64 v[4:5], 3, v[5:6]
	v_dual_fmac_f32 v19, v22, v24 :: v_dual_fmac_f32 v14, v37, v34
	v_fmac_f32_e32 v15, v23, v24
	v_dual_fmac_f32 v18, v62, v32 :: v_dual_fmac_f32 v13, v60, v33
	s_delay_alu instid0(VALU_DEP_4) | instskip(NEXT) | instid1(VALU_DEP_4)
	v_add_co_u32 v4, vcc_lo, s8, v4
	v_fmac_f32_e32 v14, v36, v35
	v_add_co_ci_u32_e32 v5, vcc_lo, s9, v5, vcc_lo
	s_clause 0x1
	global_load_b64 v[64:65], v[64:65], off
	global_load_b64 v[4:5], v[4:5], off
	v_fma_f32 v17, -v23, v25, v19
	v_fmac_f32_e32 v15, v22, v25
	v_fma_f32 v18, -v63, v33, v18
	v_add_nc_u32_e32 v3, 0x48, v3
	v_cmp_ge_i32_e32 vcc_lo, v7, v16
	v_fmac_f32_e32 v17, v42, v26
	v_fmac_f32_e32 v15, v43, v26
	;; [unrolled: 1-line block ×3, first 2 shown]
	s_or_b32 s5, vcc_lo, s5
	s_delay_alu instid0(VALU_DEP_3) | instskip(NEXT) | instid1(VALU_DEP_3)
	v_fma_f32 v17, -v43, v27, v17
	v_fmac_f32_e32 v15, v42, v27
	s_delay_alu instid0(VALU_DEP_3) | instskip(NEXT) | instid1(VALU_DEP_3)
	v_fma_f32 v18, -v37, v35, v18
	v_fmac_f32_e32 v17, v48, v28
	s_delay_alu instid0(VALU_DEP_3) | instskip(NEXT) | instid1(VALU_DEP_2)
	v_fmac_f32_e32 v15, v49, v28
	v_fma_f32 v17, -v49, v29, v17
	s_delay_alu instid0(VALU_DEP_2) | instskip(NEXT) | instid1(VALU_DEP_2)
	v_fmac_f32_e32 v15, v48, v29
	v_fmac_f32_e32 v17, v52, v30
	s_delay_alu instid0(VALU_DEP_2) | instskip(NEXT) | instid1(VALU_DEP_2)
	v_fmac_f32_e32 v15, v53, v30
	v_fma_f32 v17, -v53, v31, v17
	s_delay_alu instid0(VALU_DEP_2) | instskip(NEXT) | instid1(VALU_DEP_2)
	v_fmac_f32_e32 v15, v52, v31
	v_fmac_f32_e32 v17, v56, v32
	s_delay_alu instid0(VALU_DEP_2) | instskip(NEXT) | instid1(VALU_DEP_2)
	v_fmac_f32_e32 v15, v57, v32
	v_fma_f32 v19, -v57, v33, v17
	s_delay_alu instid0(VALU_DEP_2)
	v_fmac_f32_e32 v15, v56, v33
	s_waitcnt vmcnt(1)
	v_fmac_f32_e32 v8, v64, v34
	v_fmac_f32_e32 v13, v65, v34
	s_waitcnt vmcnt(0)
	v_fmac_f32_e32 v19, v4, v34
	v_fmac_f32_e32 v15, v5, v34
	v_fma_f32 v17, -v65, v35, v8
	v_fmac_f32_e32 v13, v64, v35
	s_delay_alu instid0(VALU_DEP_4) | instskip(NEXT) | instid1(VALU_DEP_4)
	v_fma_f32 v19, -v5, v35, v19
	v_fmac_f32_e32 v15, v4, v35
	s_and_not1_b32 exec_lo, exec_lo, s5
	s_cbranch_execnz .LBB94_12
; %bb.13:
	s_or_b32 exec_lo, exec_lo, s5
.LBB94_14:
	s_delay_alu instid0(SALU_CYCLE_1) | instskip(NEXT) | instid1(SALU_CYCLE_1)
	s_or_b32 exec_lo, exec_lo, s4
	s_and_not1_b32 vcc_lo, exec_lo, s3
	s_cbranch_vccz .LBB94_19
	s_branch .LBB94_24
.LBB94_15:
	v_dual_mov_b32 v1, s4 :: v_dual_mov_b32 v2, s5
	flat_load_b32 v9, v[1:2]
	v_cndmask_b32_e64 v1, 0, 1, s6
	v_mov_b32_e32 v10, s5
	s_and_not1_b32 vcc_lo, exec_lo, s6
	s_cbranch_vccnz .LBB94_2
.LBB94_16:
	v_dual_mov_b32 v2, s4 :: v_dual_mov_b32 v3, s5
	flat_load_b32 v10, v[2:3] offset:4
	v_cmp_ne_u32_e32 vcc_lo, 1, v1
	v_mov_b32_e32 v11, s2
	s_cbranch_vccnz .LBB94_3
.LBB94_17:
	v_dual_mov_b32 v2, s2 :: v_dual_mov_b32 v3, s3
	flat_load_b32 v11, v[2:3]
	v_cmp_ne_u32_e32 vcc_lo, 1, v1
	v_mov_b32_e32 v12, s3
	s_cbranch_vccz .LBB94_4
	s_branch .LBB94_5
.LBB94_18:
                                        ; implicit-def: $vgpr13
                                        ; implicit-def: $vgpr17
                                        ; implicit-def: $vgpr18
                                        ; implicit-def: $vgpr14
                                        ; implicit-def: $vgpr19
                                        ; implicit-def: $vgpr15
.LBB94_19:
	v_dual_mov_b32 v13, 0 :: v_dual_mov_b32 v18, 0
	v_dual_mov_b32 v17, 0 :: v_dual_mov_b32 v14, 0
	v_mov_b32_e32 v19, 0
	v_mov_b32_e32 v15, 0
	s_and_saveexec_b32 s3, s2
	s_cbranch_execz .LBB94_23
; %bb.20:
	v_mad_u64_u32 v[4:5], null, v2, 18, 17
	v_dual_mov_b32 v7, 0 :: v_dual_mov_b32 v18, 0
	v_dual_mov_b32 v13, 0 :: v_dual_mov_b32 v14, 0
	v_mov_b32_e32 v17, 0
	v_mov_b32_e32 v19, 0
	;; [unrolled: 1-line block ×3, first 2 shown]
	s_mov_b32 s2, 0
.LBB94_21:                              ; =>This Inner Loop Header: Depth=1
	v_ashrrev_i32_e32 v3, 31, v2
	v_dual_mov_b32 v33, v7 :: v_dual_add_nc_u32 v20, -11, v4
	v_dual_mov_b32 v21, v7 :: v_dual_add_nc_u32 v22, -5, v4
	s_delay_alu instid0(VALU_DEP_3) | instskip(SKIP_1) | instid1(VALU_DEP_3)
	v_lshlrev_b64 v[5:6], 2, v[2:3]
	v_mov_b32_e32 v23, v7
	v_lshlrev_b64 v[20:21], 3, v[20:21]
	s_delay_alu instid0(VALU_DEP_3) | instskip(NEXT) | instid1(VALU_DEP_4)
	v_add_co_u32 v5, vcc_lo, s6, v5
	v_add_co_ci_u32_e32 v6, vcc_lo, s7, v6, vcc_lo
	global_load_b32 v3, v[5:6], off
	v_subrev_nc_u32_e32 v6, 17, v4
	v_mov_b32_e32 v5, v7
	s_delay_alu instid0(VALU_DEP_2) | instskip(SKIP_2) | instid1(VALU_DEP_2)
	v_lshlrev_b64 v[24:25], 3, v[6:7]
	v_add_nc_u32_e32 v6, -10, v4
	v_lshlrev_b64 v[22:23], 3, v[22:23]
	v_lshlrev_b64 v[28:29], 3, v[6:7]
	v_add_nc_u32_e32 v6, -4, v4
	v_add_co_u32 v24, vcc_lo, s8, v24
	v_add_co_ci_u32_e32 v25, vcc_lo, s9, v25, vcc_lo
	v_lshlrev_b64 v[26:27], 3, v[4:5]
	v_add_co_u32 v30, vcc_lo, s8, v20
	v_add_co_ci_u32_e32 v31, vcc_lo, s9, v21, vcc_lo
	v_add_co_u32 v34, vcc_lo, s8, v22
	v_add_co_ci_u32_e32 v35, vcc_lo, s9, v23, vcc_lo
	;; [unrolled: 2-line block ×3, first 2 shown]
	v_lshlrev_b64 v[36:37], 3, v[6:7]
	global_load_b128 v[20:23], v[24:25], off
	v_add_nc_u32_e32 v6, -15, v4
	v_add_co_u32 v24, vcc_lo, s8, v28
	v_add_co_ci_u32_e32 v25, vcc_lo, s9, v29, vcc_lo
	s_delay_alu instid0(VALU_DEP_3)
	v_lshlrev_b64 v[5:6], 3, v[6:7]
	s_clause 0x3
	global_load_b64 v[38:39], v[26:27], off
	global_load_b64 v[40:41], v[30:31], off
	global_load_b64 v[42:43], v[34:35], off
	global_load_b64 v[44:45], v[24:25], off
	v_add_co_u32 v24, vcc_lo, s8, v36
	v_add_co_ci_u32_e32 v25, vcc_lo, s9, v37, vcc_lo
	v_add_co_u32 v5, vcc_lo, s8, v5
	v_add_co_ci_u32_e32 v6, vcc_lo, s9, v6, vcc_lo
	s_clause 0x1
	global_load_b64 v[36:37], v[24:25], off
	global_load_b64 v[46:47], v[5:6], off
	s_waitcnt vmcnt(7)
	v_subrev_nc_u32_e32 v3, s12, v3
	s_delay_alu instid0(VALU_DEP_1) | instskip(NEXT) | instid1(VALU_DEP_1)
	v_mul_lo_u32 v32, v3, 6
	v_lshlrev_b64 v[24:25], 3, v[32:33]
	s_delay_alu instid0(VALU_DEP_1) | instskip(NEXT) | instid1(VALU_DEP_2)
	v_add_co_u32 v24, vcc_lo, s10, v24
	v_add_co_ci_u32_e32 v25, vcc_lo, s11, v25, vcc_lo
	global_load_b128 v[24:27], v[24:25], off
	v_add_nc_u32_e32 v6, 2, v32
	s_delay_alu instid0(VALU_DEP_1) | instskip(SKIP_1) | instid1(VALU_DEP_1)
	v_lshlrev_b64 v[28:29], 3, v[6:7]
	v_add_nc_u32_e32 v6, -9, v4
	v_lshlrev_b64 v[30:31], 3, v[6:7]
	s_delay_alu instid0(VALU_DEP_3) | instskip(NEXT) | instid1(VALU_DEP_4)
	v_add_co_u32 v28, vcc_lo, s10, v28
	v_add_co_ci_u32_e32 v29, vcc_lo, s11, v29, vcc_lo
	s_delay_alu instid0(VALU_DEP_3) | instskip(NEXT) | instid1(VALU_DEP_4)
	v_add_co_u32 v48, vcc_lo, s8, v30
	v_add_co_ci_u32_e32 v49, vcc_lo, s9, v31, vcc_lo
	global_load_b128 v[28:31], v[28:29], off
	v_add_nc_u32_e32 v2, 4, v2
	global_load_b64 v[48:49], v[48:49], off
	s_waitcnt vmcnt(2)
	v_fmac_f32_e32 v14, v43, v24
	v_fmac_f32_e32 v13, v21, v24
	;; [unrolled: 1-line block ×4, first 2 shown]
	s_delay_alu instid0(VALU_DEP_4) | instskip(NEXT) | instid1(VALU_DEP_4)
	v_fmac_f32_e32 v14, v42, v25
	v_dual_fmac_f32 v13, v20, v25 :: v_dual_add_nc_u32 v6, -3, v4
	v_fmac_f32_e32 v19, v40, v24
	v_fma_f32 v3, -v21, v25, v17
	s_delay_alu instid0(VALU_DEP_4) | instskip(NEXT) | instid1(VALU_DEP_4)
	v_fmac_f32_e32 v14, v37, v26
	v_fmac_f32_e32 v13, v23, v26
	v_lshlrev_b64 v[33:34], 3, v[6:7]
	v_fma_f32 v8, -v41, v25, v19
	v_fmac_f32_e32 v15, v41, v24
	v_fma_f32 v17, -v43, v25, v18
	v_fmac_f32_e32 v3, v22, v26
	s_delay_alu instid0(VALU_DEP_4)
	v_dual_fmac_f32 v13, v22, v27 :: v_dual_fmac_f32 v8, v44, v26
	v_add_co_u32 v33, vcc_lo, s8, v33
	v_add_co_ci_u32_e32 v34, vcc_lo, s9, v34, vcc_lo
	v_dual_fmac_f32 v15, v40, v25 :: v_dual_add_nc_u32 v6, -14, v4
	v_fmac_f32_e32 v17, v36, v26
	global_load_b64 v[54:55], v[33:34], off
	v_fma_f32 v3, -v23, v27, v3
	v_fmac_f32_e32 v15, v45, v26
	v_lshlrev_b64 v[50:51], 3, v[6:7]
	v_add_nc_u32_e32 v6, -8, v4
	s_waitcnt vmcnt(2)
	v_dual_fmac_f32 v14, v36, v27 :: v_dual_fmac_f32 v3, v46, v28
	v_fma_f32 v17, -v37, v27, v17
	v_fma_f32 v8, -v45, v27, v8
	v_lshlrev_b64 v[52:53], 3, v[6:7]
	v_add_co_u32 v50, vcc_lo, s8, v50
	v_add_co_ci_u32_e32 v51, vcc_lo, s9, v51, vcc_lo
	v_add_nc_u32_e32 v6, -2, v4
	s_delay_alu instid0(VALU_DEP_4)
	v_add_co_u32 v52, vcc_lo, s8, v52
	global_load_b64 v[50:51], v[50:51], off
	v_add_co_ci_u32_e32 v53, vcc_lo, s9, v53, vcc_lo
	v_fmac_f32_e32 v15, v44, v27
	v_fma_f32 v3, -v47, v29, v3
	global_load_b64 v[52:53], v[52:53], off
	v_lshlrev_b64 v[33:34], 3, v[6:7]
	v_add_nc_u32_e32 v6, -13, v4
	s_delay_alu instid0(VALU_DEP_1) | instskip(SKIP_2) | instid1(VALU_DEP_1)
	v_lshlrev_b64 v[56:57], 3, v[6:7]
	s_waitcnt vmcnt(2)
	v_fmac_f32_e32 v14, v55, v28
	v_dual_fmac_f32 v13, v47, v28 :: v_dual_fmac_f32 v14, v54, v29
	s_delay_alu instid0(VALU_DEP_1) | instskip(SKIP_2) | instid1(VALU_DEP_3)
	v_dual_fmac_f32 v13, v46, v29 :: v_dual_add_nc_u32 v6, 4, v32
	v_add_co_u32 v32, vcc_lo, s8, v33
	v_add_co_ci_u32_e32 v33, vcc_lo, s9, v34, vcc_lo
	v_lshlrev_b64 v[34:35], 3, v[6:7]
	global_load_b64 v[58:59], v[32:33], off
	v_fmac_f32_e32 v15, v49, v28
	v_add_nc_u32_e32 v6, -7, v4
	v_add_co_u32 v32, vcc_lo, s8, v56
	v_add_co_ci_u32_e32 v33, vcc_lo, s9, v57, vcc_lo
	s_delay_alu instid0(VALU_DEP_4) | instskip(NEXT) | instid1(VALU_DEP_4)
	v_fmac_f32_e32 v15, v48, v29
	v_lshlrev_b64 v[56:57], 3, v[6:7]
	v_add_co_u32 v34, vcc_lo, s10, v34
	v_add_co_ci_u32_e32 v35, vcc_lo, s11, v35, vcc_lo
	v_fmac_f32_e32 v17, v54, v28
	s_delay_alu instid0(VALU_DEP_4)
	v_add_co_u32 v56, vcc_lo, s8, v56
	v_add_co_ci_u32_e32 v57, vcc_lo, s9, v57, vcc_lo
	s_waitcnt vmcnt(1)
	v_fmac_f32_e32 v15, v53, v30
	global_load_b64 v[56:57], v[56:57], off
	v_dual_fmac_f32 v15, v52, v31 :: v_dual_add_nc_u32 v6, -1, v4
	s_delay_alu instid0(VALU_DEP_1) | instskip(NEXT) | instid1(VALU_DEP_1)
	v_lshlrev_b64 v[62:63], 3, v[6:7]
	v_add_co_u32 v62, vcc_lo, s8, v62
	s_delay_alu instid0(VALU_DEP_2)
	v_add_co_ci_u32_e32 v63, vcc_lo, s9, v63, vcc_lo
	s_clause 0x1
	global_load_b64 v[62:63], v[62:63], off
	global_load_b64 v[60:61], v[32:33], off
	v_dual_fmac_f32 v3, v50, v30 :: v_dual_add_nc_u32 v6, -12, v4
	v_fmac_f32_e32 v13, v51, v30
	global_load_b128 v[32:35], v[34:35], off
	v_fma_f32 v3, -v51, v31, v3
	v_lshlrev_b64 v[64:65], 3, v[6:7]
	v_dual_fmac_f32 v13, v50, v31 :: v_dual_add_nc_u32 v6, -6, v4
	s_delay_alu instid0(VALU_DEP_1) | instskip(NEXT) | instid1(VALU_DEP_3)
	v_lshlrev_b64 v[5:6], 3, v[6:7]
	v_add_co_u32 v64, vcc_lo, s8, v64
	s_delay_alu instid0(VALU_DEP_4) | instskip(NEXT) | instid1(VALU_DEP_3)
	v_add_co_ci_u32_e32 v65, vcc_lo, s9, v65, vcc_lo
	v_add_co_u32 v5, vcc_lo, s8, v5
	s_delay_alu instid0(VALU_DEP_4)
	v_add_co_ci_u32_e32 v6, vcc_lo, s9, v6, vcc_lo
	s_clause 0x1
	global_load_b64 v[64:65], v[64:65], off
	global_load_b64 v[5:6], v[5:6], off
	v_cmp_ge_i32_e32 vcc_lo, v2, v16
	s_or_b32 s2, vcc_lo, s2
	s_waitcnt vmcnt(6)
	v_fmac_f32_e32 v14, v59, v30
	v_fma_f32 v17, -v55, v29, v17
	v_add_nc_u32_e32 v4, 0x48, v4
	s_delay_alu instid0(VALU_DEP_3) | instskip(NEXT) | instid1(VALU_DEP_3)
	v_fmac_f32_e32 v14, v58, v31
	v_fmac_f32_e32 v17, v58, v30
	s_delay_alu instid0(VALU_DEP_1) | instskip(SKIP_2) | instid1(VALU_DEP_2)
	v_fma_f32 v17, -v59, v31, v17
	s_waitcnt vmcnt(2)
	v_fmac_f32_e32 v3, v60, v32
	v_fmac_f32_e32 v17, v62, v32
	s_delay_alu instid0(VALU_DEP_2) | instskip(NEXT) | instid1(VALU_DEP_2)
	v_fma_f32 v3, -v61, v33, v3
	v_fma_f32 v18, -v63, v33, v17
	s_delay_alu instid0(VALU_DEP_1) | instskip(NEXT) | instid1(VALU_DEP_1)
	v_dual_fmac_f32 v15, v57, v32 :: v_dual_fmac_f32 v18, v38, v34
	v_dual_fmac_f32 v14, v63, v32 :: v_dual_fmac_f32 v15, v56, v33
	v_fmac_f32_e32 v13, v61, v32
	s_delay_alu instid0(VALU_DEP_3) | instskip(NEXT) | instid1(VALU_DEP_3)
	v_fma_f32 v18, -v39, v35, v18
	v_fmac_f32_e32 v14, v62, v33
	s_delay_alu instid0(VALU_DEP_3) | instskip(SKIP_2) | instid1(VALU_DEP_2)
	v_fmac_f32_e32 v13, v60, v33
	s_waitcnt vmcnt(0)
	v_dual_fmac_f32 v8, v48, v28 :: v_dual_fmac_f32 v15, v6, v34
	v_fmac_f32_e32 v13, v65, v34
	s_delay_alu instid0(VALU_DEP_2) | instskip(NEXT) | instid1(VALU_DEP_3)
	v_fma_f32 v8, -v49, v29, v8
	v_dual_fmac_f32 v14, v39, v34 :: v_dual_fmac_f32 v15, v5, v35
	s_delay_alu instid0(VALU_DEP_3) | instskip(NEXT) | instid1(VALU_DEP_3)
	v_fmac_f32_e32 v13, v64, v35
	v_fmac_f32_e32 v8, v52, v30
	s_delay_alu instid0(VALU_DEP_3) | instskip(NEXT) | instid1(VALU_DEP_2)
	v_dual_fmac_f32 v3, v64, v34 :: v_dual_fmac_f32 v14, v38, v35
	v_fma_f32 v8, -v53, v31, v8
	s_delay_alu instid0(VALU_DEP_2) | instskip(NEXT) | instid1(VALU_DEP_2)
	v_fma_f32 v17, -v65, v35, v3
	v_fmac_f32_e32 v8, v56, v32
	s_delay_alu instid0(VALU_DEP_1) | instskip(NEXT) | instid1(VALU_DEP_1)
	v_fma_f32 v8, -v57, v33, v8
	v_fmac_f32_e32 v8, v5, v34
	s_delay_alu instid0(VALU_DEP_1)
	v_fma_f32 v19, -v6, v35, v8
	s_and_not1_b32 exec_lo, exec_lo, s2
	s_cbranch_execnz .LBB94_21
; %bb.22:
	s_or_b32 exec_lo, exec_lo, s2
.LBB94_23:
	s_delay_alu instid0(SALU_CYCLE_1)
	s_or_b32 exec_lo, exec_lo, s3
.LBB94_24:
	v_mbcnt_lo_u32_b32 v2, -1, 0
	s_delay_alu instid0(VALU_DEP_1) | instskip(NEXT) | instid1(VALU_DEP_1)
	v_xor_b32_e32 v3, 2, v2
	v_cmp_gt_i32_e32 vcc_lo, 32, v3
	v_cndmask_b32_e32 v3, v2, v3, vcc_lo
	s_delay_alu instid0(VALU_DEP_1)
	v_lshlrev_b32_e32 v3, 2, v3
	ds_bpermute_b32 v8, v3, v15
	s_waitcnt lgkmcnt(0)
	v_add_f32_e32 v8, v15, v8
	ds_bpermute_b32 v4, v3, v17
	ds_bpermute_b32 v5, v3, v13
	;; [unrolled: 1-line block ×5, first 2 shown]
	v_xor_b32_e32 v3, 1, v2
	s_delay_alu instid0(VALU_DEP_1) | instskip(SKIP_4) | instid1(VALU_DEP_3)
	v_cmp_gt_i32_e32 vcc_lo, 32, v3
	v_cndmask_b32_e32 v2, v2, v3, vcc_lo
	v_cmp_eq_u32_e32 vcc_lo, 3, v0
	s_waitcnt lgkmcnt(3)
	v_add_f32_e32 v5, v13, v5
	v_dual_add_f32 v2, v17, v4 :: v_dual_lshlrev_b32 v21, 2, v2
	s_waitcnt lgkmcnt(0)
	v_dual_add_f32 v4, v14, v20 :: v_dual_add_f32 v7, v19, v6
	v_add_f32_e32 v3, v18, v16
	ds_bpermute_b32 v15, v21, v5
	ds_bpermute_b32 v6, v21, v2
	;; [unrolled: 1-line block ×6, first 2 shown]
	s_and_b32 exec_lo, exec_lo, vcc_lo
	s_cbranch_execz .LBB94_29
; %bb.25:
	s_load_b64 s[2:3], s[0:1], 0x38
	v_cmp_eq_f32_e32 vcc_lo, 0, v11
	v_cmp_eq_f32_e64 s0, 0, v12
	s_waitcnt lgkmcnt(0)
	v_add_f32_e32 v0, v2, v6
	v_dual_add_f32 v6, v5, v15 :: v_dual_add_f32 v3, v3, v13
	v_dual_add_f32 v2, v7, v16 :: v_dual_add_f32 v5, v8, v17
	v_add_f32_e32 v4, v4, v14
	s_and_b32 s0, vcc_lo, s0
	s_delay_alu instid0(SALU_CYCLE_1) | instskip(NEXT) | instid1(SALU_CYCLE_1)
	s_and_saveexec_b32 s1, s0
	s_xor_b32 s0, exec_lo, s1
	s_cbranch_execz .LBB94_27
; %bb.26:
	v_lshl_add_u32 v7, v1, 1, v1
	v_mul_f32_e64 v11, v6, -v10
	v_mul_f32_e32 v12, v6, v9
	v_mul_f32_e64 v13, v5, -v10
	v_mul_f32_e32 v14, v5, v9
	v_ashrrev_i32_e32 v8, 31, v7
	v_fmac_f32_e32 v11, v9, v0
	v_mul_f32_e64 v5, v4, -v10
	v_dual_mul_f32 v6, v4, v9 :: v_dual_fmac_f32 v13, v9, v2
	s_delay_alu instid0(VALU_DEP_4) | instskip(NEXT) | instid1(VALU_DEP_3)
	v_lshlrev_b64 v[7:8], 3, v[7:8]
	v_dual_fmac_f32 v12, v10, v0 :: v_dual_fmac_f32 v5, v9, v3
	v_fmac_f32_e32 v14, v10, v2
	s_delay_alu instid0(VALU_DEP_4) | instskip(NEXT) | instid1(VALU_DEP_4)
	v_fmac_f32_e32 v6, v10, v3
                                        ; implicit-def: $vgpr9
                                        ; implicit-def: $vgpr10
                                        ; implicit-def: $vgpr2
                                        ; implicit-def: $vgpr3
                                        ; implicit-def: $vgpr4
	v_add_co_u32 v0, vcc_lo, s2, v7
	v_add_co_ci_u32_e32 v1, vcc_lo, s3, v8, vcc_lo
	s_clause 0x1
	global_store_b128 v[0:1], v[11:14], off
	global_store_b64 v[0:1], v[5:6], off offset:16
                                        ; implicit-def: $vgpr11
                                        ; implicit-def: $vgpr12
                                        ; implicit-def: $vgpr1
                                        ; implicit-def: $vgpr0
                                        ; implicit-def: $vgpr6
                                        ; implicit-def: $vgpr5
.LBB94_27:
	s_and_not1_saveexec_b32 s0, s0
	s_cbranch_execz .LBB94_29
; %bb.28:
	v_lshl_add_u32 v7, v1, 1, v1
	v_mul_f32_e64 v21, v5, -v10
	v_mul_f32_e64 v22, v4, -v10
	s_delay_alu instid0(VALU_DEP_3) | instskip(NEXT) | instid1(VALU_DEP_1)
	v_ashrrev_i32_e32 v8, 31, v7
	v_lshlrev_b64 v[7:8], 3, v[7:8]
	s_delay_alu instid0(VALU_DEP_1) | instskip(NEXT) | instid1(VALU_DEP_2)
	v_add_co_u32 v17, vcc_lo, s2, v7
	v_add_co_ci_u32_e32 v18, vcc_lo, s3, v8, vcc_lo
	v_mul_f32_e64 v7, v6, -v10
	v_mul_f32_e32 v6, v6, v9
	s_clause 0x1
	global_load_b128 v[13:16], v[17:18], off
	global_load_b64 v[19:20], v[17:18], off offset:16
	v_fmac_f32_e32 v7, v9, v0
	v_dual_mul_f32 v1, v4, v9 :: v_dual_fmac_f32 v6, v10, v0
	v_mul_f32_e32 v8, v5, v9
	v_fmac_f32_e32 v21, v9, v2
	s_delay_alu instid0(VALU_DEP_3) | instskip(SKIP_1) | instid1(VALU_DEP_3)
	v_fmac_f32_e32 v1, v10, v3
	s_waitcnt vmcnt(1)
	v_dual_fmac_f32 v8, v10, v2 :: v_dual_fmac_f32 v7, v11, v13
	v_fmac_f32_e32 v6, v12, v13
	s_waitcnt vmcnt(0)
	v_fmac_f32_e32 v1, v12, v19
	v_fmac_f32_e32 v21, v11, v15
	;; [unrolled: 1-line block ×3, first 2 shown]
	v_fma_f32 v5, -v12, v14, v7
	v_fmac_f32_e32 v6, v11, v14
	v_dual_fmac_f32 v22, v9, v3 :: v_dual_fmac_f32 v1, v11, v20
	v_fma_f32 v7, -v12, v16, v21
	v_fmac_f32_e32 v8, v11, v16
	s_delay_alu instid0(VALU_DEP_3) | instskip(NEXT) | instid1(VALU_DEP_1)
	v_fmac_f32_e32 v22, v11, v19
	v_fma_f32 v0, -v12, v20, v22
	s_clause 0x1
	global_store_b128 v[17:18], v[5:8], off
	global_store_b64 v[17:18], v[0:1], off offset:16
.LBB94_29:
	s_nop 0
	s_sendmsg sendmsg(MSG_DEALLOC_VGPRS)
	s_endpgm
	.section	.rodata,"a",@progbits
	.p2align	6, 0x0
	.amdhsa_kernel _ZN9rocsparseL19gebsrmvn_3xn_kernelILj128ELj6ELj4E21rocsparse_complex_numIfEEEvi20rocsparse_direction_NS_24const_host_device_scalarIT2_EEPKiS8_PKS5_SA_S6_PS5_21rocsparse_index_base_b
		.amdhsa_group_segment_fixed_size 0
		.amdhsa_private_segment_fixed_size 0
		.amdhsa_kernarg_size 72
		.amdhsa_user_sgpr_count 15
		.amdhsa_user_sgpr_dispatch_ptr 0
		.amdhsa_user_sgpr_queue_ptr 0
		.amdhsa_user_sgpr_kernarg_segment_ptr 1
		.amdhsa_user_sgpr_dispatch_id 0
		.amdhsa_user_sgpr_private_segment_size 0
		.amdhsa_wavefront_size32 1
		.amdhsa_uses_dynamic_stack 0
		.amdhsa_enable_private_segment 0
		.amdhsa_system_sgpr_workgroup_id_x 1
		.amdhsa_system_sgpr_workgroup_id_y 0
		.amdhsa_system_sgpr_workgroup_id_z 0
		.amdhsa_system_sgpr_workgroup_info 0
		.amdhsa_system_vgpr_workitem_id 0
		.amdhsa_next_free_vgpr 66
		.amdhsa_next_free_sgpr 16
		.amdhsa_reserve_vcc 1
		.amdhsa_float_round_mode_32 0
		.amdhsa_float_round_mode_16_64 0
		.amdhsa_float_denorm_mode_32 3
		.amdhsa_float_denorm_mode_16_64 3
		.amdhsa_dx10_clamp 1
		.amdhsa_ieee_mode 1
		.amdhsa_fp16_overflow 0
		.amdhsa_workgroup_processor_mode 1
		.amdhsa_memory_ordered 1
		.amdhsa_forward_progress 0
		.amdhsa_shared_vgpr_count 0
		.amdhsa_exception_fp_ieee_invalid_op 0
		.amdhsa_exception_fp_denorm_src 0
		.amdhsa_exception_fp_ieee_div_zero 0
		.amdhsa_exception_fp_ieee_overflow 0
		.amdhsa_exception_fp_ieee_underflow 0
		.amdhsa_exception_fp_ieee_inexact 0
		.amdhsa_exception_int_div_zero 0
	.end_amdhsa_kernel
	.section	.text._ZN9rocsparseL19gebsrmvn_3xn_kernelILj128ELj6ELj4E21rocsparse_complex_numIfEEEvi20rocsparse_direction_NS_24const_host_device_scalarIT2_EEPKiS8_PKS5_SA_S6_PS5_21rocsparse_index_base_b,"axG",@progbits,_ZN9rocsparseL19gebsrmvn_3xn_kernelILj128ELj6ELj4E21rocsparse_complex_numIfEEEvi20rocsparse_direction_NS_24const_host_device_scalarIT2_EEPKiS8_PKS5_SA_S6_PS5_21rocsparse_index_base_b,comdat
.Lfunc_end94:
	.size	_ZN9rocsparseL19gebsrmvn_3xn_kernelILj128ELj6ELj4E21rocsparse_complex_numIfEEEvi20rocsparse_direction_NS_24const_host_device_scalarIT2_EEPKiS8_PKS5_SA_S6_PS5_21rocsparse_index_base_b, .Lfunc_end94-_ZN9rocsparseL19gebsrmvn_3xn_kernelILj128ELj6ELj4E21rocsparse_complex_numIfEEEvi20rocsparse_direction_NS_24const_host_device_scalarIT2_EEPKiS8_PKS5_SA_S6_PS5_21rocsparse_index_base_b
                                        ; -- End function
	.section	.AMDGPU.csdata,"",@progbits
; Kernel info:
; codeLenInByte = 3792
; NumSgprs: 18
; NumVgprs: 66
; ScratchSize: 0
; MemoryBound: 0
; FloatMode: 240
; IeeeMode: 1
; LDSByteSize: 0 bytes/workgroup (compile time only)
; SGPRBlocks: 2
; VGPRBlocks: 8
; NumSGPRsForWavesPerEU: 18
; NumVGPRsForWavesPerEU: 66
; Occupancy: 16
; WaveLimiterHint : 1
; COMPUTE_PGM_RSRC2:SCRATCH_EN: 0
; COMPUTE_PGM_RSRC2:USER_SGPR: 15
; COMPUTE_PGM_RSRC2:TRAP_HANDLER: 0
; COMPUTE_PGM_RSRC2:TGID_X_EN: 1
; COMPUTE_PGM_RSRC2:TGID_Y_EN: 0
; COMPUTE_PGM_RSRC2:TGID_Z_EN: 0
; COMPUTE_PGM_RSRC2:TIDIG_COMP_CNT: 0
	.section	.text._ZN9rocsparseL19gebsrmvn_3xn_kernelILj128ELj6ELj8E21rocsparse_complex_numIfEEEvi20rocsparse_direction_NS_24const_host_device_scalarIT2_EEPKiS8_PKS5_SA_S6_PS5_21rocsparse_index_base_b,"axG",@progbits,_ZN9rocsparseL19gebsrmvn_3xn_kernelILj128ELj6ELj8E21rocsparse_complex_numIfEEEvi20rocsparse_direction_NS_24const_host_device_scalarIT2_EEPKiS8_PKS5_SA_S6_PS5_21rocsparse_index_base_b,comdat
	.globl	_ZN9rocsparseL19gebsrmvn_3xn_kernelILj128ELj6ELj8E21rocsparse_complex_numIfEEEvi20rocsparse_direction_NS_24const_host_device_scalarIT2_EEPKiS8_PKS5_SA_S6_PS5_21rocsparse_index_base_b ; -- Begin function _ZN9rocsparseL19gebsrmvn_3xn_kernelILj128ELj6ELj8E21rocsparse_complex_numIfEEEvi20rocsparse_direction_NS_24const_host_device_scalarIT2_EEPKiS8_PKS5_SA_S6_PS5_21rocsparse_index_base_b
	.p2align	8
	.type	_ZN9rocsparseL19gebsrmvn_3xn_kernelILj128ELj6ELj8E21rocsparse_complex_numIfEEEvi20rocsparse_direction_NS_24const_host_device_scalarIT2_EEPKiS8_PKS5_SA_S6_PS5_21rocsparse_index_base_b,@function
_ZN9rocsparseL19gebsrmvn_3xn_kernelILj128ELj6ELj8E21rocsparse_complex_numIfEEEvi20rocsparse_direction_NS_24const_host_device_scalarIT2_EEPKiS8_PKS5_SA_S6_PS5_21rocsparse_index_base_b: ; @_ZN9rocsparseL19gebsrmvn_3xn_kernelILj128ELj6ELj8E21rocsparse_complex_numIfEEEvi20rocsparse_direction_NS_24const_host_device_scalarIT2_EEPKiS8_PKS5_SA_S6_PS5_21rocsparse_index_base_b
; %bb.0:
	s_clause 0x2
	s_load_b64 s[12:13], s[0:1], 0x40
	s_load_b64 s[4:5], s[0:1], 0x8
	;; [unrolled: 1-line block ×3, first 2 shown]
	s_waitcnt lgkmcnt(0)
	s_bitcmp1_b32 s13, 0
	v_mov_b32_e32 v9, s4
	s_cselect_b32 s6, -1, 0
	s_delay_alu instid0(SALU_CYCLE_1)
	s_and_b32 vcc_lo, exec_lo, s6
	s_xor_b32 s6, s6, -1
	s_cbranch_vccz .LBB95_15
; %bb.1:
	v_cndmask_b32_e64 v1, 0, 1, s6
	v_mov_b32_e32 v10, s5
	s_and_not1_b32 vcc_lo, exec_lo, s6
	s_cbranch_vccz .LBB95_16
.LBB95_2:
	s_delay_alu instid0(VALU_DEP_2)
	v_cmp_ne_u32_e32 vcc_lo, 1, v1
	v_mov_b32_e32 v11, s2
	s_cbranch_vccz .LBB95_17
.LBB95_3:
	v_cmp_ne_u32_e32 vcc_lo, 1, v1
	v_mov_b32_e32 v12, s3
	s_cbranch_vccnz .LBB95_5
.LBB95_4:
	v_dual_mov_b32 v1, s2 :: v_dual_mov_b32 v2, s3
	flat_load_b32 v12, v[1:2] offset:4
.LBB95_5:
	s_waitcnt vmcnt(0) lgkmcnt(0)
	v_cmp_eq_f32_e32 vcc_lo, 0, v9
	v_cmp_eq_f32_e64 s2, 0, v10
	s_delay_alu instid0(VALU_DEP_1)
	s_and_b32 s4, vcc_lo, s2
	s_mov_b32 s2, -1
	s_and_saveexec_b32 s3, s4
; %bb.6:
	v_cmp_neq_f32_e32 vcc_lo, 1.0, v11
	v_cmp_neq_f32_e64 s2, 0, v12
	s_delay_alu instid0(VALU_DEP_1) | instskip(NEXT) | instid1(SALU_CYCLE_1)
	s_or_b32 s2, vcc_lo, s2
	s_or_not1_b32 s2, s2, exec_lo
; %bb.7:
	s_or_b32 exec_lo, exec_lo, s3
	s_and_saveexec_b32 s3, s2
	s_cbranch_execz .LBB95_29
; %bb.8:
	s_load_b64 s[2:3], s[0:1], 0x0
	v_lshrrev_b32_e32 v1, 3, v0
	s_delay_alu instid0(VALU_DEP_1) | instskip(SKIP_1) | instid1(VALU_DEP_1)
	v_lshl_or_b32 v1, s15, 4, v1
	s_waitcnt lgkmcnt(0)
	v_cmp_gt_i32_e32 vcc_lo, s2, v1
	s_and_b32 exec_lo, exec_lo, vcc_lo
	s_cbranch_execz .LBB95_29
; %bb.9:
	s_load_b256 s[4:11], s[0:1], 0x10
	v_ashrrev_i32_e32 v2, 31, v1
	v_and_b32_e32 v0, 7, v0
	s_cmp_lg_u32 s3, 0
	s_delay_alu instid0(VALU_DEP_2) | instskip(SKIP_1) | instid1(VALU_DEP_1)
	v_lshlrev_b64 v[2:3], 2, v[1:2]
	s_waitcnt lgkmcnt(0)
	v_add_co_u32 v2, vcc_lo, s4, v2
	s_delay_alu instid0(VALU_DEP_2) | instskip(SKIP_4) | instid1(VALU_DEP_2)
	v_add_co_ci_u32_e32 v3, vcc_lo, s5, v3, vcc_lo
	global_load_b64 v[2:3], v[2:3], off
	s_waitcnt vmcnt(0)
	v_subrev_nc_u32_e32 v2, s12, v2
	v_subrev_nc_u32_e32 v16, s12, v3
	v_add_nc_u32_e32 v2, v2, v0
	s_delay_alu instid0(VALU_DEP_1)
	v_cmp_lt_i32_e64 s2, v2, v16
	s_cbranch_scc0 .LBB95_18
; %bb.10:
	v_dual_mov_b32 v13, 0 :: v_dual_mov_b32 v18, 0
	v_dual_mov_b32 v17, 0 :: v_dual_mov_b32 v14, 0
	v_mov_b32_e32 v19, 0
	v_mov_b32_e32 v15, 0
	s_mov_b32 s3, 0
	s_and_saveexec_b32 s4, s2
	s_cbranch_execz .LBB95_14
; %bb.11:
	v_mad_u64_u32 v[3:4], null, v2, 18, 17
	v_dual_mov_b32 v6, 0 :: v_dual_mov_b32 v7, v2
	v_dual_mov_b32 v13, 0 :: v_dual_mov_b32 v18, 0
	;; [unrolled: 1-line block ×3, first 2 shown]
	v_mov_b32_e32 v19, 0
	v_mov_b32_e32 v15, 0
	s_mov_b32 s5, 0
.LBB95_12:                              ; =>This Inner Loop Header: Depth=1
	v_ashrrev_i32_e32 v8, 31, v7
	s_delay_alu instid0(VALU_DEP_1) | instskip(NEXT) | instid1(VALU_DEP_1)
	v_lshlrev_b64 v[4:5], 2, v[7:8]
	v_add_co_u32 v4, vcc_lo, s6, v4
	s_delay_alu instid0(VALU_DEP_2) | instskip(SKIP_3) | instid1(VALU_DEP_2)
	v_add_co_ci_u32_e32 v5, vcc_lo, s7, v5, vcc_lo
	global_load_b32 v8, v[4:5], off
	v_subrev_nc_u32_e32 v5, 17, v3
	v_mov_b32_e32 v4, v6
	v_lshlrev_b64 v[20:21], 3, v[5:6]
	v_add_nc_u32_e32 v5, -15, v3
	s_delay_alu instid0(VALU_DEP_3) | instskip(NEXT) | instid1(VALU_DEP_2)
	v_lshlrev_b64 v[22:23], 3, v[3:4]
	v_lshlrev_b64 v[24:25], 3, v[5:6]
	s_delay_alu instid0(VALU_DEP_4) | instskip(SKIP_1) | instid1(VALU_DEP_4)
	v_add_co_u32 v20, vcc_lo, s8, v20
	v_add_co_ci_u32_e32 v21, vcc_lo, s9, v21, vcc_lo
	v_add_co_u32 v26, vcc_lo, s8, v22
	v_add_co_ci_u32_e32 v27, vcc_lo, s9, v23, vcc_lo
	;; [unrolled: 2-line block ×3, first 2 shown]
	s_clause 0x2
	global_load_b128 v[20:23], v[20:21], off
	global_load_b64 v[36:37], v[26:27], off
	global_load_b64 v[38:39], v[24:25], off
	v_add_nc_u32_e32 v5, -14, v3
	v_mov_b32_e32 v33, v6
	s_delay_alu instid0(VALU_DEP_2) | instskip(SKIP_1) | instid1(VALU_DEP_1)
	v_lshlrev_b64 v[28:29], 3, v[5:6]
	v_add_nc_u32_e32 v5, -13, v3
	v_lshlrev_b64 v[26:27], 3, v[5:6]
	s_delay_alu instid0(VALU_DEP_3) | instskip(NEXT) | instid1(VALU_DEP_4)
	v_add_co_u32 v24, vcc_lo, s8, v28
	v_add_co_ci_u32_e32 v25, vcc_lo, s9, v29, vcc_lo
	s_delay_alu instid0(VALU_DEP_3) | instskip(NEXT) | instid1(VALU_DEP_4)
	v_add_co_u32 v26, vcc_lo, s8, v26
	v_add_co_ci_u32_e32 v27, vcc_lo, s9, v27, vcc_lo
	s_clause 0x1
	global_load_b64 v[40:41], v[24:25], off
	global_load_b64 v[42:43], v[26:27], off
	v_add_nc_u32_e32 v5, -12, v3
	s_delay_alu instid0(VALU_DEP_1) | instskip(SKIP_1) | instid1(VALU_DEP_1)
	v_lshlrev_b64 v[28:29], 3, v[5:6]
	v_add_nc_u32_e32 v5, -11, v3
	v_lshlrev_b64 v[4:5], 3, v[5:6]
	s_delay_alu instid0(VALU_DEP_3) | instskip(NEXT) | instid1(VALU_DEP_4)
	v_add_co_u32 v24, vcc_lo, s8, v28
	v_add_co_ci_u32_e32 v25, vcc_lo, s9, v29, vcc_lo
	s_delay_alu instid0(VALU_DEP_3) | instskip(NEXT) | instid1(VALU_DEP_4)
	v_add_co_u32 v4, vcc_lo, s8, v4
	v_add_co_ci_u32_e32 v5, vcc_lo, s9, v5, vcc_lo
	s_clause 0x1
	global_load_b64 v[44:45], v[24:25], off
	global_load_b64 v[46:47], v[4:5], off
	s_waitcnt vmcnt(7)
	v_subrev_nc_u32_e32 v4, s12, v8
	s_delay_alu instid0(VALU_DEP_1) | instskip(NEXT) | instid1(VALU_DEP_1)
	v_mul_lo_u32 v32, v4, 6
	v_lshlrev_b64 v[24:25], 3, v[32:33]
	s_delay_alu instid0(VALU_DEP_1) | instskip(NEXT) | instid1(VALU_DEP_2)
	v_add_co_u32 v24, vcc_lo, s10, v24
	v_add_co_ci_u32_e32 v25, vcc_lo, s11, v25, vcc_lo
	global_load_b128 v[24:27], v[24:25], off
	v_add_nc_u32_e32 v5, 2, v32
	s_delay_alu instid0(VALU_DEP_1) | instskip(SKIP_1) | instid1(VALU_DEP_1)
	v_lshlrev_b64 v[28:29], 3, v[5:6]
	v_add_nc_u32_e32 v5, -10, v3
	v_lshlrev_b64 v[30:31], 3, v[5:6]
	s_delay_alu instid0(VALU_DEP_3) | instskip(NEXT) | instid1(VALU_DEP_4)
	v_add_co_u32 v28, vcc_lo, s10, v28
	v_add_co_ci_u32_e32 v29, vcc_lo, s11, v29, vcc_lo
	s_delay_alu instid0(VALU_DEP_3) | instskip(NEXT) | instid1(VALU_DEP_4)
	v_add_co_u32 v48, vcc_lo, s8, v30
	v_add_co_ci_u32_e32 v49, vcc_lo, s9, v31, vcc_lo
	global_load_b128 v[28:31], v[28:29], off
	global_load_b64 v[48:49], v[48:49], off
	s_waitcnt vmcnt(2)
	v_fmac_f32_e32 v18, v38, v24
	v_fmac_f32_e32 v14, v39, v24
	;; [unrolled: 1-line block ×3, first 2 shown]
	s_delay_alu instid0(VALU_DEP_3) | instskip(NEXT) | instid1(VALU_DEP_3)
	v_fma_f32 v18, -v39, v25, v18
	v_fmac_f32_e32 v14, v38, v25
	s_delay_alu instid0(VALU_DEP_3) | instskip(NEXT) | instid1(VALU_DEP_3)
	v_fma_f32 v8, -v21, v25, v17
	v_fmac_f32_e32 v18, v44, v26
	s_delay_alu instid0(VALU_DEP_3) | instskip(NEXT) | instid1(VALU_DEP_3)
	v_fmac_f32_e32 v14, v45, v26
	v_dual_fmac_f32 v13, v21, v24 :: v_dual_fmac_f32 v8, v40, v26
	s_delay_alu instid0(VALU_DEP_3) | instskip(NEXT) | instid1(VALU_DEP_3)
	v_fma_f32 v18, -v45, v27, v18
	v_fmac_f32_e32 v14, v44, v27
	v_add_nc_u32_e32 v5, -9, v3
	s_delay_alu instid0(VALU_DEP_4) | instskip(SKIP_1) | instid1(VALU_DEP_3)
	v_fma_f32 v8, -v41, v27, v8
	v_fmac_f32_e32 v13, v20, v25
	v_lshlrev_b64 v[33:34], 3, v[5:6]
	s_waitcnt vmcnt(1)
	s_delay_alu instid0(VALU_DEP_2) | instskip(NEXT) | instid1(VALU_DEP_1)
	v_dual_fmac_f32 v8, v46, v28 :: v_dual_fmac_f32 v13, v41, v26
	v_fma_f32 v8, -v47, v29, v8
	s_delay_alu instid0(VALU_DEP_3) | instskip(NEXT) | instid1(VALU_DEP_4)
	v_add_co_u32 v33, vcc_lo, s8, v33
	v_add_co_ci_u32_e32 v34, vcc_lo, s9, v34, vcc_lo
	s_delay_alu instid0(VALU_DEP_4) | instskip(SKIP_3) | instid1(VALU_DEP_2)
	v_fmac_f32_e32 v13, v40, v27
	global_load_b64 v[54:55], v[33:34], off
	v_add_nc_u32_e32 v5, -8, v3
	v_fmac_f32_e32 v13, v47, v28
	v_lshlrev_b64 v[50:51], 3, v[5:6]
	v_add_nc_u32_e32 v5, -7, v3
	s_delay_alu instid0(VALU_DEP_3) | instskip(NEXT) | instid1(VALU_DEP_2)
	v_fmac_f32_e32 v13, v46, v29
	v_lshlrev_b64 v[52:53], 3, v[5:6]
	s_delay_alu instid0(VALU_DEP_4) | instskip(SKIP_1) | instid1(VALU_DEP_3)
	v_add_co_u32 v50, vcc_lo, s8, v50
	v_add_co_ci_u32_e32 v51, vcc_lo, s9, v51, vcc_lo
	v_add_co_u32 v52, vcc_lo, s8, v52
	s_delay_alu instid0(VALU_DEP_4)
	v_add_co_ci_u32_e32 v53, vcc_lo, s9, v53, vcc_lo
	global_load_b64 v[50:51], v[50:51], off
	v_add_nc_u32_e32 v5, -6, v3
	global_load_b64 v[52:53], v[52:53], off
	v_lshlrev_b64 v[33:34], 3, v[5:6]
	s_waitcnt vmcnt(2)
	v_fmac_f32_e32 v18, v54, v28
	v_fmac_f32_e32 v14, v55, v28
	s_delay_alu instid0(VALU_DEP_2) | instskip(NEXT) | instid1(VALU_DEP_2)
	v_fma_f32 v18, -v55, v29, v18
	v_dual_fmac_f32 v14, v54, v29 :: v_dual_add_nc_u32 v5, -5, v3
	s_delay_alu instid0(VALU_DEP_1)
	v_lshlrev_b64 v[56:57], 3, v[5:6]
	v_add_nc_u32_e32 v5, 4, v32
	v_add_co_u32 v32, vcc_lo, s8, v33
	v_add_co_ci_u32_e32 v33, vcc_lo, s9, v34, vcc_lo
	global_load_b64 v[58:59], v[32:33], off
	v_add_co_u32 v32, vcc_lo, s8, v56
	v_add_co_ci_u32_e32 v33, vcc_lo, s9, v57, vcc_lo
	s_waitcnt vmcnt(0)
	v_fmac_f32_e32 v14, v59, v30
	v_lshlrev_b64 v[34:35], 3, v[5:6]
	v_dual_fmac_f32 v18, v58, v30 :: v_dual_add_nc_u32 v5, -4, v3
	s_delay_alu instid0(VALU_DEP_3) | instskip(NEXT) | instid1(VALU_DEP_2)
	v_fmac_f32_e32 v14, v58, v31
	v_lshlrev_b64 v[56:57], 3, v[5:6]
	s_delay_alu instid0(VALU_DEP_3) | instskip(SKIP_3) | instid1(VALU_DEP_3)
	v_fma_f32 v18, -v59, v31, v18
	v_add_nc_u32_e32 v5, -3, v3
	v_add_co_u32 v34, vcc_lo, s10, v34
	v_add_co_ci_u32_e32 v35, vcc_lo, s11, v35, vcc_lo
	v_lshlrev_b64 v[62:63], 3, v[5:6]
	v_add_co_u32 v56, vcc_lo, s8, v56
	v_add_co_ci_u32_e32 v57, vcc_lo, s9, v57, vcc_lo
	s_delay_alu instid0(VALU_DEP_3) | instskip(NEXT) | instid1(VALU_DEP_4)
	v_add_co_u32 v62, vcc_lo, s8, v62
	v_add_co_ci_u32_e32 v63, vcc_lo, s9, v63, vcc_lo
	s_clause 0x2
	global_load_b64 v[56:57], v[56:57], off
	global_load_b64 v[62:63], v[62:63], off
	;; [unrolled: 1-line block ×3, first 2 shown]
	global_load_b128 v[32:35], v[34:35], off
	v_dual_fmac_f32 v8, v50, v30 :: v_dual_add_nc_u32 v5, -2, v3
	v_fmac_f32_e32 v13, v51, v30
	s_delay_alu instid0(VALU_DEP_2) | instskip(SKIP_1) | instid1(VALU_DEP_2)
	v_fma_f32 v8, -v51, v31, v8
	s_waitcnt vmcnt(0)
	v_dual_fmac_f32 v13, v50, v31 :: v_dual_fmac_f32 v14, v63, v32
	s_delay_alu instid0(VALU_DEP_2) | instskip(SKIP_2) | instid1(VALU_DEP_4)
	v_fmac_f32_e32 v8, v60, v32
	v_lshlrev_b64 v[64:65], 3, v[5:6]
	v_add_nc_u32_e32 v7, 8, v7
	v_dual_fmac_f32 v13, v61, v32 :: v_dual_fmac_f32 v14, v62, v33
	s_delay_alu instid0(VALU_DEP_4) | instskip(SKIP_3) | instid1(VALU_DEP_3)
	v_fma_f32 v8, -v61, v33, v8
	v_add_nc_u32_e32 v5, -1, v3
	v_add_co_u32 v64, vcc_lo, s8, v64
	v_add_co_ci_u32_e32 v65, vcc_lo, s9, v65, vcc_lo
	v_lshlrev_b64 v[4:5], 3, v[5:6]
	v_dual_fmac_f32 v19, v22, v24 :: v_dual_fmac_f32 v14, v37, v34
	v_fmac_f32_e32 v15, v23, v24
	v_dual_fmac_f32 v18, v62, v32 :: v_dual_fmac_f32 v13, v60, v33
	s_delay_alu instid0(VALU_DEP_4) | instskip(NEXT) | instid1(VALU_DEP_4)
	v_add_co_u32 v4, vcc_lo, s8, v4
	v_fmac_f32_e32 v14, v36, v35
	v_add_co_ci_u32_e32 v5, vcc_lo, s9, v5, vcc_lo
	s_clause 0x1
	global_load_b64 v[64:65], v[64:65], off
	global_load_b64 v[4:5], v[4:5], off
	v_fma_f32 v17, -v23, v25, v19
	v_fmac_f32_e32 v15, v22, v25
	v_fma_f32 v18, -v63, v33, v18
	v_add_nc_u32_e32 v3, 0x90, v3
	v_cmp_ge_i32_e32 vcc_lo, v7, v16
	v_fmac_f32_e32 v17, v42, v26
	v_fmac_f32_e32 v15, v43, v26
	;; [unrolled: 1-line block ×3, first 2 shown]
	s_or_b32 s5, vcc_lo, s5
	s_delay_alu instid0(VALU_DEP_3) | instskip(NEXT) | instid1(VALU_DEP_3)
	v_fma_f32 v17, -v43, v27, v17
	v_fmac_f32_e32 v15, v42, v27
	s_delay_alu instid0(VALU_DEP_3) | instskip(NEXT) | instid1(VALU_DEP_3)
	v_fma_f32 v18, -v37, v35, v18
	v_fmac_f32_e32 v17, v48, v28
	s_delay_alu instid0(VALU_DEP_3) | instskip(NEXT) | instid1(VALU_DEP_2)
	v_fmac_f32_e32 v15, v49, v28
	v_fma_f32 v17, -v49, v29, v17
	s_delay_alu instid0(VALU_DEP_2) | instskip(NEXT) | instid1(VALU_DEP_2)
	v_fmac_f32_e32 v15, v48, v29
	v_fmac_f32_e32 v17, v52, v30
	s_delay_alu instid0(VALU_DEP_2) | instskip(NEXT) | instid1(VALU_DEP_2)
	v_fmac_f32_e32 v15, v53, v30
	v_fma_f32 v17, -v53, v31, v17
	s_delay_alu instid0(VALU_DEP_2) | instskip(NEXT) | instid1(VALU_DEP_2)
	v_fmac_f32_e32 v15, v52, v31
	v_fmac_f32_e32 v17, v56, v32
	s_delay_alu instid0(VALU_DEP_2) | instskip(NEXT) | instid1(VALU_DEP_2)
	v_fmac_f32_e32 v15, v57, v32
	v_fma_f32 v19, -v57, v33, v17
	s_delay_alu instid0(VALU_DEP_2)
	v_fmac_f32_e32 v15, v56, v33
	s_waitcnt vmcnt(1)
	v_fmac_f32_e32 v8, v64, v34
	v_fmac_f32_e32 v13, v65, v34
	s_waitcnt vmcnt(0)
	v_fmac_f32_e32 v19, v4, v34
	v_fmac_f32_e32 v15, v5, v34
	v_fma_f32 v17, -v65, v35, v8
	v_fmac_f32_e32 v13, v64, v35
	s_delay_alu instid0(VALU_DEP_4) | instskip(NEXT) | instid1(VALU_DEP_4)
	v_fma_f32 v19, -v5, v35, v19
	v_fmac_f32_e32 v15, v4, v35
	s_and_not1_b32 exec_lo, exec_lo, s5
	s_cbranch_execnz .LBB95_12
; %bb.13:
	s_or_b32 exec_lo, exec_lo, s5
.LBB95_14:
	s_delay_alu instid0(SALU_CYCLE_1) | instskip(NEXT) | instid1(SALU_CYCLE_1)
	s_or_b32 exec_lo, exec_lo, s4
	s_and_not1_b32 vcc_lo, exec_lo, s3
	s_cbranch_vccz .LBB95_19
	s_branch .LBB95_24
.LBB95_15:
	v_dual_mov_b32 v1, s4 :: v_dual_mov_b32 v2, s5
	flat_load_b32 v9, v[1:2]
	v_cndmask_b32_e64 v1, 0, 1, s6
	v_mov_b32_e32 v10, s5
	s_and_not1_b32 vcc_lo, exec_lo, s6
	s_cbranch_vccnz .LBB95_2
.LBB95_16:
	v_dual_mov_b32 v2, s4 :: v_dual_mov_b32 v3, s5
	flat_load_b32 v10, v[2:3] offset:4
	v_cmp_ne_u32_e32 vcc_lo, 1, v1
	v_mov_b32_e32 v11, s2
	s_cbranch_vccnz .LBB95_3
.LBB95_17:
	v_dual_mov_b32 v2, s2 :: v_dual_mov_b32 v3, s3
	flat_load_b32 v11, v[2:3]
	v_cmp_ne_u32_e32 vcc_lo, 1, v1
	v_mov_b32_e32 v12, s3
	s_cbranch_vccz .LBB95_4
	s_branch .LBB95_5
.LBB95_18:
                                        ; implicit-def: $vgpr13
                                        ; implicit-def: $vgpr17
                                        ; implicit-def: $vgpr18
                                        ; implicit-def: $vgpr14
                                        ; implicit-def: $vgpr19
                                        ; implicit-def: $vgpr15
.LBB95_19:
	v_dual_mov_b32 v13, 0 :: v_dual_mov_b32 v18, 0
	v_dual_mov_b32 v17, 0 :: v_dual_mov_b32 v14, 0
	v_mov_b32_e32 v19, 0
	v_mov_b32_e32 v15, 0
	s_and_saveexec_b32 s3, s2
	s_cbranch_execz .LBB95_23
; %bb.20:
	v_mad_u64_u32 v[4:5], null, v2, 18, 17
	v_dual_mov_b32 v7, 0 :: v_dual_mov_b32 v18, 0
	v_dual_mov_b32 v13, 0 :: v_dual_mov_b32 v14, 0
	v_mov_b32_e32 v17, 0
	v_mov_b32_e32 v19, 0
	;; [unrolled: 1-line block ×3, first 2 shown]
	s_mov_b32 s2, 0
.LBB95_21:                              ; =>This Inner Loop Header: Depth=1
	v_ashrrev_i32_e32 v3, 31, v2
	v_dual_mov_b32 v33, v7 :: v_dual_add_nc_u32 v20, -11, v4
	v_dual_mov_b32 v21, v7 :: v_dual_add_nc_u32 v22, -5, v4
	s_delay_alu instid0(VALU_DEP_3) | instskip(SKIP_1) | instid1(VALU_DEP_3)
	v_lshlrev_b64 v[5:6], 2, v[2:3]
	v_mov_b32_e32 v23, v7
	v_lshlrev_b64 v[20:21], 3, v[20:21]
	s_delay_alu instid0(VALU_DEP_3) | instskip(NEXT) | instid1(VALU_DEP_4)
	v_add_co_u32 v5, vcc_lo, s6, v5
	v_add_co_ci_u32_e32 v6, vcc_lo, s7, v6, vcc_lo
	global_load_b32 v3, v[5:6], off
	v_subrev_nc_u32_e32 v6, 17, v4
	v_mov_b32_e32 v5, v7
	s_delay_alu instid0(VALU_DEP_2) | instskip(SKIP_2) | instid1(VALU_DEP_2)
	v_lshlrev_b64 v[24:25], 3, v[6:7]
	v_add_nc_u32_e32 v6, -10, v4
	v_lshlrev_b64 v[22:23], 3, v[22:23]
	v_lshlrev_b64 v[28:29], 3, v[6:7]
	v_add_nc_u32_e32 v6, -4, v4
	v_add_co_u32 v24, vcc_lo, s8, v24
	v_add_co_ci_u32_e32 v25, vcc_lo, s9, v25, vcc_lo
	v_lshlrev_b64 v[26:27], 3, v[4:5]
	v_add_co_u32 v30, vcc_lo, s8, v20
	v_add_co_ci_u32_e32 v31, vcc_lo, s9, v21, vcc_lo
	v_add_co_u32 v34, vcc_lo, s8, v22
	v_add_co_ci_u32_e32 v35, vcc_lo, s9, v23, vcc_lo
	;; [unrolled: 2-line block ×3, first 2 shown]
	v_lshlrev_b64 v[36:37], 3, v[6:7]
	global_load_b128 v[20:23], v[24:25], off
	v_add_nc_u32_e32 v6, -15, v4
	v_add_co_u32 v24, vcc_lo, s8, v28
	v_add_co_ci_u32_e32 v25, vcc_lo, s9, v29, vcc_lo
	s_delay_alu instid0(VALU_DEP_3)
	v_lshlrev_b64 v[5:6], 3, v[6:7]
	s_clause 0x3
	global_load_b64 v[38:39], v[26:27], off
	global_load_b64 v[40:41], v[30:31], off
	;; [unrolled: 1-line block ×4, first 2 shown]
	v_add_co_u32 v24, vcc_lo, s8, v36
	v_add_co_ci_u32_e32 v25, vcc_lo, s9, v37, vcc_lo
	v_add_co_u32 v5, vcc_lo, s8, v5
	v_add_co_ci_u32_e32 v6, vcc_lo, s9, v6, vcc_lo
	s_clause 0x1
	global_load_b64 v[36:37], v[24:25], off
	global_load_b64 v[46:47], v[5:6], off
	s_waitcnt vmcnt(7)
	v_subrev_nc_u32_e32 v3, s12, v3
	s_delay_alu instid0(VALU_DEP_1) | instskip(NEXT) | instid1(VALU_DEP_1)
	v_mul_lo_u32 v32, v3, 6
	v_lshlrev_b64 v[24:25], 3, v[32:33]
	s_delay_alu instid0(VALU_DEP_1) | instskip(NEXT) | instid1(VALU_DEP_2)
	v_add_co_u32 v24, vcc_lo, s10, v24
	v_add_co_ci_u32_e32 v25, vcc_lo, s11, v25, vcc_lo
	global_load_b128 v[24:27], v[24:25], off
	v_add_nc_u32_e32 v6, 2, v32
	s_delay_alu instid0(VALU_DEP_1) | instskip(SKIP_1) | instid1(VALU_DEP_1)
	v_lshlrev_b64 v[28:29], 3, v[6:7]
	v_add_nc_u32_e32 v6, -9, v4
	v_lshlrev_b64 v[30:31], 3, v[6:7]
	s_delay_alu instid0(VALU_DEP_3) | instskip(NEXT) | instid1(VALU_DEP_4)
	v_add_co_u32 v28, vcc_lo, s10, v28
	v_add_co_ci_u32_e32 v29, vcc_lo, s11, v29, vcc_lo
	s_delay_alu instid0(VALU_DEP_3) | instskip(NEXT) | instid1(VALU_DEP_4)
	v_add_co_u32 v48, vcc_lo, s8, v30
	v_add_co_ci_u32_e32 v49, vcc_lo, s9, v31, vcc_lo
	global_load_b128 v[28:31], v[28:29], off
	v_add_nc_u32_e32 v2, 8, v2
	global_load_b64 v[48:49], v[48:49], off
	s_waitcnt vmcnt(2)
	v_fmac_f32_e32 v14, v43, v24
	v_fmac_f32_e32 v13, v21, v24
	;; [unrolled: 1-line block ×4, first 2 shown]
	s_delay_alu instid0(VALU_DEP_4) | instskip(NEXT) | instid1(VALU_DEP_4)
	v_fmac_f32_e32 v14, v42, v25
	v_dual_fmac_f32 v13, v20, v25 :: v_dual_add_nc_u32 v6, -3, v4
	v_fmac_f32_e32 v19, v40, v24
	v_fma_f32 v3, -v21, v25, v17
	s_delay_alu instid0(VALU_DEP_4) | instskip(NEXT) | instid1(VALU_DEP_4)
	v_fmac_f32_e32 v14, v37, v26
	v_fmac_f32_e32 v13, v23, v26
	v_lshlrev_b64 v[33:34], 3, v[6:7]
	v_fma_f32 v8, -v41, v25, v19
	v_fmac_f32_e32 v15, v41, v24
	v_fma_f32 v17, -v43, v25, v18
	v_fmac_f32_e32 v3, v22, v26
	s_delay_alu instid0(VALU_DEP_4)
	v_dual_fmac_f32 v13, v22, v27 :: v_dual_fmac_f32 v8, v44, v26
	v_add_co_u32 v33, vcc_lo, s8, v33
	v_add_co_ci_u32_e32 v34, vcc_lo, s9, v34, vcc_lo
	v_dual_fmac_f32 v15, v40, v25 :: v_dual_add_nc_u32 v6, -14, v4
	v_fmac_f32_e32 v17, v36, v26
	global_load_b64 v[54:55], v[33:34], off
	v_fma_f32 v3, -v23, v27, v3
	v_fmac_f32_e32 v15, v45, v26
	v_lshlrev_b64 v[50:51], 3, v[6:7]
	v_add_nc_u32_e32 v6, -8, v4
	s_waitcnt vmcnt(2)
	v_dual_fmac_f32 v14, v36, v27 :: v_dual_fmac_f32 v3, v46, v28
	v_fma_f32 v17, -v37, v27, v17
	v_fma_f32 v8, -v45, v27, v8
	v_lshlrev_b64 v[52:53], 3, v[6:7]
	v_add_co_u32 v50, vcc_lo, s8, v50
	v_add_co_ci_u32_e32 v51, vcc_lo, s9, v51, vcc_lo
	v_add_nc_u32_e32 v6, -2, v4
	s_delay_alu instid0(VALU_DEP_4)
	v_add_co_u32 v52, vcc_lo, s8, v52
	global_load_b64 v[50:51], v[50:51], off
	v_add_co_ci_u32_e32 v53, vcc_lo, s9, v53, vcc_lo
	v_fmac_f32_e32 v15, v44, v27
	v_fma_f32 v3, -v47, v29, v3
	global_load_b64 v[52:53], v[52:53], off
	v_lshlrev_b64 v[33:34], 3, v[6:7]
	v_add_nc_u32_e32 v6, -13, v4
	s_delay_alu instid0(VALU_DEP_1) | instskip(SKIP_2) | instid1(VALU_DEP_1)
	v_lshlrev_b64 v[56:57], 3, v[6:7]
	s_waitcnt vmcnt(2)
	v_fmac_f32_e32 v14, v55, v28
	v_dual_fmac_f32 v13, v47, v28 :: v_dual_fmac_f32 v14, v54, v29
	s_delay_alu instid0(VALU_DEP_1) | instskip(SKIP_2) | instid1(VALU_DEP_3)
	v_dual_fmac_f32 v13, v46, v29 :: v_dual_add_nc_u32 v6, 4, v32
	v_add_co_u32 v32, vcc_lo, s8, v33
	v_add_co_ci_u32_e32 v33, vcc_lo, s9, v34, vcc_lo
	v_lshlrev_b64 v[34:35], 3, v[6:7]
	global_load_b64 v[58:59], v[32:33], off
	v_fmac_f32_e32 v15, v49, v28
	v_add_nc_u32_e32 v6, -7, v4
	v_add_co_u32 v32, vcc_lo, s8, v56
	v_add_co_ci_u32_e32 v33, vcc_lo, s9, v57, vcc_lo
	s_delay_alu instid0(VALU_DEP_4) | instskip(NEXT) | instid1(VALU_DEP_4)
	v_fmac_f32_e32 v15, v48, v29
	v_lshlrev_b64 v[56:57], 3, v[6:7]
	v_add_co_u32 v34, vcc_lo, s10, v34
	v_add_co_ci_u32_e32 v35, vcc_lo, s11, v35, vcc_lo
	v_fmac_f32_e32 v17, v54, v28
	s_delay_alu instid0(VALU_DEP_4)
	v_add_co_u32 v56, vcc_lo, s8, v56
	v_add_co_ci_u32_e32 v57, vcc_lo, s9, v57, vcc_lo
	s_waitcnt vmcnt(1)
	v_fmac_f32_e32 v15, v53, v30
	global_load_b64 v[56:57], v[56:57], off
	v_dual_fmac_f32 v15, v52, v31 :: v_dual_add_nc_u32 v6, -1, v4
	s_delay_alu instid0(VALU_DEP_1) | instskip(NEXT) | instid1(VALU_DEP_1)
	v_lshlrev_b64 v[62:63], 3, v[6:7]
	v_add_co_u32 v62, vcc_lo, s8, v62
	s_delay_alu instid0(VALU_DEP_2)
	v_add_co_ci_u32_e32 v63, vcc_lo, s9, v63, vcc_lo
	s_clause 0x1
	global_load_b64 v[62:63], v[62:63], off
	global_load_b64 v[60:61], v[32:33], off
	v_dual_fmac_f32 v3, v50, v30 :: v_dual_add_nc_u32 v6, -12, v4
	v_fmac_f32_e32 v13, v51, v30
	global_load_b128 v[32:35], v[34:35], off
	v_fma_f32 v3, -v51, v31, v3
	v_lshlrev_b64 v[64:65], 3, v[6:7]
	v_dual_fmac_f32 v13, v50, v31 :: v_dual_add_nc_u32 v6, -6, v4
	s_delay_alu instid0(VALU_DEP_1) | instskip(NEXT) | instid1(VALU_DEP_3)
	v_lshlrev_b64 v[5:6], 3, v[6:7]
	v_add_co_u32 v64, vcc_lo, s8, v64
	s_delay_alu instid0(VALU_DEP_4) | instskip(NEXT) | instid1(VALU_DEP_3)
	v_add_co_ci_u32_e32 v65, vcc_lo, s9, v65, vcc_lo
	v_add_co_u32 v5, vcc_lo, s8, v5
	s_delay_alu instid0(VALU_DEP_4)
	v_add_co_ci_u32_e32 v6, vcc_lo, s9, v6, vcc_lo
	s_clause 0x1
	global_load_b64 v[64:65], v[64:65], off
	global_load_b64 v[5:6], v[5:6], off
	v_cmp_ge_i32_e32 vcc_lo, v2, v16
	s_or_b32 s2, vcc_lo, s2
	s_waitcnt vmcnt(6)
	v_fmac_f32_e32 v14, v59, v30
	v_fma_f32 v17, -v55, v29, v17
	v_add_nc_u32_e32 v4, 0x90, v4
	s_delay_alu instid0(VALU_DEP_3) | instskip(NEXT) | instid1(VALU_DEP_3)
	v_fmac_f32_e32 v14, v58, v31
	v_fmac_f32_e32 v17, v58, v30
	s_delay_alu instid0(VALU_DEP_1) | instskip(SKIP_2) | instid1(VALU_DEP_2)
	v_fma_f32 v17, -v59, v31, v17
	s_waitcnt vmcnt(2)
	v_fmac_f32_e32 v3, v60, v32
	v_fmac_f32_e32 v17, v62, v32
	s_delay_alu instid0(VALU_DEP_2) | instskip(NEXT) | instid1(VALU_DEP_2)
	v_fma_f32 v3, -v61, v33, v3
	v_fma_f32 v18, -v63, v33, v17
	s_delay_alu instid0(VALU_DEP_1) | instskip(NEXT) | instid1(VALU_DEP_1)
	v_dual_fmac_f32 v15, v57, v32 :: v_dual_fmac_f32 v18, v38, v34
	v_dual_fmac_f32 v14, v63, v32 :: v_dual_fmac_f32 v15, v56, v33
	v_fmac_f32_e32 v13, v61, v32
	s_delay_alu instid0(VALU_DEP_3) | instskip(NEXT) | instid1(VALU_DEP_3)
	v_fma_f32 v18, -v39, v35, v18
	v_fmac_f32_e32 v14, v62, v33
	s_delay_alu instid0(VALU_DEP_3) | instskip(SKIP_2) | instid1(VALU_DEP_2)
	v_fmac_f32_e32 v13, v60, v33
	s_waitcnt vmcnt(0)
	v_dual_fmac_f32 v8, v48, v28 :: v_dual_fmac_f32 v15, v6, v34
	v_fmac_f32_e32 v13, v65, v34
	s_delay_alu instid0(VALU_DEP_2) | instskip(NEXT) | instid1(VALU_DEP_3)
	v_fma_f32 v8, -v49, v29, v8
	v_dual_fmac_f32 v14, v39, v34 :: v_dual_fmac_f32 v15, v5, v35
	s_delay_alu instid0(VALU_DEP_3) | instskip(NEXT) | instid1(VALU_DEP_3)
	v_fmac_f32_e32 v13, v64, v35
	v_fmac_f32_e32 v8, v52, v30
	s_delay_alu instid0(VALU_DEP_3) | instskip(NEXT) | instid1(VALU_DEP_2)
	v_dual_fmac_f32 v3, v64, v34 :: v_dual_fmac_f32 v14, v38, v35
	v_fma_f32 v8, -v53, v31, v8
	s_delay_alu instid0(VALU_DEP_2) | instskip(NEXT) | instid1(VALU_DEP_2)
	v_fma_f32 v17, -v65, v35, v3
	v_fmac_f32_e32 v8, v56, v32
	s_delay_alu instid0(VALU_DEP_1) | instskip(NEXT) | instid1(VALU_DEP_1)
	v_fma_f32 v8, -v57, v33, v8
	v_fmac_f32_e32 v8, v5, v34
	s_delay_alu instid0(VALU_DEP_1)
	v_fma_f32 v19, -v6, v35, v8
	s_and_not1_b32 exec_lo, exec_lo, s2
	s_cbranch_execnz .LBB95_21
; %bb.22:
	s_or_b32 exec_lo, exec_lo, s2
.LBB95_23:
	s_delay_alu instid0(SALU_CYCLE_1)
	s_or_b32 exec_lo, exec_lo, s3
.LBB95_24:
	v_mbcnt_lo_u32_b32 v2, -1, 0
	s_delay_alu instid0(VALU_DEP_1) | instskip(SKIP_1) | instid1(VALU_DEP_2)
	v_xor_b32_e32 v3, 4, v2
	v_xor_b32_e32 v16, 2, v2
	v_cmp_gt_i32_e32 vcc_lo, 32, v3
	v_cndmask_b32_e32 v3, v2, v3, vcc_lo
	s_delay_alu instid0(VALU_DEP_3) | instskip(SKIP_1) | instid1(VALU_DEP_1)
	v_cmp_gt_i32_e32 vcc_lo, 32, v16
	v_cndmask_b32_e32 v16, v2, v16, vcc_lo
	v_lshlrev_b32_e32 v16, 2, v16
	s_delay_alu instid0(VALU_DEP_4)
	v_lshlrev_b32_e32 v3, 2, v3
	ds_bpermute_b32 v4, v3, v17
	s_waitcnt lgkmcnt(0)
	v_add_f32_e32 v4, v17, v4
	ds_bpermute_b32 v6, v3, v19
	ds_bpermute_b32 v5, v3, v13
	;; [unrolled: 1-line block ×5, first 2 shown]
	s_waitcnt lgkmcnt(4)
	v_add_f32_e32 v6, v19, v6
	v_xor_b32_e32 v19, 1, v2
	s_waitcnt lgkmcnt(3)
	v_add_f32_e32 v5, v13, v5
	s_delay_alu instid0(VALU_DEP_2)
	v_cmp_gt_i32_e32 vcc_lo, 32, v19
	v_cndmask_b32_e32 v2, v2, v19, vcc_lo
	s_waitcnt lgkmcnt(0)
	v_add_f32_e32 v14, v14, v3
	ds_bpermute_b32 v3, v16, v4
	v_cmp_eq_u32_e32 vcc_lo, 7, v0
	v_lshlrev_b32_e32 v19, 2, v2
	v_add_f32_e32 v13, v15, v7
	v_add_f32_e32 v15, v18, v8
	ds_bpermute_b32 v7, v16, v5
	ds_bpermute_b32 v8, v16, v6
	;; [unrolled: 1-line block ×5, first 2 shown]
	s_waitcnt lgkmcnt(5)
	v_add_f32_e32 v2, v4, v3
	s_waitcnt lgkmcnt(4)
	v_add_f32_e32 v5, v5, v7
	;; [unrolled: 2-line block ×3, first 2 shown]
	ds_bpermute_b32 v6, v19, v2
	s_waitcnt lgkmcnt(1)
	v_dual_add_f32 v3, v15, v18 :: v_dual_add_f32 v4, v14, v16
	v_add_f32_e32 v8, v13, v17
	ds_bpermute_b32 v15, v19, v5
	ds_bpermute_b32 v16, v19, v7
	;; [unrolled: 1-line block ×5, first 2 shown]
	s_and_b32 exec_lo, exec_lo, vcc_lo
	s_cbranch_execz .LBB95_29
; %bb.25:
	s_load_b64 s[2:3], s[0:1], 0x38
	v_cmp_eq_f32_e32 vcc_lo, 0, v11
	v_cmp_eq_f32_e64 s0, 0, v12
	s_waitcnt lgkmcnt(0)
	v_add_f32_e32 v0, v2, v6
	v_dual_add_f32 v6, v5, v15 :: v_dual_add_f32 v3, v3, v13
	v_dual_add_f32 v2, v7, v16 :: v_dual_add_f32 v5, v8, v17
	v_add_f32_e32 v4, v4, v14
	s_and_b32 s0, vcc_lo, s0
	s_delay_alu instid0(SALU_CYCLE_1) | instskip(NEXT) | instid1(SALU_CYCLE_1)
	s_and_saveexec_b32 s1, s0
	s_xor_b32 s0, exec_lo, s1
	s_cbranch_execz .LBB95_27
; %bb.26:
	v_lshl_add_u32 v7, v1, 1, v1
	v_mul_f32_e64 v11, v6, -v10
	v_mul_f32_e32 v12, v6, v9
	v_mul_f32_e64 v13, v5, -v10
	v_mul_f32_e32 v14, v5, v9
	v_ashrrev_i32_e32 v8, 31, v7
	v_fmac_f32_e32 v11, v9, v0
	v_mul_f32_e64 v5, v4, -v10
	v_dual_mul_f32 v6, v4, v9 :: v_dual_fmac_f32 v13, v9, v2
	s_delay_alu instid0(VALU_DEP_4) | instskip(NEXT) | instid1(VALU_DEP_3)
	v_lshlrev_b64 v[7:8], 3, v[7:8]
	v_dual_fmac_f32 v12, v10, v0 :: v_dual_fmac_f32 v5, v9, v3
	v_fmac_f32_e32 v14, v10, v2
	s_delay_alu instid0(VALU_DEP_4) | instskip(NEXT) | instid1(VALU_DEP_4)
	v_fmac_f32_e32 v6, v10, v3
                                        ; implicit-def: $vgpr9
                                        ; implicit-def: $vgpr10
                                        ; implicit-def: $vgpr2
                                        ; implicit-def: $vgpr3
                                        ; implicit-def: $vgpr4
	v_add_co_u32 v0, vcc_lo, s2, v7
	v_add_co_ci_u32_e32 v1, vcc_lo, s3, v8, vcc_lo
	s_clause 0x1
	global_store_b128 v[0:1], v[11:14], off
	global_store_b64 v[0:1], v[5:6], off offset:16
                                        ; implicit-def: $vgpr11
                                        ; implicit-def: $vgpr12
                                        ; implicit-def: $vgpr1
                                        ; implicit-def: $vgpr0
                                        ; implicit-def: $vgpr6
                                        ; implicit-def: $vgpr5
.LBB95_27:
	s_and_not1_saveexec_b32 s0, s0
	s_cbranch_execz .LBB95_29
; %bb.28:
	v_lshl_add_u32 v7, v1, 1, v1
	v_mul_f32_e64 v21, v5, -v10
	v_mul_f32_e64 v22, v4, -v10
	s_delay_alu instid0(VALU_DEP_3) | instskip(NEXT) | instid1(VALU_DEP_1)
	v_ashrrev_i32_e32 v8, 31, v7
	v_lshlrev_b64 v[7:8], 3, v[7:8]
	s_delay_alu instid0(VALU_DEP_1) | instskip(NEXT) | instid1(VALU_DEP_2)
	v_add_co_u32 v17, vcc_lo, s2, v7
	v_add_co_ci_u32_e32 v18, vcc_lo, s3, v8, vcc_lo
	v_mul_f32_e64 v7, v6, -v10
	v_mul_f32_e32 v6, v6, v9
	s_clause 0x1
	global_load_b128 v[13:16], v[17:18], off
	global_load_b64 v[19:20], v[17:18], off offset:16
	v_fmac_f32_e32 v7, v9, v0
	v_dual_mul_f32 v1, v4, v9 :: v_dual_fmac_f32 v6, v10, v0
	v_mul_f32_e32 v8, v5, v9
	v_fmac_f32_e32 v21, v9, v2
	s_delay_alu instid0(VALU_DEP_3) | instskip(SKIP_1) | instid1(VALU_DEP_3)
	v_fmac_f32_e32 v1, v10, v3
	s_waitcnt vmcnt(1)
	v_dual_fmac_f32 v8, v10, v2 :: v_dual_fmac_f32 v7, v11, v13
	v_fmac_f32_e32 v6, v12, v13
	s_waitcnt vmcnt(0)
	v_fmac_f32_e32 v1, v12, v19
	v_fmac_f32_e32 v21, v11, v15
	;; [unrolled: 1-line block ×3, first 2 shown]
	v_fma_f32 v5, -v12, v14, v7
	v_fmac_f32_e32 v6, v11, v14
	v_dual_fmac_f32 v22, v9, v3 :: v_dual_fmac_f32 v1, v11, v20
	v_fma_f32 v7, -v12, v16, v21
	v_fmac_f32_e32 v8, v11, v16
	s_delay_alu instid0(VALU_DEP_3) | instskip(NEXT) | instid1(VALU_DEP_1)
	v_fmac_f32_e32 v22, v11, v19
	v_fma_f32 v0, -v12, v20, v22
	s_clause 0x1
	global_store_b128 v[17:18], v[5:8], off
	global_store_b64 v[17:18], v[0:1], off offset:16
.LBB95_29:
	s_nop 0
	s_sendmsg sendmsg(MSG_DEALLOC_VGPRS)
	s_endpgm
	.section	.rodata,"a",@progbits
	.p2align	6, 0x0
	.amdhsa_kernel _ZN9rocsparseL19gebsrmvn_3xn_kernelILj128ELj6ELj8E21rocsparse_complex_numIfEEEvi20rocsparse_direction_NS_24const_host_device_scalarIT2_EEPKiS8_PKS5_SA_S6_PS5_21rocsparse_index_base_b
		.amdhsa_group_segment_fixed_size 0
		.amdhsa_private_segment_fixed_size 0
		.amdhsa_kernarg_size 72
		.amdhsa_user_sgpr_count 15
		.amdhsa_user_sgpr_dispatch_ptr 0
		.amdhsa_user_sgpr_queue_ptr 0
		.amdhsa_user_sgpr_kernarg_segment_ptr 1
		.amdhsa_user_sgpr_dispatch_id 0
		.amdhsa_user_sgpr_private_segment_size 0
		.amdhsa_wavefront_size32 1
		.amdhsa_uses_dynamic_stack 0
		.amdhsa_enable_private_segment 0
		.amdhsa_system_sgpr_workgroup_id_x 1
		.amdhsa_system_sgpr_workgroup_id_y 0
		.amdhsa_system_sgpr_workgroup_id_z 0
		.amdhsa_system_sgpr_workgroup_info 0
		.amdhsa_system_vgpr_workitem_id 0
		.amdhsa_next_free_vgpr 66
		.amdhsa_next_free_sgpr 16
		.amdhsa_reserve_vcc 1
		.amdhsa_float_round_mode_32 0
		.amdhsa_float_round_mode_16_64 0
		.amdhsa_float_denorm_mode_32 3
		.amdhsa_float_denorm_mode_16_64 3
		.amdhsa_dx10_clamp 1
		.amdhsa_ieee_mode 1
		.amdhsa_fp16_overflow 0
		.amdhsa_workgroup_processor_mode 1
		.amdhsa_memory_ordered 1
		.amdhsa_forward_progress 0
		.amdhsa_shared_vgpr_count 0
		.amdhsa_exception_fp_ieee_invalid_op 0
		.amdhsa_exception_fp_denorm_src 0
		.amdhsa_exception_fp_ieee_div_zero 0
		.amdhsa_exception_fp_ieee_overflow 0
		.amdhsa_exception_fp_ieee_underflow 0
		.amdhsa_exception_fp_ieee_inexact 0
		.amdhsa_exception_int_div_zero 0
	.end_amdhsa_kernel
	.section	.text._ZN9rocsparseL19gebsrmvn_3xn_kernelILj128ELj6ELj8E21rocsparse_complex_numIfEEEvi20rocsparse_direction_NS_24const_host_device_scalarIT2_EEPKiS8_PKS5_SA_S6_PS5_21rocsparse_index_base_b,"axG",@progbits,_ZN9rocsparseL19gebsrmvn_3xn_kernelILj128ELj6ELj8E21rocsparse_complex_numIfEEEvi20rocsparse_direction_NS_24const_host_device_scalarIT2_EEPKiS8_PKS5_SA_S6_PS5_21rocsparse_index_base_b,comdat
.Lfunc_end95:
	.size	_ZN9rocsparseL19gebsrmvn_3xn_kernelILj128ELj6ELj8E21rocsparse_complex_numIfEEEvi20rocsparse_direction_NS_24const_host_device_scalarIT2_EEPKiS8_PKS5_SA_S6_PS5_21rocsparse_index_base_b, .Lfunc_end95-_ZN9rocsparseL19gebsrmvn_3xn_kernelILj128ELj6ELj8E21rocsparse_complex_numIfEEEvi20rocsparse_direction_NS_24const_host_device_scalarIT2_EEPKiS8_PKS5_SA_S6_PS5_21rocsparse_index_base_b
                                        ; -- End function
	.section	.AMDGPU.csdata,"",@progbits
; Kernel info:
; codeLenInByte = 3904
; NumSgprs: 18
; NumVgprs: 66
; ScratchSize: 0
; MemoryBound: 0
; FloatMode: 240
; IeeeMode: 1
; LDSByteSize: 0 bytes/workgroup (compile time only)
; SGPRBlocks: 2
; VGPRBlocks: 8
; NumSGPRsForWavesPerEU: 18
; NumVGPRsForWavesPerEU: 66
; Occupancy: 16
; WaveLimiterHint : 1
; COMPUTE_PGM_RSRC2:SCRATCH_EN: 0
; COMPUTE_PGM_RSRC2:USER_SGPR: 15
; COMPUTE_PGM_RSRC2:TRAP_HANDLER: 0
; COMPUTE_PGM_RSRC2:TGID_X_EN: 1
; COMPUTE_PGM_RSRC2:TGID_Y_EN: 0
; COMPUTE_PGM_RSRC2:TGID_Z_EN: 0
; COMPUTE_PGM_RSRC2:TIDIG_COMP_CNT: 0
	.section	.text._ZN9rocsparseL19gebsrmvn_3xn_kernelILj128ELj6ELj16E21rocsparse_complex_numIfEEEvi20rocsparse_direction_NS_24const_host_device_scalarIT2_EEPKiS8_PKS5_SA_S6_PS5_21rocsparse_index_base_b,"axG",@progbits,_ZN9rocsparseL19gebsrmvn_3xn_kernelILj128ELj6ELj16E21rocsparse_complex_numIfEEEvi20rocsparse_direction_NS_24const_host_device_scalarIT2_EEPKiS8_PKS5_SA_S6_PS5_21rocsparse_index_base_b,comdat
	.globl	_ZN9rocsparseL19gebsrmvn_3xn_kernelILj128ELj6ELj16E21rocsparse_complex_numIfEEEvi20rocsparse_direction_NS_24const_host_device_scalarIT2_EEPKiS8_PKS5_SA_S6_PS5_21rocsparse_index_base_b ; -- Begin function _ZN9rocsparseL19gebsrmvn_3xn_kernelILj128ELj6ELj16E21rocsparse_complex_numIfEEEvi20rocsparse_direction_NS_24const_host_device_scalarIT2_EEPKiS8_PKS5_SA_S6_PS5_21rocsparse_index_base_b
	.p2align	8
	.type	_ZN9rocsparseL19gebsrmvn_3xn_kernelILj128ELj6ELj16E21rocsparse_complex_numIfEEEvi20rocsparse_direction_NS_24const_host_device_scalarIT2_EEPKiS8_PKS5_SA_S6_PS5_21rocsparse_index_base_b,@function
_ZN9rocsparseL19gebsrmvn_3xn_kernelILj128ELj6ELj16E21rocsparse_complex_numIfEEEvi20rocsparse_direction_NS_24const_host_device_scalarIT2_EEPKiS8_PKS5_SA_S6_PS5_21rocsparse_index_base_b: ; @_ZN9rocsparseL19gebsrmvn_3xn_kernelILj128ELj6ELj16E21rocsparse_complex_numIfEEEvi20rocsparse_direction_NS_24const_host_device_scalarIT2_EEPKiS8_PKS5_SA_S6_PS5_21rocsparse_index_base_b
; %bb.0:
	s_clause 0x2
	s_load_b64 s[12:13], s[0:1], 0x40
	s_load_b64 s[4:5], s[0:1], 0x8
	;; [unrolled: 1-line block ×3, first 2 shown]
	s_waitcnt lgkmcnt(0)
	s_bitcmp1_b32 s13, 0
	v_mov_b32_e32 v9, s4
	s_cselect_b32 s6, -1, 0
	s_delay_alu instid0(SALU_CYCLE_1)
	s_and_b32 vcc_lo, exec_lo, s6
	s_xor_b32 s6, s6, -1
	s_cbranch_vccz .LBB96_15
; %bb.1:
	v_cndmask_b32_e64 v1, 0, 1, s6
	v_mov_b32_e32 v10, s5
	s_and_not1_b32 vcc_lo, exec_lo, s6
	s_cbranch_vccz .LBB96_16
.LBB96_2:
	s_delay_alu instid0(VALU_DEP_2)
	v_cmp_ne_u32_e32 vcc_lo, 1, v1
	v_mov_b32_e32 v11, s2
	s_cbranch_vccz .LBB96_17
.LBB96_3:
	v_cmp_ne_u32_e32 vcc_lo, 1, v1
	v_mov_b32_e32 v12, s3
	s_cbranch_vccnz .LBB96_5
.LBB96_4:
	v_dual_mov_b32 v1, s2 :: v_dual_mov_b32 v2, s3
	flat_load_b32 v12, v[1:2] offset:4
.LBB96_5:
	s_waitcnt vmcnt(0) lgkmcnt(0)
	v_cmp_eq_f32_e32 vcc_lo, 0, v9
	v_cmp_eq_f32_e64 s2, 0, v10
	s_delay_alu instid0(VALU_DEP_1)
	s_and_b32 s4, vcc_lo, s2
	s_mov_b32 s2, -1
	s_and_saveexec_b32 s3, s4
; %bb.6:
	v_cmp_neq_f32_e32 vcc_lo, 1.0, v11
	v_cmp_neq_f32_e64 s2, 0, v12
	s_delay_alu instid0(VALU_DEP_1) | instskip(NEXT) | instid1(SALU_CYCLE_1)
	s_or_b32 s2, vcc_lo, s2
	s_or_not1_b32 s2, s2, exec_lo
; %bb.7:
	s_or_b32 exec_lo, exec_lo, s3
	s_and_saveexec_b32 s3, s2
	s_cbranch_execz .LBB96_29
; %bb.8:
	s_load_b64 s[2:3], s[0:1], 0x0
	v_lshrrev_b32_e32 v1, 4, v0
	s_delay_alu instid0(VALU_DEP_1) | instskip(SKIP_1) | instid1(VALU_DEP_1)
	v_lshl_or_b32 v1, s15, 3, v1
	s_waitcnt lgkmcnt(0)
	v_cmp_gt_i32_e32 vcc_lo, s2, v1
	s_and_b32 exec_lo, exec_lo, vcc_lo
	s_cbranch_execz .LBB96_29
; %bb.9:
	s_load_b256 s[4:11], s[0:1], 0x10
	v_ashrrev_i32_e32 v2, 31, v1
	v_and_b32_e32 v0, 15, v0
	s_cmp_lg_u32 s3, 0
	s_delay_alu instid0(VALU_DEP_2) | instskip(SKIP_1) | instid1(VALU_DEP_1)
	v_lshlrev_b64 v[2:3], 2, v[1:2]
	s_waitcnt lgkmcnt(0)
	v_add_co_u32 v2, vcc_lo, s4, v2
	s_delay_alu instid0(VALU_DEP_2) | instskip(SKIP_4) | instid1(VALU_DEP_2)
	v_add_co_ci_u32_e32 v3, vcc_lo, s5, v3, vcc_lo
	global_load_b64 v[2:3], v[2:3], off
	s_waitcnt vmcnt(0)
	v_subrev_nc_u32_e32 v2, s12, v2
	v_subrev_nc_u32_e32 v16, s12, v3
	v_add_nc_u32_e32 v2, v2, v0
	s_delay_alu instid0(VALU_DEP_1)
	v_cmp_lt_i32_e64 s2, v2, v16
	s_cbranch_scc0 .LBB96_18
; %bb.10:
	v_dual_mov_b32 v13, 0 :: v_dual_mov_b32 v18, 0
	v_dual_mov_b32 v17, 0 :: v_dual_mov_b32 v14, 0
	v_mov_b32_e32 v19, 0
	v_mov_b32_e32 v15, 0
	s_mov_b32 s3, 0
	s_and_saveexec_b32 s4, s2
	s_cbranch_execz .LBB96_14
; %bb.11:
	v_mad_u64_u32 v[3:4], null, v2, 18, 17
	v_dual_mov_b32 v6, 0 :: v_dual_mov_b32 v7, v2
	v_dual_mov_b32 v13, 0 :: v_dual_mov_b32 v18, 0
	;; [unrolled: 1-line block ×3, first 2 shown]
	v_mov_b32_e32 v19, 0
	v_mov_b32_e32 v15, 0
	s_mov_b32 s5, 0
.LBB96_12:                              ; =>This Inner Loop Header: Depth=1
	v_ashrrev_i32_e32 v8, 31, v7
	s_delay_alu instid0(VALU_DEP_1) | instskip(NEXT) | instid1(VALU_DEP_1)
	v_lshlrev_b64 v[4:5], 2, v[7:8]
	v_add_co_u32 v4, vcc_lo, s6, v4
	s_delay_alu instid0(VALU_DEP_2) | instskip(SKIP_3) | instid1(VALU_DEP_2)
	v_add_co_ci_u32_e32 v5, vcc_lo, s7, v5, vcc_lo
	global_load_b32 v8, v[4:5], off
	v_subrev_nc_u32_e32 v5, 17, v3
	v_mov_b32_e32 v4, v6
	v_lshlrev_b64 v[20:21], 3, v[5:6]
	v_add_nc_u32_e32 v5, -15, v3
	s_delay_alu instid0(VALU_DEP_3) | instskip(NEXT) | instid1(VALU_DEP_2)
	v_lshlrev_b64 v[22:23], 3, v[3:4]
	v_lshlrev_b64 v[24:25], 3, v[5:6]
	s_delay_alu instid0(VALU_DEP_4) | instskip(SKIP_1) | instid1(VALU_DEP_4)
	v_add_co_u32 v20, vcc_lo, s8, v20
	v_add_co_ci_u32_e32 v21, vcc_lo, s9, v21, vcc_lo
	v_add_co_u32 v26, vcc_lo, s8, v22
	v_add_co_ci_u32_e32 v27, vcc_lo, s9, v23, vcc_lo
	v_add_co_u32 v24, vcc_lo, s8, v24
	v_add_co_ci_u32_e32 v25, vcc_lo, s9, v25, vcc_lo
	s_clause 0x2
	global_load_b128 v[20:23], v[20:21], off
	global_load_b64 v[36:37], v[26:27], off
	global_load_b64 v[38:39], v[24:25], off
	v_add_nc_u32_e32 v5, -14, v3
	v_mov_b32_e32 v33, v6
	s_delay_alu instid0(VALU_DEP_2) | instskip(SKIP_1) | instid1(VALU_DEP_1)
	v_lshlrev_b64 v[28:29], 3, v[5:6]
	v_add_nc_u32_e32 v5, -13, v3
	v_lshlrev_b64 v[26:27], 3, v[5:6]
	s_delay_alu instid0(VALU_DEP_3) | instskip(NEXT) | instid1(VALU_DEP_4)
	v_add_co_u32 v24, vcc_lo, s8, v28
	v_add_co_ci_u32_e32 v25, vcc_lo, s9, v29, vcc_lo
	s_delay_alu instid0(VALU_DEP_3) | instskip(NEXT) | instid1(VALU_DEP_4)
	v_add_co_u32 v26, vcc_lo, s8, v26
	v_add_co_ci_u32_e32 v27, vcc_lo, s9, v27, vcc_lo
	s_clause 0x1
	global_load_b64 v[40:41], v[24:25], off
	global_load_b64 v[42:43], v[26:27], off
	v_add_nc_u32_e32 v5, -12, v3
	s_delay_alu instid0(VALU_DEP_1) | instskip(SKIP_1) | instid1(VALU_DEP_1)
	v_lshlrev_b64 v[28:29], 3, v[5:6]
	v_add_nc_u32_e32 v5, -11, v3
	v_lshlrev_b64 v[4:5], 3, v[5:6]
	s_delay_alu instid0(VALU_DEP_3) | instskip(NEXT) | instid1(VALU_DEP_4)
	v_add_co_u32 v24, vcc_lo, s8, v28
	v_add_co_ci_u32_e32 v25, vcc_lo, s9, v29, vcc_lo
	s_delay_alu instid0(VALU_DEP_3) | instskip(NEXT) | instid1(VALU_DEP_4)
	v_add_co_u32 v4, vcc_lo, s8, v4
	v_add_co_ci_u32_e32 v5, vcc_lo, s9, v5, vcc_lo
	s_clause 0x1
	global_load_b64 v[44:45], v[24:25], off
	global_load_b64 v[46:47], v[4:5], off
	s_waitcnt vmcnt(7)
	v_subrev_nc_u32_e32 v4, s12, v8
	s_delay_alu instid0(VALU_DEP_1) | instskip(NEXT) | instid1(VALU_DEP_1)
	v_mul_lo_u32 v32, v4, 6
	v_lshlrev_b64 v[24:25], 3, v[32:33]
	s_delay_alu instid0(VALU_DEP_1) | instskip(NEXT) | instid1(VALU_DEP_2)
	v_add_co_u32 v24, vcc_lo, s10, v24
	v_add_co_ci_u32_e32 v25, vcc_lo, s11, v25, vcc_lo
	global_load_b128 v[24:27], v[24:25], off
	v_add_nc_u32_e32 v5, 2, v32
	s_delay_alu instid0(VALU_DEP_1) | instskip(SKIP_1) | instid1(VALU_DEP_1)
	v_lshlrev_b64 v[28:29], 3, v[5:6]
	v_add_nc_u32_e32 v5, -10, v3
	v_lshlrev_b64 v[30:31], 3, v[5:6]
	s_delay_alu instid0(VALU_DEP_3) | instskip(NEXT) | instid1(VALU_DEP_4)
	v_add_co_u32 v28, vcc_lo, s10, v28
	v_add_co_ci_u32_e32 v29, vcc_lo, s11, v29, vcc_lo
	s_delay_alu instid0(VALU_DEP_3) | instskip(NEXT) | instid1(VALU_DEP_4)
	v_add_co_u32 v48, vcc_lo, s8, v30
	v_add_co_ci_u32_e32 v49, vcc_lo, s9, v31, vcc_lo
	global_load_b128 v[28:31], v[28:29], off
	global_load_b64 v[48:49], v[48:49], off
	s_waitcnt vmcnt(2)
	v_fmac_f32_e32 v18, v38, v24
	v_fmac_f32_e32 v14, v39, v24
	;; [unrolled: 1-line block ×3, first 2 shown]
	s_delay_alu instid0(VALU_DEP_3) | instskip(NEXT) | instid1(VALU_DEP_3)
	v_fma_f32 v18, -v39, v25, v18
	v_fmac_f32_e32 v14, v38, v25
	s_delay_alu instid0(VALU_DEP_3) | instskip(NEXT) | instid1(VALU_DEP_3)
	v_fma_f32 v8, -v21, v25, v17
	v_fmac_f32_e32 v18, v44, v26
	s_delay_alu instid0(VALU_DEP_3) | instskip(NEXT) | instid1(VALU_DEP_3)
	v_fmac_f32_e32 v14, v45, v26
	v_dual_fmac_f32 v13, v21, v24 :: v_dual_fmac_f32 v8, v40, v26
	s_delay_alu instid0(VALU_DEP_3) | instskip(NEXT) | instid1(VALU_DEP_3)
	v_fma_f32 v18, -v45, v27, v18
	v_fmac_f32_e32 v14, v44, v27
	v_add_nc_u32_e32 v5, -9, v3
	s_delay_alu instid0(VALU_DEP_4) | instskip(SKIP_1) | instid1(VALU_DEP_3)
	v_fma_f32 v8, -v41, v27, v8
	v_fmac_f32_e32 v13, v20, v25
	v_lshlrev_b64 v[33:34], 3, v[5:6]
	s_waitcnt vmcnt(1)
	s_delay_alu instid0(VALU_DEP_2) | instskip(NEXT) | instid1(VALU_DEP_1)
	v_dual_fmac_f32 v8, v46, v28 :: v_dual_fmac_f32 v13, v41, v26
	v_fma_f32 v8, -v47, v29, v8
	s_delay_alu instid0(VALU_DEP_3) | instskip(NEXT) | instid1(VALU_DEP_4)
	v_add_co_u32 v33, vcc_lo, s8, v33
	v_add_co_ci_u32_e32 v34, vcc_lo, s9, v34, vcc_lo
	s_delay_alu instid0(VALU_DEP_4) | instskip(SKIP_3) | instid1(VALU_DEP_2)
	v_fmac_f32_e32 v13, v40, v27
	global_load_b64 v[54:55], v[33:34], off
	v_add_nc_u32_e32 v5, -8, v3
	v_fmac_f32_e32 v13, v47, v28
	v_lshlrev_b64 v[50:51], 3, v[5:6]
	v_add_nc_u32_e32 v5, -7, v3
	s_delay_alu instid0(VALU_DEP_3) | instskip(NEXT) | instid1(VALU_DEP_2)
	v_fmac_f32_e32 v13, v46, v29
	v_lshlrev_b64 v[52:53], 3, v[5:6]
	s_delay_alu instid0(VALU_DEP_4) | instskip(SKIP_1) | instid1(VALU_DEP_3)
	v_add_co_u32 v50, vcc_lo, s8, v50
	v_add_co_ci_u32_e32 v51, vcc_lo, s9, v51, vcc_lo
	v_add_co_u32 v52, vcc_lo, s8, v52
	s_delay_alu instid0(VALU_DEP_4)
	v_add_co_ci_u32_e32 v53, vcc_lo, s9, v53, vcc_lo
	global_load_b64 v[50:51], v[50:51], off
	v_add_nc_u32_e32 v5, -6, v3
	global_load_b64 v[52:53], v[52:53], off
	v_lshlrev_b64 v[33:34], 3, v[5:6]
	s_waitcnt vmcnt(2)
	v_fmac_f32_e32 v18, v54, v28
	v_fmac_f32_e32 v14, v55, v28
	s_delay_alu instid0(VALU_DEP_2) | instskip(NEXT) | instid1(VALU_DEP_2)
	v_fma_f32 v18, -v55, v29, v18
	v_dual_fmac_f32 v14, v54, v29 :: v_dual_add_nc_u32 v5, -5, v3
	s_delay_alu instid0(VALU_DEP_1)
	v_lshlrev_b64 v[56:57], 3, v[5:6]
	v_add_nc_u32_e32 v5, 4, v32
	v_add_co_u32 v32, vcc_lo, s8, v33
	v_add_co_ci_u32_e32 v33, vcc_lo, s9, v34, vcc_lo
	global_load_b64 v[58:59], v[32:33], off
	v_add_co_u32 v32, vcc_lo, s8, v56
	v_add_co_ci_u32_e32 v33, vcc_lo, s9, v57, vcc_lo
	s_waitcnt vmcnt(0)
	v_fmac_f32_e32 v14, v59, v30
	v_lshlrev_b64 v[34:35], 3, v[5:6]
	v_dual_fmac_f32 v18, v58, v30 :: v_dual_add_nc_u32 v5, -4, v3
	s_delay_alu instid0(VALU_DEP_3) | instskip(NEXT) | instid1(VALU_DEP_2)
	v_fmac_f32_e32 v14, v58, v31
	v_lshlrev_b64 v[56:57], 3, v[5:6]
	s_delay_alu instid0(VALU_DEP_3) | instskip(SKIP_3) | instid1(VALU_DEP_3)
	v_fma_f32 v18, -v59, v31, v18
	v_add_nc_u32_e32 v5, -3, v3
	v_add_co_u32 v34, vcc_lo, s10, v34
	v_add_co_ci_u32_e32 v35, vcc_lo, s11, v35, vcc_lo
	v_lshlrev_b64 v[62:63], 3, v[5:6]
	v_add_co_u32 v56, vcc_lo, s8, v56
	v_add_co_ci_u32_e32 v57, vcc_lo, s9, v57, vcc_lo
	s_delay_alu instid0(VALU_DEP_3) | instskip(NEXT) | instid1(VALU_DEP_4)
	v_add_co_u32 v62, vcc_lo, s8, v62
	v_add_co_ci_u32_e32 v63, vcc_lo, s9, v63, vcc_lo
	s_clause 0x2
	global_load_b64 v[56:57], v[56:57], off
	global_load_b64 v[62:63], v[62:63], off
	;; [unrolled: 1-line block ×3, first 2 shown]
	global_load_b128 v[32:35], v[34:35], off
	v_dual_fmac_f32 v8, v50, v30 :: v_dual_add_nc_u32 v5, -2, v3
	v_fmac_f32_e32 v13, v51, v30
	s_delay_alu instid0(VALU_DEP_2) | instskip(SKIP_1) | instid1(VALU_DEP_2)
	v_fma_f32 v8, -v51, v31, v8
	s_waitcnt vmcnt(0)
	v_dual_fmac_f32 v13, v50, v31 :: v_dual_fmac_f32 v14, v63, v32
	s_delay_alu instid0(VALU_DEP_2) | instskip(SKIP_2) | instid1(VALU_DEP_4)
	v_fmac_f32_e32 v8, v60, v32
	v_lshlrev_b64 v[64:65], 3, v[5:6]
	v_add_nc_u32_e32 v7, 16, v7
	v_dual_fmac_f32 v13, v61, v32 :: v_dual_fmac_f32 v14, v62, v33
	s_delay_alu instid0(VALU_DEP_4) | instskip(SKIP_3) | instid1(VALU_DEP_3)
	v_fma_f32 v8, -v61, v33, v8
	v_add_nc_u32_e32 v5, -1, v3
	v_add_co_u32 v64, vcc_lo, s8, v64
	v_add_co_ci_u32_e32 v65, vcc_lo, s9, v65, vcc_lo
	v_lshlrev_b64 v[4:5], 3, v[5:6]
	v_dual_fmac_f32 v19, v22, v24 :: v_dual_fmac_f32 v14, v37, v34
	v_fmac_f32_e32 v15, v23, v24
	v_dual_fmac_f32 v18, v62, v32 :: v_dual_fmac_f32 v13, v60, v33
	s_delay_alu instid0(VALU_DEP_4) | instskip(NEXT) | instid1(VALU_DEP_4)
	v_add_co_u32 v4, vcc_lo, s8, v4
	v_fmac_f32_e32 v14, v36, v35
	v_add_co_ci_u32_e32 v5, vcc_lo, s9, v5, vcc_lo
	s_clause 0x1
	global_load_b64 v[64:65], v[64:65], off
	global_load_b64 v[4:5], v[4:5], off
	v_fma_f32 v17, -v23, v25, v19
	v_fmac_f32_e32 v15, v22, v25
	v_fma_f32 v18, -v63, v33, v18
	v_add_nc_u32_e32 v3, 0x120, v3
	v_cmp_ge_i32_e32 vcc_lo, v7, v16
	v_fmac_f32_e32 v17, v42, v26
	v_fmac_f32_e32 v15, v43, v26
	;; [unrolled: 1-line block ×3, first 2 shown]
	s_or_b32 s5, vcc_lo, s5
	s_delay_alu instid0(VALU_DEP_3) | instskip(NEXT) | instid1(VALU_DEP_3)
	v_fma_f32 v17, -v43, v27, v17
	v_fmac_f32_e32 v15, v42, v27
	s_delay_alu instid0(VALU_DEP_3) | instskip(NEXT) | instid1(VALU_DEP_3)
	v_fma_f32 v18, -v37, v35, v18
	v_fmac_f32_e32 v17, v48, v28
	s_delay_alu instid0(VALU_DEP_3) | instskip(NEXT) | instid1(VALU_DEP_2)
	v_fmac_f32_e32 v15, v49, v28
	v_fma_f32 v17, -v49, v29, v17
	s_delay_alu instid0(VALU_DEP_2) | instskip(NEXT) | instid1(VALU_DEP_2)
	v_fmac_f32_e32 v15, v48, v29
	v_fmac_f32_e32 v17, v52, v30
	s_delay_alu instid0(VALU_DEP_2) | instskip(NEXT) | instid1(VALU_DEP_2)
	v_fmac_f32_e32 v15, v53, v30
	v_fma_f32 v17, -v53, v31, v17
	s_delay_alu instid0(VALU_DEP_2) | instskip(NEXT) | instid1(VALU_DEP_2)
	v_fmac_f32_e32 v15, v52, v31
	v_fmac_f32_e32 v17, v56, v32
	s_delay_alu instid0(VALU_DEP_2) | instskip(NEXT) | instid1(VALU_DEP_2)
	v_fmac_f32_e32 v15, v57, v32
	v_fma_f32 v19, -v57, v33, v17
	s_delay_alu instid0(VALU_DEP_2)
	v_fmac_f32_e32 v15, v56, v33
	s_waitcnt vmcnt(1)
	v_fmac_f32_e32 v8, v64, v34
	v_fmac_f32_e32 v13, v65, v34
	s_waitcnt vmcnt(0)
	v_fmac_f32_e32 v19, v4, v34
	v_fmac_f32_e32 v15, v5, v34
	v_fma_f32 v17, -v65, v35, v8
	v_fmac_f32_e32 v13, v64, v35
	s_delay_alu instid0(VALU_DEP_4) | instskip(NEXT) | instid1(VALU_DEP_4)
	v_fma_f32 v19, -v5, v35, v19
	v_fmac_f32_e32 v15, v4, v35
	s_and_not1_b32 exec_lo, exec_lo, s5
	s_cbranch_execnz .LBB96_12
; %bb.13:
	s_or_b32 exec_lo, exec_lo, s5
.LBB96_14:
	s_delay_alu instid0(SALU_CYCLE_1) | instskip(NEXT) | instid1(SALU_CYCLE_1)
	s_or_b32 exec_lo, exec_lo, s4
	s_and_not1_b32 vcc_lo, exec_lo, s3
	s_cbranch_vccz .LBB96_19
	s_branch .LBB96_24
.LBB96_15:
	v_dual_mov_b32 v1, s4 :: v_dual_mov_b32 v2, s5
	flat_load_b32 v9, v[1:2]
	v_cndmask_b32_e64 v1, 0, 1, s6
	v_mov_b32_e32 v10, s5
	s_and_not1_b32 vcc_lo, exec_lo, s6
	s_cbranch_vccnz .LBB96_2
.LBB96_16:
	v_dual_mov_b32 v2, s4 :: v_dual_mov_b32 v3, s5
	flat_load_b32 v10, v[2:3] offset:4
	v_cmp_ne_u32_e32 vcc_lo, 1, v1
	v_mov_b32_e32 v11, s2
	s_cbranch_vccnz .LBB96_3
.LBB96_17:
	v_dual_mov_b32 v2, s2 :: v_dual_mov_b32 v3, s3
	flat_load_b32 v11, v[2:3]
	v_cmp_ne_u32_e32 vcc_lo, 1, v1
	v_mov_b32_e32 v12, s3
	s_cbranch_vccz .LBB96_4
	s_branch .LBB96_5
.LBB96_18:
                                        ; implicit-def: $vgpr13
                                        ; implicit-def: $vgpr17
                                        ; implicit-def: $vgpr18
                                        ; implicit-def: $vgpr14
                                        ; implicit-def: $vgpr19
                                        ; implicit-def: $vgpr15
.LBB96_19:
	v_dual_mov_b32 v13, 0 :: v_dual_mov_b32 v18, 0
	v_dual_mov_b32 v17, 0 :: v_dual_mov_b32 v14, 0
	v_mov_b32_e32 v19, 0
	v_mov_b32_e32 v15, 0
	s_and_saveexec_b32 s3, s2
	s_cbranch_execz .LBB96_23
; %bb.20:
	v_mad_u64_u32 v[4:5], null, v2, 18, 17
	v_dual_mov_b32 v7, 0 :: v_dual_mov_b32 v18, 0
	v_dual_mov_b32 v13, 0 :: v_dual_mov_b32 v14, 0
	v_mov_b32_e32 v17, 0
	v_mov_b32_e32 v19, 0
	;; [unrolled: 1-line block ×3, first 2 shown]
	s_mov_b32 s2, 0
.LBB96_21:                              ; =>This Inner Loop Header: Depth=1
	v_ashrrev_i32_e32 v3, 31, v2
	v_dual_mov_b32 v33, v7 :: v_dual_add_nc_u32 v20, -11, v4
	v_dual_mov_b32 v21, v7 :: v_dual_add_nc_u32 v22, -5, v4
	s_delay_alu instid0(VALU_DEP_3) | instskip(SKIP_1) | instid1(VALU_DEP_3)
	v_lshlrev_b64 v[5:6], 2, v[2:3]
	v_mov_b32_e32 v23, v7
	v_lshlrev_b64 v[20:21], 3, v[20:21]
	s_delay_alu instid0(VALU_DEP_3) | instskip(NEXT) | instid1(VALU_DEP_4)
	v_add_co_u32 v5, vcc_lo, s6, v5
	v_add_co_ci_u32_e32 v6, vcc_lo, s7, v6, vcc_lo
	global_load_b32 v3, v[5:6], off
	v_subrev_nc_u32_e32 v6, 17, v4
	v_mov_b32_e32 v5, v7
	s_delay_alu instid0(VALU_DEP_2) | instskip(SKIP_2) | instid1(VALU_DEP_2)
	v_lshlrev_b64 v[24:25], 3, v[6:7]
	v_add_nc_u32_e32 v6, -10, v4
	v_lshlrev_b64 v[22:23], 3, v[22:23]
	v_lshlrev_b64 v[28:29], 3, v[6:7]
	v_add_nc_u32_e32 v6, -4, v4
	v_add_co_u32 v24, vcc_lo, s8, v24
	v_add_co_ci_u32_e32 v25, vcc_lo, s9, v25, vcc_lo
	v_lshlrev_b64 v[26:27], 3, v[4:5]
	v_add_co_u32 v30, vcc_lo, s8, v20
	v_add_co_ci_u32_e32 v31, vcc_lo, s9, v21, vcc_lo
	v_add_co_u32 v34, vcc_lo, s8, v22
	v_add_co_ci_u32_e32 v35, vcc_lo, s9, v23, vcc_lo
	;; [unrolled: 2-line block ×3, first 2 shown]
	v_lshlrev_b64 v[36:37], 3, v[6:7]
	global_load_b128 v[20:23], v[24:25], off
	v_add_nc_u32_e32 v6, -15, v4
	v_add_co_u32 v24, vcc_lo, s8, v28
	v_add_co_ci_u32_e32 v25, vcc_lo, s9, v29, vcc_lo
	s_delay_alu instid0(VALU_DEP_3)
	v_lshlrev_b64 v[5:6], 3, v[6:7]
	s_clause 0x3
	global_load_b64 v[38:39], v[26:27], off
	global_load_b64 v[40:41], v[30:31], off
	;; [unrolled: 1-line block ×4, first 2 shown]
	v_add_co_u32 v24, vcc_lo, s8, v36
	v_add_co_ci_u32_e32 v25, vcc_lo, s9, v37, vcc_lo
	v_add_co_u32 v5, vcc_lo, s8, v5
	v_add_co_ci_u32_e32 v6, vcc_lo, s9, v6, vcc_lo
	s_clause 0x1
	global_load_b64 v[36:37], v[24:25], off
	global_load_b64 v[46:47], v[5:6], off
	s_waitcnt vmcnt(7)
	v_subrev_nc_u32_e32 v3, s12, v3
	s_delay_alu instid0(VALU_DEP_1) | instskip(NEXT) | instid1(VALU_DEP_1)
	v_mul_lo_u32 v32, v3, 6
	v_lshlrev_b64 v[24:25], 3, v[32:33]
	s_delay_alu instid0(VALU_DEP_1) | instskip(NEXT) | instid1(VALU_DEP_2)
	v_add_co_u32 v24, vcc_lo, s10, v24
	v_add_co_ci_u32_e32 v25, vcc_lo, s11, v25, vcc_lo
	global_load_b128 v[24:27], v[24:25], off
	v_add_nc_u32_e32 v6, 2, v32
	s_delay_alu instid0(VALU_DEP_1) | instskip(SKIP_1) | instid1(VALU_DEP_1)
	v_lshlrev_b64 v[28:29], 3, v[6:7]
	v_add_nc_u32_e32 v6, -9, v4
	v_lshlrev_b64 v[30:31], 3, v[6:7]
	s_delay_alu instid0(VALU_DEP_3) | instskip(NEXT) | instid1(VALU_DEP_4)
	v_add_co_u32 v28, vcc_lo, s10, v28
	v_add_co_ci_u32_e32 v29, vcc_lo, s11, v29, vcc_lo
	s_delay_alu instid0(VALU_DEP_3) | instskip(NEXT) | instid1(VALU_DEP_4)
	v_add_co_u32 v48, vcc_lo, s8, v30
	v_add_co_ci_u32_e32 v49, vcc_lo, s9, v31, vcc_lo
	global_load_b128 v[28:31], v[28:29], off
	v_add_nc_u32_e32 v2, 16, v2
	global_load_b64 v[48:49], v[48:49], off
	s_waitcnt vmcnt(2)
	v_fmac_f32_e32 v14, v43, v24
	v_fmac_f32_e32 v13, v21, v24
	;; [unrolled: 1-line block ×4, first 2 shown]
	s_delay_alu instid0(VALU_DEP_4) | instskip(NEXT) | instid1(VALU_DEP_4)
	v_fmac_f32_e32 v14, v42, v25
	v_dual_fmac_f32 v13, v20, v25 :: v_dual_add_nc_u32 v6, -3, v4
	v_fmac_f32_e32 v19, v40, v24
	v_fma_f32 v3, -v21, v25, v17
	s_delay_alu instid0(VALU_DEP_4) | instskip(NEXT) | instid1(VALU_DEP_4)
	v_fmac_f32_e32 v14, v37, v26
	v_fmac_f32_e32 v13, v23, v26
	v_lshlrev_b64 v[33:34], 3, v[6:7]
	v_fma_f32 v8, -v41, v25, v19
	v_fmac_f32_e32 v15, v41, v24
	v_fma_f32 v17, -v43, v25, v18
	v_fmac_f32_e32 v3, v22, v26
	s_delay_alu instid0(VALU_DEP_4)
	v_dual_fmac_f32 v13, v22, v27 :: v_dual_fmac_f32 v8, v44, v26
	v_add_co_u32 v33, vcc_lo, s8, v33
	v_add_co_ci_u32_e32 v34, vcc_lo, s9, v34, vcc_lo
	v_dual_fmac_f32 v15, v40, v25 :: v_dual_add_nc_u32 v6, -14, v4
	v_fmac_f32_e32 v17, v36, v26
	global_load_b64 v[54:55], v[33:34], off
	v_fma_f32 v3, -v23, v27, v3
	v_fmac_f32_e32 v15, v45, v26
	v_lshlrev_b64 v[50:51], 3, v[6:7]
	v_add_nc_u32_e32 v6, -8, v4
	s_waitcnt vmcnt(2)
	v_dual_fmac_f32 v14, v36, v27 :: v_dual_fmac_f32 v3, v46, v28
	v_fma_f32 v17, -v37, v27, v17
	v_fma_f32 v8, -v45, v27, v8
	v_lshlrev_b64 v[52:53], 3, v[6:7]
	v_add_co_u32 v50, vcc_lo, s8, v50
	v_add_co_ci_u32_e32 v51, vcc_lo, s9, v51, vcc_lo
	v_add_nc_u32_e32 v6, -2, v4
	s_delay_alu instid0(VALU_DEP_4)
	v_add_co_u32 v52, vcc_lo, s8, v52
	global_load_b64 v[50:51], v[50:51], off
	v_add_co_ci_u32_e32 v53, vcc_lo, s9, v53, vcc_lo
	v_fmac_f32_e32 v15, v44, v27
	v_fma_f32 v3, -v47, v29, v3
	global_load_b64 v[52:53], v[52:53], off
	v_lshlrev_b64 v[33:34], 3, v[6:7]
	v_add_nc_u32_e32 v6, -13, v4
	s_delay_alu instid0(VALU_DEP_1) | instskip(SKIP_2) | instid1(VALU_DEP_1)
	v_lshlrev_b64 v[56:57], 3, v[6:7]
	s_waitcnt vmcnt(2)
	v_fmac_f32_e32 v14, v55, v28
	v_dual_fmac_f32 v13, v47, v28 :: v_dual_fmac_f32 v14, v54, v29
	s_delay_alu instid0(VALU_DEP_1) | instskip(SKIP_2) | instid1(VALU_DEP_3)
	v_dual_fmac_f32 v13, v46, v29 :: v_dual_add_nc_u32 v6, 4, v32
	v_add_co_u32 v32, vcc_lo, s8, v33
	v_add_co_ci_u32_e32 v33, vcc_lo, s9, v34, vcc_lo
	v_lshlrev_b64 v[34:35], 3, v[6:7]
	global_load_b64 v[58:59], v[32:33], off
	v_fmac_f32_e32 v15, v49, v28
	v_add_nc_u32_e32 v6, -7, v4
	v_add_co_u32 v32, vcc_lo, s8, v56
	v_add_co_ci_u32_e32 v33, vcc_lo, s9, v57, vcc_lo
	s_delay_alu instid0(VALU_DEP_4) | instskip(NEXT) | instid1(VALU_DEP_4)
	v_fmac_f32_e32 v15, v48, v29
	v_lshlrev_b64 v[56:57], 3, v[6:7]
	v_add_co_u32 v34, vcc_lo, s10, v34
	v_add_co_ci_u32_e32 v35, vcc_lo, s11, v35, vcc_lo
	v_fmac_f32_e32 v17, v54, v28
	s_delay_alu instid0(VALU_DEP_4)
	v_add_co_u32 v56, vcc_lo, s8, v56
	v_add_co_ci_u32_e32 v57, vcc_lo, s9, v57, vcc_lo
	s_waitcnt vmcnt(1)
	v_fmac_f32_e32 v15, v53, v30
	global_load_b64 v[56:57], v[56:57], off
	v_dual_fmac_f32 v15, v52, v31 :: v_dual_add_nc_u32 v6, -1, v4
	s_delay_alu instid0(VALU_DEP_1) | instskip(NEXT) | instid1(VALU_DEP_1)
	v_lshlrev_b64 v[62:63], 3, v[6:7]
	v_add_co_u32 v62, vcc_lo, s8, v62
	s_delay_alu instid0(VALU_DEP_2)
	v_add_co_ci_u32_e32 v63, vcc_lo, s9, v63, vcc_lo
	s_clause 0x1
	global_load_b64 v[62:63], v[62:63], off
	global_load_b64 v[60:61], v[32:33], off
	v_dual_fmac_f32 v3, v50, v30 :: v_dual_add_nc_u32 v6, -12, v4
	v_fmac_f32_e32 v13, v51, v30
	global_load_b128 v[32:35], v[34:35], off
	v_fma_f32 v3, -v51, v31, v3
	v_lshlrev_b64 v[64:65], 3, v[6:7]
	v_dual_fmac_f32 v13, v50, v31 :: v_dual_add_nc_u32 v6, -6, v4
	s_delay_alu instid0(VALU_DEP_1) | instskip(NEXT) | instid1(VALU_DEP_3)
	v_lshlrev_b64 v[5:6], 3, v[6:7]
	v_add_co_u32 v64, vcc_lo, s8, v64
	s_delay_alu instid0(VALU_DEP_4) | instskip(NEXT) | instid1(VALU_DEP_3)
	v_add_co_ci_u32_e32 v65, vcc_lo, s9, v65, vcc_lo
	v_add_co_u32 v5, vcc_lo, s8, v5
	s_delay_alu instid0(VALU_DEP_4)
	v_add_co_ci_u32_e32 v6, vcc_lo, s9, v6, vcc_lo
	s_clause 0x1
	global_load_b64 v[64:65], v[64:65], off
	global_load_b64 v[5:6], v[5:6], off
	v_cmp_ge_i32_e32 vcc_lo, v2, v16
	s_or_b32 s2, vcc_lo, s2
	s_waitcnt vmcnt(6)
	v_fmac_f32_e32 v14, v59, v30
	v_fma_f32 v17, -v55, v29, v17
	v_add_nc_u32_e32 v4, 0x120, v4
	s_delay_alu instid0(VALU_DEP_3) | instskip(NEXT) | instid1(VALU_DEP_3)
	v_fmac_f32_e32 v14, v58, v31
	v_fmac_f32_e32 v17, v58, v30
	s_delay_alu instid0(VALU_DEP_1) | instskip(SKIP_2) | instid1(VALU_DEP_2)
	v_fma_f32 v17, -v59, v31, v17
	s_waitcnt vmcnt(2)
	v_fmac_f32_e32 v3, v60, v32
	v_fmac_f32_e32 v17, v62, v32
	s_delay_alu instid0(VALU_DEP_2) | instskip(NEXT) | instid1(VALU_DEP_2)
	v_fma_f32 v3, -v61, v33, v3
	v_fma_f32 v18, -v63, v33, v17
	s_delay_alu instid0(VALU_DEP_1) | instskip(NEXT) | instid1(VALU_DEP_1)
	v_dual_fmac_f32 v15, v57, v32 :: v_dual_fmac_f32 v18, v38, v34
	v_dual_fmac_f32 v14, v63, v32 :: v_dual_fmac_f32 v15, v56, v33
	v_fmac_f32_e32 v13, v61, v32
	s_delay_alu instid0(VALU_DEP_3) | instskip(NEXT) | instid1(VALU_DEP_3)
	v_fma_f32 v18, -v39, v35, v18
	v_fmac_f32_e32 v14, v62, v33
	s_delay_alu instid0(VALU_DEP_3) | instskip(SKIP_2) | instid1(VALU_DEP_2)
	v_fmac_f32_e32 v13, v60, v33
	s_waitcnt vmcnt(0)
	v_dual_fmac_f32 v8, v48, v28 :: v_dual_fmac_f32 v15, v6, v34
	v_fmac_f32_e32 v13, v65, v34
	s_delay_alu instid0(VALU_DEP_2) | instskip(NEXT) | instid1(VALU_DEP_3)
	v_fma_f32 v8, -v49, v29, v8
	v_dual_fmac_f32 v14, v39, v34 :: v_dual_fmac_f32 v15, v5, v35
	s_delay_alu instid0(VALU_DEP_3) | instskip(NEXT) | instid1(VALU_DEP_3)
	v_fmac_f32_e32 v13, v64, v35
	v_fmac_f32_e32 v8, v52, v30
	s_delay_alu instid0(VALU_DEP_3) | instskip(NEXT) | instid1(VALU_DEP_2)
	v_dual_fmac_f32 v3, v64, v34 :: v_dual_fmac_f32 v14, v38, v35
	v_fma_f32 v8, -v53, v31, v8
	s_delay_alu instid0(VALU_DEP_2) | instskip(NEXT) | instid1(VALU_DEP_2)
	v_fma_f32 v17, -v65, v35, v3
	v_fmac_f32_e32 v8, v56, v32
	s_delay_alu instid0(VALU_DEP_1) | instskip(NEXT) | instid1(VALU_DEP_1)
	v_fma_f32 v8, -v57, v33, v8
	v_fmac_f32_e32 v8, v5, v34
	s_delay_alu instid0(VALU_DEP_1)
	v_fma_f32 v19, -v6, v35, v8
	s_and_not1_b32 exec_lo, exec_lo, s2
	s_cbranch_execnz .LBB96_21
; %bb.22:
	s_or_b32 exec_lo, exec_lo, s2
.LBB96_23:
	s_delay_alu instid0(SALU_CYCLE_1)
	s_or_b32 exec_lo, exec_lo, s3
.LBB96_24:
	v_mbcnt_lo_u32_b32 v2, -1, 0
	s_delay_alu instid0(VALU_DEP_1) | instskip(SKIP_1) | instid1(VALU_DEP_2)
	v_xor_b32_e32 v3, 8, v2
	v_xor_b32_e32 v16, 4, v2
	v_cmp_gt_i32_e32 vcc_lo, 32, v3
	v_cndmask_b32_e32 v3, v2, v3, vcc_lo
	s_delay_alu instid0(VALU_DEP_3) | instskip(SKIP_1) | instid1(VALU_DEP_1)
	v_cmp_gt_i32_e32 vcc_lo, 32, v16
	v_cndmask_b32_e32 v16, v2, v16, vcc_lo
	v_lshlrev_b32_e32 v16, 2, v16
	s_delay_alu instid0(VALU_DEP_4)
	v_lshlrev_b32_e32 v3, 2, v3
	ds_bpermute_b32 v4, v3, v17
	s_waitcnt lgkmcnt(0)
	v_add_f32_e32 v4, v17, v4
	ds_bpermute_b32 v5, v3, v13
	ds_bpermute_b32 v6, v3, v19
	;; [unrolled: 1-line block ×5, first 2 shown]
	s_waitcnt lgkmcnt(3)
	v_dual_add_f32 v5, v13, v5 :: v_dual_add_f32 v6, v19, v6
	s_waitcnt lgkmcnt(1)
	v_dual_add_f32 v7, v15, v7 :: v_dual_add_f32 v8, v18, v8
	s_waitcnt lgkmcnt(0)
	v_add_f32_e32 v3, v14, v3
	ds_bpermute_b32 v13, v16, v4
	ds_bpermute_b32 v14, v16, v5
	;; [unrolled: 1-line block ×6, first 2 shown]
	v_xor_b32_e32 v19, 2, v2
	s_delay_alu instid0(VALU_DEP_1) | instskip(SKIP_2) | instid1(VALU_DEP_1)
	v_cmp_gt_i32_e32 vcc_lo, 32, v19
	s_waitcnt lgkmcnt(5)
	v_dual_cndmask_b32 v19, v2, v19 :: v_dual_add_f32 v4, v4, v13
	v_lshlrev_b32_e32 v19, 2, v19
	s_waitcnt lgkmcnt(3)
	v_dual_add_f32 v5, v5, v14 :: v_dual_add_f32 v6, v6, v15
	s_waitcnt lgkmcnt(1)
	v_dual_add_f32 v13, v7, v17 :: v_dual_add_f32 v14, v8, v18
	s_waitcnt lgkmcnt(0)
	v_add_f32_e32 v15, v3, v16
	ds_bpermute_b32 v3, v19, v4
	ds_bpermute_b32 v7, v19, v5
	;; [unrolled: 1-line block ×6, first 2 shown]
	v_xor_b32_e32 v19, 1, v2
	s_delay_alu instid0(VALU_DEP_1) | instskip(SKIP_3) | instid1(VALU_DEP_2)
	v_cmp_gt_i32_e32 vcc_lo, 32, v19
	v_cndmask_b32_e32 v2, v2, v19, vcc_lo
	v_cmp_eq_u32_e32 vcc_lo, 15, v0
	s_waitcnt lgkmcnt(5)
	v_dual_add_f32 v2, v4, v3 :: v_dual_lshlrev_b32 v19, 2, v2
	s_waitcnt lgkmcnt(4)
	v_add_f32_e32 v5, v5, v7
	s_waitcnt lgkmcnt(0)
	v_dual_add_f32 v7, v6, v8 :: v_dual_add_f32 v4, v15, v18
	v_dual_add_f32 v8, v13, v16 :: v_dual_add_f32 v3, v14, v17
	ds_bpermute_b32 v6, v19, v2
	ds_bpermute_b32 v15, v19, v5
	;; [unrolled: 1-line block ×6, first 2 shown]
	s_and_b32 exec_lo, exec_lo, vcc_lo
	s_cbranch_execz .LBB96_29
; %bb.25:
	s_load_b64 s[2:3], s[0:1], 0x38
	v_cmp_eq_f32_e32 vcc_lo, 0, v11
	v_cmp_eq_f32_e64 s0, 0, v12
	s_waitcnt lgkmcnt(0)
	v_add_f32_e32 v0, v2, v6
	v_dual_add_f32 v6, v5, v15 :: v_dual_add_f32 v3, v3, v13
	v_dual_add_f32 v2, v7, v16 :: v_dual_add_f32 v5, v8, v17
	v_add_f32_e32 v4, v4, v14
	s_and_b32 s0, vcc_lo, s0
	s_delay_alu instid0(SALU_CYCLE_1) | instskip(NEXT) | instid1(SALU_CYCLE_1)
	s_and_saveexec_b32 s1, s0
	s_xor_b32 s0, exec_lo, s1
	s_cbranch_execz .LBB96_27
; %bb.26:
	v_lshl_add_u32 v7, v1, 1, v1
	v_mul_f32_e64 v11, v6, -v10
	v_mul_f32_e32 v12, v6, v9
	v_mul_f32_e64 v13, v5, -v10
	v_mul_f32_e32 v14, v5, v9
	v_ashrrev_i32_e32 v8, 31, v7
	v_fmac_f32_e32 v11, v9, v0
	v_mul_f32_e64 v5, v4, -v10
	v_dual_mul_f32 v6, v4, v9 :: v_dual_fmac_f32 v13, v9, v2
	s_delay_alu instid0(VALU_DEP_4) | instskip(NEXT) | instid1(VALU_DEP_3)
	v_lshlrev_b64 v[7:8], 3, v[7:8]
	v_dual_fmac_f32 v12, v10, v0 :: v_dual_fmac_f32 v5, v9, v3
	v_fmac_f32_e32 v14, v10, v2
	s_delay_alu instid0(VALU_DEP_4) | instskip(NEXT) | instid1(VALU_DEP_4)
	v_fmac_f32_e32 v6, v10, v3
                                        ; implicit-def: $vgpr9
                                        ; implicit-def: $vgpr10
                                        ; implicit-def: $vgpr2
                                        ; implicit-def: $vgpr3
                                        ; implicit-def: $vgpr4
	v_add_co_u32 v0, vcc_lo, s2, v7
	v_add_co_ci_u32_e32 v1, vcc_lo, s3, v8, vcc_lo
	s_clause 0x1
	global_store_b128 v[0:1], v[11:14], off
	global_store_b64 v[0:1], v[5:6], off offset:16
                                        ; implicit-def: $vgpr11
                                        ; implicit-def: $vgpr12
                                        ; implicit-def: $vgpr1
                                        ; implicit-def: $vgpr0
                                        ; implicit-def: $vgpr6
                                        ; implicit-def: $vgpr5
.LBB96_27:
	s_and_not1_saveexec_b32 s0, s0
	s_cbranch_execz .LBB96_29
; %bb.28:
	v_lshl_add_u32 v7, v1, 1, v1
	v_mul_f32_e64 v21, v5, -v10
	v_mul_f32_e64 v22, v4, -v10
	s_delay_alu instid0(VALU_DEP_3) | instskip(NEXT) | instid1(VALU_DEP_1)
	v_ashrrev_i32_e32 v8, 31, v7
	v_lshlrev_b64 v[7:8], 3, v[7:8]
	s_delay_alu instid0(VALU_DEP_1) | instskip(NEXT) | instid1(VALU_DEP_2)
	v_add_co_u32 v17, vcc_lo, s2, v7
	v_add_co_ci_u32_e32 v18, vcc_lo, s3, v8, vcc_lo
	v_mul_f32_e64 v7, v6, -v10
	v_mul_f32_e32 v6, v6, v9
	s_clause 0x1
	global_load_b128 v[13:16], v[17:18], off
	global_load_b64 v[19:20], v[17:18], off offset:16
	v_fmac_f32_e32 v7, v9, v0
	v_dual_mul_f32 v1, v4, v9 :: v_dual_fmac_f32 v6, v10, v0
	v_mul_f32_e32 v8, v5, v9
	v_fmac_f32_e32 v21, v9, v2
	s_delay_alu instid0(VALU_DEP_3) | instskip(SKIP_1) | instid1(VALU_DEP_3)
	v_fmac_f32_e32 v1, v10, v3
	s_waitcnt vmcnt(1)
	v_dual_fmac_f32 v8, v10, v2 :: v_dual_fmac_f32 v7, v11, v13
	v_fmac_f32_e32 v6, v12, v13
	s_waitcnt vmcnt(0)
	v_fmac_f32_e32 v1, v12, v19
	v_fmac_f32_e32 v21, v11, v15
	;; [unrolled: 1-line block ×3, first 2 shown]
	v_fma_f32 v5, -v12, v14, v7
	v_fmac_f32_e32 v6, v11, v14
	v_dual_fmac_f32 v22, v9, v3 :: v_dual_fmac_f32 v1, v11, v20
	v_fma_f32 v7, -v12, v16, v21
	v_fmac_f32_e32 v8, v11, v16
	s_delay_alu instid0(VALU_DEP_3) | instskip(NEXT) | instid1(VALU_DEP_1)
	v_fmac_f32_e32 v22, v11, v19
	v_fma_f32 v0, -v12, v20, v22
	s_clause 0x1
	global_store_b128 v[17:18], v[5:8], off
	global_store_b64 v[17:18], v[0:1], off offset:16
.LBB96_29:
	s_nop 0
	s_sendmsg sendmsg(MSG_DEALLOC_VGPRS)
	s_endpgm
	.section	.rodata,"a",@progbits
	.p2align	6, 0x0
	.amdhsa_kernel _ZN9rocsparseL19gebsrmvn_3xn_kernelILj128ELj6ELj16E21rocsparse_complex_numIfEEEvi20rocsparse_direction_NS_24const_host_device_scalarIT2_EEPKiS8_PKS5_SA_S6_PS5_21rocsparse_index_base_b
		.amdhsa_group_segment_fixed_size 0
		.amdhsa_private_segment_fixed_size 0
		.amdhsa_kernarg_size 72
		.amdhsa_user_sgpr_count 15
		.amdhsa_user_sgpr_dispatch_ptr 0
		.amdhsa_user_sgpr_queue_ptr 0
		.amdhsa_user_sgpr_kernarg_segment_ptr 1
		.amdhsa_user_sgpr_dispatch_id 0
		.amdhsa_user_sgpr_private_segment_size 0
		.amdhsa_wavefront_size32 1
		.amdhsa_uses_dynamic_stack 0
		.amdhsa_enable_private_segment 0
		.amdhsa_system_sgpr_workgroup_id_x 1
		.amdhsa_system_sgpr_workgroup_id_y 0
		.amdhsa_system_sgpr_workgroup_id_z 0
		.amdhsa_system_sgpr_workgroup_info 0
		.amdhsa_system_vgpr_workitem_id 0
		.amdhsa_next_free_vgpr 66
		.amdhsa_next_free_sgpr 16
		.amdhsa_reserve_vcc 1
		.amdhsa_float_round_mode_32 0
		.amdhsa_float_round_mode_16_64 0
		.amdhsa_float_denorm_mode_32 3
		.amdhsa_float_denorm_mode_16_64 3
		.amdhsa_dx10_clamp 1
		.amdhsa_ieee_mode 1
		.amdhsa_fp16_overflow 0
		.amdhsa_workgroup_processor_mode 1
		.amdhsa_memory_ordered 1
		.amdhsa_forward_progress 0
		.amdhsa_shared_vgpr_count 0
		.amdhsa_exception_fp_ieee_invalid_op 0
		.amdhsa_exception_fp_denorm_src 0
		.amdhsa_exception_fp_ieee_div_zero 0
		.amdhsa_exception_fp_ieee_overflow 0
		.amdhsa_exception_fp_ieee_underflow 0
		.amdhsa_exception_fp_ieee_inexact 0
		.amdhsa_exception_int_div_zero 0
	.end_amdhsa_kernel
	.section	.text._ZN9rocsparseL19gebsrmvn_3xn_kernelILj128ELj6ELj16E21rocsparse_complex_numIfEEEvi20rocsparse_direction_NS_24const_host_device_scalarIT2_EEPKiS8_PKS5_SA_S6_PS5_21rocsparse_index_base_b,"axG",@progbits,_ZN9rocsparseL19gebsrmvn_3xn_kernelILj128ELj6ELj16E21rocsparse_complex_numIfEEEvi20rocsparse_direction_NS_24const_host_device_scalarIT2_EEPKiS8_PKS5_SA_S6_PS5_21rocsparse_index_base_b,comdat
.Lfunc_end96:
	.size	_ZN9rocsparseL19gebsrmvn_3xn_kernelILj128ELj6ELj16E21rocsparse_complex_numIfEEEvi20rocsparse_direction_NS_24const_host_device_scalarIT2_EEPKiS8_PKS5_SA_S6_PS5_21rocsparse_index_base_b, .Lfunc_end96-_ZN9rocsparseL19gebsrmvn_3xn_kernelILj128ELj6ELj16E21rocsparse_complex_numIfEEEvi20rocsparse_direction_NS_24const_host_device_scalarIT2_EEPKiS8_PKS5_SA_S6_PS5_21rocsparse_index_base_b
                                        ; -- End function
	.section	.AMDGPU.csdata,"",@progbits
; Kernel info:
; codeLenInByte = 4008
; NumSgprs: 18
; NumVgprs: 66
; ScratchSize: 0
; MemoryBound: 0
; FloatMode: 240
; IeeeMode: 1
; LDSByteSize: 0 bytes/workgroup (compile time only)
; SGPRBlocks: 2
; VGPRBlocks: 8
; NumSGPRsForWavesPerEU: 18
; NumVGPRsForWavesPerEU: 66
; Occupancy: 16
; WaveLimiterHint : 1
; COMPUTE_PGM_RSRC2:SCRATCH_EN: 0
; COMPUTE_PGM_RSRC2:USER_SGPR: 15
; COMPUTE_PGM_RSRC2:TRAP_HANDLER: 0
; COMPUTE_PGM_RSRC2:TGID_X_EN: 1
; COMPUTE_PGM_RSRC2:TGID_Y_EN: 0
; COMPUTE_PGM_RSRC2:TGID_Z_EN: 0
; COMPUTE_PGM_RSRC2:TIDIG_COMP_CNT: 0
	.section	.text._ZN9rocsparseL19gebsrmvn_3xn_kernelILj128ELj6ELj32E21rocsparse_complex_numIfEEEvi20rocsparse_direction_NS_24const_host_device_scalarIT2_EEPKiS8_PKS5_SA_S6_PS5_21rocsparse_index_base_b,"axG",@progbits,_ZN9rocsparseL19gebsrmvn_3xn_kernelILj128ELj6ELj32E21rocsparse_complex_numIfEEEvi20rocsparse_direction_NS_24const_host_device_scalarIT2_EEPKiS8_PKS5_SA_S6_PS5_21rocsparse_index_base_b,comdat
	.globl	_ZN9rocsparseL19gebsrmvn_3xn_kernelILj128ELj6ELj32E21rocsparse_complex_numIfEEEvi20rocsparse_direction_NS_24const_host_device_scalarIT2_EEPKiS8_PKS5_SA_S6_PS5_21rocsparse_index_base_b ; -- Begin function _ZN9rocsparseL19gebsrmvn_3xn_kernelILj128ELj6ELj32E21rocsparse_complex_numIfEEEvi20rocsparse_direction_NS_24const_host_device_scalarIT2_EEPKiS8_PKS5_SA_S6_PS5_21rocsparse_index_base_b
	.p2align	8
	.type	_ZN9rocsparseL19gebsrmvn_3xn_kernelILj128ELj6ELj32E21rocsparse_complex_numIfEEEvi20rocsparse_direction_NS_24const_host_device_scalarIT2_EEPKiS8_PKS5_SA_S6_PS5_21rocsparse_index_base_b,@function
_ZN9rocsparseL19gebsrmvn_3xn_kernelILj128ELj6ELj32E21rocsparse_complex_numIfEEEvi20rocsparse_direction_NS_24const_host_device_scalarIT2_EEPKiS8_PKS5_SA_S6_PS5_21rocsparse_index_base_b: ; @_ZN9rocsparseL19gebsrmvn_3xn_kernelILj128ELj6ELj32E21rocsparse_complex_numIfEEEvi20rocsparse_direction_NS_24const_host_device_scalarIT2_EEPKiS8_PKS5_SA_S6_PS5_21rocsparse_index_base_b
; %bb.0:
	s_clause 0x2
	s_load_b64 s[12:13], s[0:1], 0x40
	s_load_b64 s[4:5], s[0:1], 0x8
	;; [unrolled: 1-line block ×3, first 2 shown]
	s_waitcnt lgkmcnt(0)
	s_bitcmp1_b32 s13, 0
	v_mov_b32_e32 v9, s4
	s_cselect_b32 s6, -1, 0
	s_delay_alu instid0(SALU_CYCLE_1)
	s_and_b32 vcc_lo, exec_lo, s6
	s_xor_b32 s6, s6, -1
	s_cbranch_vccz .LBB97_15
; %bb.1:
	v_cndmask_b32_e64 v1, 0, 1, s6
	v_mov_b32_e32 v10, s5
	s_and_not1_b32 vcc_lo, exec_lo, s6
	s_cbranch_vccz .LBB97_16
.LBB97_2:
	s_delay_alu instid0(VALU_DEP_2)
	v_cmp_ne_u32_e32 vcc_lo, 1, v1
	v_mov_b32_e32 v11, s2
	s_cbranch_vccz .LBB97_17
.LBB97_3:
	v_cmp_ne_u32_e32 vcc_lo, 1, v1
	v_mov_b32_e32 v12, s3
	s_cbranch_vccnz .LBB97_5
.LBB97_4:
	v_dual_mov_b32 v1, s2 :: v_dual_mov_b32 v2, s3
	flat_load_b32 v12, v[1:2] offset:4
.LBB97_5:
	s_waitcnt vmcnt(0) lgkmcnt(0)
	v_cmp_eq_f32_e32 vcc_lo, 0, v9
	v_cmp_eq_f32_e64 s2, 0, v10
	s_delay_alu instid0(VALU_DEP_1)
	s_and_b32 s4, vcc_lo, s2
	s_mov_b32 s2, -1
	s_and_saveexec_b32 s3, s4
; %bb.6:
	v_cmp_neq_f32_e32 vcc_lo, 1.0, v11
	v_cmp_neq_f32_e64 s2, 0, v12
	s_delay_alu instid0(VALU_DEP_1) | instskip(NEXT) | instid1(SALU_CYCLE_1)
	s_or_b32 s2, vcc_lo, s2
	s_or_not1_b32 s2, s2, exec_lo
; %bb.7:
	s_or_b32 exec_lo, exec_lo, s3
	s_and_saveexec_b32 s3, s2
	s_cbranch_execz .LBB97_29
; %bb.8:
	s_load_b64 s[2:3], s[0:1], 0x0
	v_lshrrev_b32_e32 v1, 5, v0
	s_delay_alu instid0(VALU_DEP_1) | instskip(SKIP_1) | instid1(VALU_DEP_1)
	v_lshl_or_b32 v1, s15, 2, v1
	s_waitcnt lgkmcnt(0)
	v_cmp_gt_i32_e32 vcc_lo, s2, v1
	s_and_b32 exec_lo, exec_lo, vcc_lo
	s_cbranch_execz .LBB97_29
; %bb.9:
	s_load_b256 s[4:11], s[0:1], 0x10
	v_ashrrev_i32_e32 v2, 31, v1
	v_and_b32_e32 v0, 31, v0
	s_cmp_lg_u32 s3, 0
	s_delay_alu instid0(VALU_DEP_2) | instskip(SKIP_1) | instid1(VALU_DEP_1)
	v_lshlrev_b64 v[2:3], 2, v[1:2]
	s_waitcnt lgkmcnt(0)
	v_add_co_u32 v2, vcc_lo, s4, v2
	s_delay_alu instid0(VALU_DEP_2) | instskip(SKIP_4) | instid1(VALU_DEP_2)
	v_add_co_ci_u32_e32 v3, vcc_lo, s5, v3, vcc_lo
	global_load_b64 v[2:3], v[2:3], off
	s_waitcnt vmcnt(0)
	v_subrev_nc_u32_e32 v2, s12, v2
	v_subrev_nc_u32_e32 v16, s12, v3
	v_add_nc_u32_e32 v2, v2, v0
	s_delay_alu instid0(VALU_DEP_1)
	v_cmp_lt_i32_e64 s2, v2, v16
	s_cbranch_scc0 .LBB97_18
; %bb.10:
	v_dual_mov_b32 v13, 0 :: v_dual_mov_b32 v18, 0
	v_dual_mov_b32 v17, 0 :: v_dual_mov_b32 v14, 0
	v_mov_b32_e32 v19, 0
	v_mov_b32_e32 v15, 0
	s_mov_b32 s3, 0
	s_and_saveexec_b32 s4, s2
	s_cbranch_execz .LBB97_14
; %bb.11:
	v_mad_u64_u32 v[3:4], null, v2, 18, 17
	v_dual_mov_b32 v6, 0 :: v_dual_mov_b32 v7, v2
	v_dual_mov_b32 v13, 0 :: v_dual_mov_b32 v18, 0
	;; [unrolled: 1-line block ×3, first 2 shown]
	v_mov_b32_e32 v19, 0
	v_mov_b32_e32 v15, 0
	s_mov_b32 s5, 0
.LBB97_12:                              ; =>This Inner Loop Header: Depth=1
	v_ashrrev_i32_e32 v8, 31, v7
	s_delay_alu instid0(VALU_DEP_1) | instskip(NEXT) | instid1(VALU_DEP_1)
	v_lshlrev_b64 v[4:5], 2, v[7:8]
	v_add_co_u32 v4, vcc_lo, s6, v4
	s_delay_alu instid0(VALU_DEP_2) | instskip(SKIP_3) | instid1(VALU_DEP_2)
	v_add_co_ci_u32_e32 v5, vcc_lo, s7, v5, vcc_lo
	global_load_b32 v8, v[4:5], off
	v_subrev_nc_u32_e32 v5, 17, v3
	v_mov_b32_e32 v4, v6
	v_lshlrev_b64 v[20:21], 3, v[5:6]
	v_add_nc_u32_e32 v5, -15, v3
	s_delay_alu instid0(VALU_DEP_3) | instskip(NEXT) | instid1(VALU_DEP_2)
	v_lshlrev_b64 v[22:23], 3, v[3:4]
	v_lshlrev_b64 v[24:25], 3, v[5:6]
	s_delay_alu instid0(VALU_DEP_4) | instskip(SKIP_1) | instid1(VALU_DEP_4)
	v_add_co_u32 v20, vcc_lo, s8, v20
	v_add_co_ci_u32_e32 v21, vcc_lo, s9, v21, vcc_lo
	v_add_co_u32 v26, vcc_lo, s8, v22
	v_add_co_ci_u32_e32 v27, vcc_lo, s9, v23, vcc_lo
	;; [unrolled: 2-line block ×3, first 2 shown]
	s_clause 0x2
	global_load_b128 v[20:23], v[20:21], off
	global_load_b64 v[36:37], v[26:27], off
	global_load_b64 v[38:39], v[24:25], off
	v_add_nc_u32_e32 v5, -14, v3
	v_mov_b32_e32 v33, v6
	s_delay_alu instid0(VALU_DEP_2) | instskip(SKIP_1) | instid1(VALU_DEP_1)
	v_lshlrev_b64 v[28:29], 3, v[5:6]
	v_add_nc_u32_e32 v5, -13, v3
	v_lshlrev_b64 v[26:27], 3, v[5:6]
	s_delay_alu instid0(VALU_DEP_3) | instskip(NEXT) | instid1(VALU_DEP_4)
	v_add_co_u32 v24, vcc_lo, s8, v28
	v_add_co_ci_u32_e32 v25, vcc_lo, s9, v29, vcc_lo
	s_delay_alu instid0(VALU_DEP_3) | instskip(NEXT) | instid1(VALU_DEP_4)
	v_add_co_u32 v26, vcc_lo, s8, v26
	v_add_co_ci_u32_e32 v27, vcc_lo, s9, v27, vcc_lo
	s_clause 0x1
	global_load_b64 v[40:41], v[24:25], off
	global_load_b64 v[42:43], v[26:27], off
	v_add_nc_u32_e32 v5, -12, v3
	s_delay_alu instid0(VALU_DEP_1) | instskip(SKIP_1) | instid1(VALU_DEP_1)
	v_lshlrev_b64 v[28:29], 3, v[5:6]
	v_add_nc_u32_e32 v5, -11, v3
	v_lshlrev_b64 v[4:5], 3, v[5:6]
	s_delay_alu instid0(VALU_DEP_3) | instskip(NEXT) | instid1(VALU_DEP_4)
	v_add_co_u32 v24, vcc_lo, s8, v28
	v_add_co_ci_u32_e32 v25, vcc_lo, s9, v29, vcc_lo
	s_delay_alu instid0(VALU_DEP_3) | instskip(NEXT) | instid1(VALU_DEP_4)
	v_add_co_u32 v4, vcc_lo, s8, v4
	v_add_co_ci_u32_e32 v5, vcc_lo, s9, v5, vcc_lo
	s_clause 0x1
	global_load_b64 v[44:45], v[24:25], off
	global_load_b64 v[46:47], v[4:5], off
	s_waitcnt vmcnt(7)
	v_subrev_nc_u32_e32 v4, s12, v8
	s_delay_alu instid0(VALU_DEP_1) | instskip(NEXT) | instid1(VALU_DEP_1)
	v_mul_lo_u32 v32, v4, 6
	v_lshlrev_b64 v[24:25], 3, v[32:33]
	s_delay_alu instid0(VALU_DEP_1) | instskip(NEXT) | instid1(VALU_DEP_2)
	v_add_co_u32 v24, vcc_lo, s10, v24
	v_add_co_ci_u32_e32 v25, vcc_lo, s11, v25, vcc_lo
	global_load_b128 v[24:27], v[24:25], off
	v_add_nc_u32_e32 v5, 2, v32
	s_delay_alu instid0(VALU_DEP_1) | instskip(SKIP_1) | instid1(VALU_DEP_1)
	v_lshlrev_b64 v[28:29], 3, v[5:6]
	v_add_nc_u32_e32 v5, -10, v3
	v_lshlrev_b64 v[30:31], 3, v[5:6]
	s_delay_alu instid0(VALU_DEP_3) | instskip(NEXT) | instid1(VALU_DEP_4)
	v_add_co_u32 v28, vcc_lo, s10, v28
	v_add_co_ci_u32_e32 v29, vcc_lo, s11, v29, vcc_lo
	s_delay_alu instid0(VALU_DEP_3) | instskip(NEXT) | instid1(VALU_DEP_4)
	v_add_co_u32 v48, vcc_lo, s8, v30
	v_add_co_ci_u32_e32 v49, vcc_lo, s9, v31, vcc_lo
	global_load_b128 v[28:31], v[28:29], off
	global_load_b64 v[48:49], v[48:49], off
	s_waitcnt vmcnt(2)
	v_fmac_f32_e32 v18, v38, v24
	v_fmac_f32_e32 v14, v39, v24
	;; [unrolled: 1-line block ×3, first 2 shown]
	s_delay_alu instid0(VALU_DEP_3) | instskip(NEXT) | instid1(VALU_DEP_3)
	v_fma_f32 v18, -v39, v25, v18
	v_fmac_f32_e32 v14, v38, v25
	s_delay_alu instid0(VALU_DEP_3) | instskip(NEXT) | instid1(VALU_DEP_3)
	v_fma_f32 v8, -v21, v25, v17
	v_fmac_f32_e32 v18, v44, v26
	s_delay_alu instid0(VALU_DEP_3) | instskip(NEXT) | instid1(VALU_DEP_3)
	v_fmac_f32_e32 v14, v45, v26
	v_dual_fmac_f32 v13, v21, v24 :: v_dual_fmac_f32 v8, v40, v26
	s_delay_alu instid0(VALU_DEP_3) | instskip(NEXT) | instid1(VALU_DEP_3)
	v_fma_f32 v18, -v45, v27, v18
	v_fmac_f32_e32 v14, v44, v27
	v_add_nc_u32_e32 v5, -9, v3
	s_delay_alu instid0(VALU_DEP_4) | instskip(SKIP_1) | instid1(VALU_DEP_3)
	v_fma_f32 v8, -v41, v27, v8
	v_fmac_f32_e32 v13, v20, v25
	v_lshlrev_b64 v[33:34], 3, v[5:6]
	s_waitcnt vmcnt(1)
	s_delay_alu instid0(VALU_DEP_2) | instskip(NEXT) | instid1(VALU_DEP_1)
	v_dual_fmac_f32 v8, v46, v28 :: v_dual_fmac_f32 v13, v41, v26
	v_fma_f32 v8, -v47, v29, v8
	s_delay_alu instid0(VALU_DEP_3) | instskip(NEXT) | instid1(VALU_DEP_4)
	v_add_co_u32 v33, vcc_lo, s8, v33
	v_add_co_ci_u32_e32 v34, vcc_lo, s9, v34, vcc_lo
	s_delay_alu instid0(VALU_DEP_4) | instskip(SKIP_3) | instid1(VALU_DEP_2)
	v_fmac_f32_e32 v13, v40, v27
	global_load_b64 v[54:55], v[33:34], off
	v_add_nc_u32_e32 v5, -8, v3
	v_fmac_f32_e32 v13, v47, v28
	v_lshlrev_b64 v[50:51], 3, v[5:6]
	v_add_nc_u32_e32 v5, -7, v3
	s_delay_alu instid0(VALU_DEP_3) | instskip(NEXT) | instid1(VALU_DEP_2)
	v_fmac_f32_e32 v13, v46, v29
	v_lshlrev_b64 v[52:53], 3, v[5:6]
	s_delay_alu instid0(VALU_DEP_4) | instskip(SKIP_1) | instid1(VALU_DEP_3)
	v_add_co_u32 v50, vcc_lo, s8, v50
	v_add_co_ci_u32_e32 v51, vcc_lo, s9, v51, vcc_lo
	v_add_co_u32 v52, vcc_lo, s8, v52
	s_delay_alu instid0(VALU_DEP_4)
	v_add_co_ci_u32_e32 v53, vcc_lo, s9, v53, vcc_lo
	global_load_b64 v[50:51], v[50:51], off
	v_add_nc_u32_e32 v5, -6, v3
	global_load_b64 v[52:53], v[52:53], off
	v_lshlrev_b64 v[33:34], 3, v[5:6]
	s_waitcnt vmcnt(2)
	v_fmac_f32_e32 v18, v54, v28
	v_fmac_f32_e32 v14, v55, v28
	s_delay_alu instid0(VALU_DEP_2) | instskip(NEXT) | instid1(VALU_DEP_2)
	v_fma_f32 v18, -v55, v29, v18
	v_dual_fmac_f32 v14, v54, v29 :: v_dual_add_nc_u32 v5, -5, v3
	s_delay_alu instid0(VALU_DEP_1)
	v_lshlrev_b64 v[56:57], 3, v[5:6]
	v_add_nc_u32_e32 v5, 4, v32
	v_add_co_u32 v32, vcc_lo, s8, v33
	v_add_co_ci_u32_e32 v33, vcc_lo, s9, v34, vcc_lo
	global_load_b64 v[58:59], v[32:33], off
	v_add_co_u32 v32, vcc_lo, s8, v56
	v_add_co_ci_u32_e32 v33, vcc_lo, s9, v57, vcc_lo
	s_waitcnt vmcnt(0)
	v_fmac_f32_e32 v14, v59, v30
	v_lshlrev_b64 v[34:35], 3, v[5:6]
	v_dual_fmac_f32 v18, v58, v30 :: v_dual_add_nc_u32 v5, -4, v3
	s_delay_alu instid0(VALU_DEP_3) | instskip(NEXT) | instid1(VALU_DEP_2)
	v_fmac_f32_e32 v14, v58, v31
	v_lshlrev_b64 v[56:57], 3, v[5:6]
	s_delay_alu instid0(VALU_DEP_3) | instskip(SKIP_3) | instid1(VALU_DEP_3)
	v_fma_f32 v18, -v59, v31, v18
	v_add_nc_u32_e32 v5, -3, v3
	v_add_co_u32 v34, vcc_lo, s10, v34
	v_add_co_ci_u32_e32 v35, vcc_lo, s11, v35, vcc_lo
	v_lshlrev_b64 v[62:63], 3, v[5:6]
	v_add_co_u32 v56, vcc_lo, s8, v56
	v_add_co_ci_u32_e32 v57, vcc_lo, s9, v57, vcc_lo
	s_delay_alu instid0(VALU_DEP_3) | instskip(NEXT) | instid1(VALU_DEP_4)
	v_add_co_u32 v62, vcc_lo, s8, v62
	v_add_co_ci_u32_e32 v63, vcc_lo, s9, v63, vcc_lo
	s_clause 0x2
	global_load_b64 v[56:57], v[56:57], off
	global_load_b64 v[62:63], v[62:63], off
	;; [unrolled: 1-line block ×3, first 2 shown]
	global_load_b128 v[32:35], v[34:35], off
	v_dual_fmac_f32 v8, v50, v30 :: v_dual_add_nc_u32 v5, -2, v3
	v_fmac_f32_e32 v13, v51, v30
	s_delay_alu instid0(VALU_DEP_2) | instskip(SKIP_1) | instid1(VALU_DEP_2)
	v_fma_f32 v8, -v51, v31, v8
	s_waitcnt vmcnt(0)
	v_dual_fmac_f32 v13, v50, v31 :: v_dual_fmac_f32 v14, v63, v32
	s_delay_alu instid0(VALU_DEP_2) | instskip(SKIP_2) | instid1(VALU_DEP_4)
	v_fmac_f32_e32 v8, v60, v32
	v_lshlrev_b64 v[64:65], 3, v[5:6]
	v_add_nc_u32_e32 v7, 32, v7
	v_dual_fmac_f32 v13, v61, v32 :: v_dual_fmac_f32 v14, v62, v33
	s_delay_alu instid0(VALU_DEP_4) | instskip(SKIP_3) | instid1(VALU_DEP_3)
	v_fma_f32 v8, -v61, v33, v8
	v_add_nc_u32_e32 v5, -1, v3
	v_add_co_u32 v64, vcc_lo, s8, v64
	v_add_co_ci_u32_e32 v65, vcc_lo, s9, v65, vcc_lo
	v_lshlrev_b64 v[4:5], 3, v[5:6]
	v_dual_fmac_f32 v19, v22, v24 :: v_dual_fmac_f32 v14, v37, v34
	v_fmac_f32_e32 v15, v23, v24
	v_dual_fmac_f32 v18, v62, v32 :: v_dual_fmac_f32 v13, v60, v33
	s_delay_alu instid0(VALU_DEP_4) | instskip(NEXT) | instid1(VALU_DEP_4)
	v_add_co_u32 v4, vcc_lo, s8, v4
	v_fmac_f32_e32 v14, v36, v35
	v_add_co_ci_u32_e32 v5, vcc_lo, s9, v5, vcc_lo
	s_clause 0x1
	global_load_b64 v[64:65], v[64:65], off
	global_load_b64 v[4:5], v[4:5], off
	v_fma_f32 v17, -v23, v25, v19
	v_fmac_f32_e32 v15, v22, v25
	v_fma_f32 v18, -v63, v33, v18
	v_add_nc_u32_e32 v3, 0x240, v3
	v_cmp_ge_i32_e32 vcc_lo, v7, v16
	v_fmac_f32_e32 v17, v42, v26
	v_fmac_f32_e32 v15, v43, v26
	v_fmac_f32_e32 v18, v36, v34
	s_or_b32 s5, vcc_lo, s5
	s_delay_alu instid0(VALU_DEP_3) | instskip(NEXT) | instid1(VALU_DEP_3)
	v_fma_f32 v17, -v43, v27, v17
	v_fmac_f32_e32 v15, v42, v27
	s_delay_alu instid0(VALU_DEP_3) | instskip(NEXT) | instid1(VALU_DEP_3)
	v_fma_f32 v18, -v37, v35, v18
	v_fmac_f32_e32 v17, v48, v28
	s_delay_alu instid0(VALU_DEP_3) | instskip(NEXT) | instid1(VALU_DEP_2)
	v_fmac_f32_e32 v15, v49, v28
	v_fma_f32 v17, -v49, v29, v17
	s_delay_alu instid0(VALU_DEP_2) | instskip(NEXT) | instid1(VALU_DEP_2)
	v_fmac_f32_e32 v15, v48, v29
	v_fmac_f32_e32 v17, v52, v30
	s_delay_alu instid0(VALU_DEP_2) | instskip(NEXT) | instid1(VALU_DEP_2)
	v_fmac_f32_e32 v15, v53, v30
	v_fma_f32 v17, -v53, v31, v17
	s_delay_alu instid0(VALU_DEP_2) | instskip(NEXT) | instid1(VALU_DEP_2)
	v_fmac_f32_e32 v15, v52, v31
	v_fmac_f32_e32 v17, v56, v32
	s_delay_alu instid0(VALU_DEP_2) | instskip(NEXT) | instid1(VALU_DEP_2)
	v_fmac_f32_e32 v15, v57, v32
	v_fma_f32 v19, -v57, v33, v17
	s_delay_alu instid0(VALU_DEP_2)
	v_fmac_f32_e32 v15, v56, v33
	s_waitcnt vmcnt(1)
	v_fmac_f32_e32 v8, v64, v34
	v_fmac_f32_e32 v13, v65, v34
	s_waitcnt vmcnt(0)
	v_fmac_f32_e32 v19, v4, v34
	v_fmac_f32_e32 v15, v5, v34
	v_fma_f32 v17, -v65, v35, v8
	v_fmac_f32_e32 v13, v64, v35
	s_delay_alu instid0(VALU_DEP_4) | instskip(NEXT) | instid1(VALU_DEP_4)
	v_fma_f32 v19, -v5, v35, v19
	v_fmac_f32_e32 v15, v4, v35
	s_and_not1_b32 exec_lo, exec_lo, s5
	s_cbranch_execnz .LBB97_12
; %bb.13:
	s_or_b32 exec_lo, exec_lo, s5
.LBB97_14:
	s_delay_alu instid0(SALU_CYCLE_1) | instskip(NEXT) | instid1(SALU_CYCLE_1)
	s_or_b32 exec_lo, exec_lo, s4
	s_and_not1_b32 vcc_lo, exec_lo, s3
	s_cbranch_vccz .LBB97_19
	s_branch .LBB97_24
.LBB97_15:
	v_dual_mov_b32 v1, s4 :: v_dual_mov_b32 v2, s5
	flat_load_b32 v9, v[1:2]
	v_cndmask_b32_e64 v1, 0, 1, s6
	v_mov_b32_e32 v10, s5
	s_and_not1_b32 vcc_lo, exec_lo, s6
	s_cbranch_vccnz .LBB97_2
.LBB97_16:
	v_dual_mov_b32 v2, s4 :: v_dual_mov_b32 v3, s5
	flat_load_b32 v10, v[2:3] offset:4
	v_cmp_ne_u32_e32 vcc_lo, 1, v1
	v_mov_b32_e32 v11, s2
	s_cbranch_vccnz .LBB97_3
.LBB97_17:
	v_dual_mov_b32 v2, s2 :: v_dual_mov_b32 v3, s3
	flat_load_b32 v11, v[2:3]
	v_cmp_ne_u32_e32 vcc_lo, 1, v1
	v_mov_b32_e32 v12, s3
	s_cbranch_vccz .LBB97_4
	s_branch .LBB97_5
.LBB97_18:
                                        ; implicit-def: $vgpr13
                                        ; implicit-def: $vgpr17
                                        ; implicit-def: $vgpr18
                                        ; implicit-def: $vgpr14
                                        ; implicit-def: $vgpr19
                                        ; implicit-def: $vgpr15
.LBB97_19:
	v_dual_mov_b32 v13, 0 :: v_dual_mov_b32 v18, 0
	v_dual_mov_b32 v17, 0 :: v_dual_mov_b32 v14, 0
	v_mov_b32_e32 v19, 0
	v_mov_b32_e32 v15, 0
	s_and_saveexec_b32 s3, s2
	s_cbranch_execz .LBB97_23
; %bb.20:
	v_mad_u64_u32 v[4:5], null, v2, 18, 17
	v_dual_mov_b32 v7, 0 :: v_dual_mov_b32 v18, 0
	v_dual_mov_b32 v13, 0 :: v_dual_mov_b32 v14, 0
	v_mov_b32_e32 v17, 0
	v_mov_b32_e32 v19, 0
	;; [unrolled: 1-line block ×3, first 2 shown]
	s_mov_b32 s2, 0
.LBB97_21:                              ; =>This Inner Loop Header: Depth=1
	v_ashrrev_i32_e32 v3, 31, v2
	v_dual_mov_b32 v33, v7 :: v_dual_add_nc_u32 v20, -11, v4
	v_dual_mov_b32 v21, v7 :: v_dual_add_nc_u32 v22, -5, v4
	s_delay_alu instid0(VALU_DEP_3) | instskip(SKIP_1) | instid1(VALU_DEP_3)
	v_lshlrev_b64 v[5:6], 2, v[2:3]
	v_mov_b32_e32 v23, v7
	v_lshlrev_b64 v[20:21], 3, v[20:21]
	s_delay_alu instid0(VALU_DEP_3) | instskip(NEXT) | instid1(VALU_DEP_4)
	v_add_co_u32 v5, vcc_lo, s6, v5
	v_add_co_ci_u32_e32 v6, vcc_lo, s7, v6, vcc_lo
	global_load_b32 v3, v[5:6], off
	v_subrev_nc_u32_e32 v6, 17, v4
	v_mov_b32_e32 v5, v7
	s_delay_alu instid0(VALU_DEP_2) | instskip(SKIP_2) | instid1(VALU_DEP_2)
	v_lshlrev_b64 v[24:25], 3, v[6:7]
	v_add_nc_u32_e32 v6, -10, v4
	v_lshlrev_b64 v[22:23], 3, v[22:23]
	v_lshlrev_b64 v[28:29], 3, v[6:7]
	v_add_nc_u32_e32 v6, -4, v4
	v_add_co_u32 v24, vcc_lo, s8, v24
	v_add_co_ci_u32_e32 v25, vcc_lo, s9, v25, vcc_lo
	v_lshlrev_b64 v[26:27], 3, v[4:5]
	v_add_co_u32 v30, vcc_lo, s8, v20
	v_add_co_ci_u32_e32 v31, vcc_lo, s9, v21, vcc_lo
	v_add_co_u32 v34, vcc_lo, s8, v22
	v_add_co_ci_u32_e32 v35, vcc_lo, s9, v23, vcc_lo
	;; [unrolled: 2-line block ×3, first 2 shown]
	v_lshlrev_b64 v[36:37], 3, v[6:7]
	global_load_b128 v[20:23], v[24:25], off
	v_add_nc_u32_e32 v6, -15, v4
	v_add_co_u32 v24, vcc_lo, s8, v28
	v_add_co_ci_u32_e32 v25, vcc_lo, s9, v29, vcc_lo
	s_delay_alu instid0(VALU_DEP_3)
	v_lshlrev_b64 v[5:6], 3, v[6:7]
	s_clause 0x3
	global_load_b64 v[38:39], v[26:27], off
	global_load_b64 v[40:41], v[30:31], off
	;; [unrolled: 1-line block ×4, first 2 shown]
	v_add_co_u32 v24, vcc_lo, s8, v36
	v_add_co_ci_u32_e32 v25, vcc_lo, s9, v37, vcc_lo
	v_add_co_u32 v5, vcc_lo, s8, v5
	v_add_co_ci_u32_e32 v6, vcc_lo, s9, v6, vcc_lo
	s_clause 0x1
	global_load_b64 v[36:37], v[24:25], off
	global_load_b64 v[46:47], v[5:6], off
	s_waitcnt vmcnt(7)
	v_subrev_nc_u32_e32 v3, s12, v3
	s_delay_alu instid0(VALU_DEP_1) | instskip(NEXT) | instid1(VALU_DEP_1)
	v_mul_lo_u32 v32, v3, 6
	v_lshlrev_b64 v[24:25], 3, v[32:33]
	s_delay_alu instid0(VALU_DEP_1) | instskip(NEXT) | instid1(VALU_DEP_2)
	v_add_co_u32 v24, vcc_lo, s10, v24
	v_add_co_ci_u32_e32 v25, vcc_lo, s11, v25, vcc_lo
	global_load_b128 v[24:27], v[24:25], off
	v_add_nc_u32_e32 v6, 2, v32
	s_delay_alu instid0(VALU_DEP_1) | instskip(SKIP_1) | instid1(VALU_DEP_1)
	v_lshlrev_b64 v[28:29], 3, v[6:7]
	v_add_nc_u32_e32 v6, -9, v4
	v_lshlrev_b64 v[30:31], 3, v[6:7]
	s_delay_alu instid0(VALU_DEP_3) | instskip(NEXT) | instid1(VALU_DEP_4)
	v_add_co_u32 v28, vcc_lo, s10, v28
	v_add_co_ci_u32_e32 v29, vcc_lo, s11, v29, vcc_lo
	s_delay_alu instid0(VALU_DEP_3) | instskip(NEXT) | instid1(VALU_DEP_4)
	v_add_co_u32 v48, vcc_lo, s8, v30
	v_add_co_ci_u32_e32 v49, vcc_lo, s9, v31, vcc_lo
	global_load_b128 v[28:31], v[28:29], off
	v_add_nc_u32_e32 v2, 32, v2
	global_load_b64 v[48:49], v[48:49], off
	s_waitcnt vmcnt(2)
	v_fmac_f32_e32 v14, v43, v24
	v_fmac_f32_e32 v13, v21, v24
	;; [unrolled: 1-line block ×4, first 2 shown]
	s_delay_alu instid0(VALU_DEP_4) | instskip(NEXT) | instid1(VALU_DEP_4)
	v_fmac_f32_e32 v14, v42, v25
	v_dual_fmac_f32 v13, v20, v25 :: v_dual_add_nc_u32 v6, -3, v4
	v_fmac_f32_e32 v19, v40, v24
	v_fma_f32 v3, -v21, v25, v17
	s_delay_alu instid0(VALU_DEP_4) | instskip(NEXT) | instid1(VALU_DEP_4)
	v_fmac_f32_e32 v14, v37, v26
	v_fmac_f32_e32 v13, v23, v26
	v_lshlrev_b64 v[33:34], 3, v[6:7]
	v_fma_f32 v8, -v41, v25, v19
	v_fmac_f32_e32 v15, v41, v24
	v_fma_f32 v17, -v43, v25, v18
	v_fmac_f32_e32 v3, v22, v26
	s_delay_alu instid0(VALU_DEP_4)
	v_dual_fmac_f32 v13, v22, v27 :: v_dual_fmac_f32 v8, v44, v26
	v_add_co_u32 v33, vcc_lo, s8, v33
	v_add_co_ci_u32_e32 v34, vcc_lo, s9, v34, vcc_lo
	v_dual_fmac_f32 v15, v40, v25 :: v_dual_add_nc_u32 v6, -14, v4
	v_fmac_f32_e32 v17, v36, v26
	global_load_b64 v[54:55], v[33:34], off
	v_fma_f32 v3, -v23, v27, v3
	v_fmac_f32_e32 v15, v45, v26
	v_lshlrev_b64 v[50:51], 3, v[6:7]
	v_add_nc_u32_e32 v6, -8, v4
	s_waitcnt vmcnt(2)
	v_dual_fmac_f32 v14, v36, v27 :: v_dual_fmac_f32 v3, v46, v28
	v_fma_f32 v17, -v37, v27, v17
	v_fma_f32 v8, -v45, v27, v8
	v_lshlrev_b64 v[52:53], 3, v[6:7]
	v_add_co_u32 v50, vcc_lo, s8, v50
	v_add_co_ci_u32_e32 v51, vcc_lo, s9, v51, vcc_lo
	v_add_nc_u32_e32 v6, -2, v4
	s_delay_alu instid0(VALU_DEP_4)
	v_add_co_u32 v52, vcc_lo, s8, v52
	global_load_b64 v[50:51], v[50:51], off
	v_add_co_ci_u32_e32 v53, vcc_lo, s9, v53, vcc_lo
	v_fmac_f32_e32 v15, v44, v27
	v_fma_f32 v3, -v47, v29, v3
	global_load_b64 v[52:53], v[52:53], off
	v_lshlrev_b64 v[33:34], 3, v[6:7]
	v_add_nc_u32_e32 v6, -13, v4
	s_delay_alu instid0(VALU_DEP_1) | instskip(SKIP_2) | instid1(VALU_DEP_1)
	v_lshlrev_b64 v[56:57], 3, v[6:7]
	s_waitcnt vmcnt(2)
	v_fmac_f32_e32 v14, v55, v28
	v_dual_fmac_f32 v13, v47, v28 :: v_dual_fmac_f32 v14, v54, v29
	s_delay_alu instid0(VALU_DEP_1) | instskip(SKIP_2) | instid1(VALU_DEP_3)
	v_dual_fmac_f32 v13, v46, v29 :: v_dual_add_nc_u32 v6, 4, v32
	v_add_co_u32 v32, vcc_lo, s8, v33
	v_add_co_ci_u32_e32 v33, vcc_lo, s9, v34, vcc_lo
	v_lshlrev_b64 v[34:35], 3, v[6:7]
	global_load_b64 v[58:59], v[32:33], off
	v_fmac_f32_e32 v15, v49, v28
	v_add_nc_u32_e32 v6, -7, v4
	v_add_co_u32 v32, vcc_lo, s8, v56
	v_add_co_ci_u32_e32 v33, vcc_lo, s9, v57, vcc_lo
	s_delay_alu instid0(VALU_DEP_4) | instskip(NEXT) | instid1(VALU_DEP_4)
	v_fmac_f32_e32 v15, v48, v29
	v_lshlrev_b64 v[56:57], 3, v[6:7]
	v_add_co_u32 v34, vcc_lo, s10, v34
	v_add_co_ci_u32_e32 v35, vcc_lo, s11, v35, vcc_lo
	v_fmac_f32_e32 v17, v54, v28
	s_delay_alu instid0(VALU_DEP_4)
	v_add_co_u32 v56, vcc_lo, s8, v56
	v_add_co_ci_u32_e32 v57, vcc_lo, s9, v57, vcc_lo
	s_waitcnt vmcnt(1)
	v_fmac_f32_e32 v15, v53, v30
	global_load_b64 v[56:57], v[56:57], off
	v_dual_fmac_f32 v15, v52, v31 :: v_dual_add_nc_u32 v6, -1, v4
	s_delay_alu instid0(VALU_DEP_1) | instskip(NEXT) | instid1(VALU_DEP_1)
	v_lshlrev_b64 v[62:63], 3, v[6:7]
	v_add_co_u32 v62, vcc_lo, s8, v62
	s_delay_alu instid0(VALU_DEP_2)
	v_add_co_ci_u32_e32 v63, vcc_lo, s9, v63, vcc_lo
	s_clause 0x1
	global_load_b64 v[62:63], v[62:63], off
	global_load_b64 v[60:61], v[32:33], off
	v_dual_fmac_f32 v3, v50, v30 :: v_dual_add_nc_u32 v6, -12, v4
	v_fmac_f32_e32 v13, v51, v30
	global_load_b128 v[32:35], v[34:35], off
	v_fma_f32 v3, -v51, v31, v3
	v_lshlrev_b64 v[64:65], 3, v[6:7]
	v_dual_fmac_f32 v13, v50, v31 :: v_dual_add_nc_u32 v6, -6, v4
	s_delay_alu instid0(VALU_DEP_1) | instskip(NEXT) | instid1(VALU_DEP_3)
	v_lshlrev_b64 v[5:6], 3, v[6:7]
	v_add_co_u32 v64, vcc_lo, s8, v64
	s_delay_alu instid0(VALU_DEP_4) | instskip(NEXT) | instid1(VALU_DEP_3)
	v_add_co_ci_u32_e32 v65, vcc_lo, s9, v65, vcc_lo
	v_add_co_u32 v5, vcc_lo, s8, v5
	s_delay_alu instid0(VALU_DEP_4)
	v_add_co_ci_u32_e32 v6, vcc_lo, s9, v6, vcc_lo
	s_clause 0x1
	global_load_b64 v[64:65], v[64:65], off
	global_load_b64 v[5:6], v[5:6], off
	v_cmp_ge_i32_e32 vcc_lo, v2, v16
	s_or_b32 s2, vcc_lo, s2
	s_waitcnt vmcnt(6)
	v_fmac_f32_e32 v14, v59, v30
	v_fma_f32 v17, -v55, v29, v17
	v_add_nc_u32_e32 v4, 0x240, v4
	s_delay_alu instid0(VALU_DEP_3) | instskip(NEXT) | instid1(VALU_DEP_3)
	v_fmac_f32_e32 v14, v58, v31
	v_fmac_f32_e32 v17, v58, v30
	s_delay_alu instid0(VALU_DEP_1) | instskip(SKIP_2) | instid1(VALU_DEP_2)
	v_fma_f32 v17, -v59, v31, v17
	s_waitcnt vmcnt(2)
	v_fmac_f32_e32 v3, v60, v32
	v_fmac_f32_e32 v17, v62, v32
	s_delay_alu instid0(VALU_DEP_2) | instskip(NEXT) | instid1(VALU_DEP_2)
	v_fma_f32 v3, -v61, v33, v3
	v_fma_f32 v18, -v63, v33, v17
	s_delay_alu instid0(VALU_DEP_1) | instskip(NEXT) | instid1(VALU_DEP_1)
	v_dual_fmac_f32 v15, v57, v32 :: v_dual_fmac_f32 v18, v38, v34
	v_dual_fmac_f32 v14, v63, v32 :: v_dual_fmac_f32 v15, v56, v33
	v_fmac_f32_e32 v13, v61, v32
	s_delay_alu instid0(VALU_DEP_3) | instskip(NEXT) | instid1(VALU_DEP_3)
	v_fma_f32 v18, -v39, v35, v18
	v_fmac_f32_e32 v14, v62, v33
	s_delay_alu instid0(VALU_DEP_3) | instskip(SKIP_2) | instid1(VALU_DEP_2)
	v_fmac_f32_e32 v13, v60, v33
	s_waitcnt vmcnt(0)
	v_dual_fmac_f32 v8, v48, v28 :: v_dual_fmac_f32 v15, v6, v34
	v_fmac_f32_e32 v13, v65, v34
	s_delay_alu instid0(VALU_DEP_2) | instskip(NEXT) | instid1(VALU_DEP_3)
	v_fma_f32 v8, -v49, v29, v8
	v_dual_fmac_f32 v14, v39, v34 :: v_dual_fmac_f32 v15, v5, v35
	s_delay_alu instid0(VALU_DEP_3) | instskip(NEXT) | instid1(VALU_DEP_3)
	v_fmac_f32_e32 v13, v64, v35
	v_fmac_f32_e32 v8, v52, v30
	s_delay_alu instid0(VALU_DEP_3) | instskip(NEXT) | instid1(VALU_DEP_2)
	v_dual_fmac_f32 v3, v64, v34 :: v_dual_fmac_f32 v14, v38, v35
	v_fma_f32 v8, -v53, v31, v8
	s_delay_alu instid0(VALU_DEP_2) | instskip(NEXT) | instid1(VALU_DEP_2)
	v_fma_f32 v17, -v65, v35, v3
	v_fmac_f32_e32 v8, v56, v32
	s_delay_alu instid0(VALU_DEP_1) | instskip(NEXT) | instid1(VALU_DEP_1)
	v_fma_f32 v8, -v57, v33, v8
	v_fmac_f32_e32 v8, v5, v34
	s_delay_alu instid0(VALU_DEP_1)
	v_fma_f32 v19, -v6, v35, v8
	s_and_not1_b32 exec_lo, exec_lo, s2
	s_cbranch_execnz .LBB97_21
; %bb.22:
	s_or_b32 exec_lo, exec_lo, s2
.LBB97_23:
	s_delay_alu instid0(SALU_CYCLE_1)
	s_or_b32 exec_lo, exec_lo, s3
.LBB97_24:
	v_mbcnt_lo_u32_b32 v2, -1, 0
	s_delay_alu instid0(VALU_DEP_1) | instskip(SKIP_1) | instid1(VALU_DEP_2)
	v_xor_b32_e32 v3, 16, v2
	v_xor_b32_e32 v16, 8, v2
	v_cmp_gt_i32_e32 vcc_lo, 32, v3
	v_cndmask_b32_e32 v3, v2, v3, vcc_lo
	s_delay_alu instid0(VALU_DEP_3) | instskip(SKIP_1) | instid1(VALU_DEP_1)
	v_cmp_gt_i32_e32 vcc_lo, 32, v16
	v_cndmask_b32_e32 v16, v2, v16, vcc_lo
	v_lshlrev_b32_e32 v16, 2, v16
	s_delay_alu instid0(VALU_DEP_4)
	v_lshlrev_b32_e32 v3, 2, v3
	ds_bpermute_b32 v4, v3, v17
	s_waitcnt lgkmcnt(0)
	v_add_f32_e32 v4, v17, v4
	ds_bpermute_b32 v5, v3, v13
	ds_bpermute_b32 v6, v3, v19
	;; [unrolled: 1-line block ×5, first 2 shown]
	s_waitcnt lgkmcnt(3)
	v_dual_add_f32 v5, v13, v5 :: v_dual_add_f32 v6, v19, v6
	s_waitcnt lgkmcnt(1)
	v_dual_add_f32 v7, v15, v7 :: v_dual_add_f32 v8, v18, v8
	s_waitcnt lgkmcnt(0)
	v_add_f32_e32 v3, v14, v3
	ds_bpermute_b32 v13, v16, v4
	ds_bpermute_b32 v14, v16, v5
	;; [unrolled: 1-line block ×4, first 2 shown]
	v_xor_b32_e32 v19, 4, v2
	ds_bpermute_b32 v17, v16, v7
	ds_bpermute_b32 v16, v16, v3
	v_cmp_gt_i32_e32 vcc_lo, 32, v19
	s_waitcnt lgkmcnt(5)
	v_dual_cndmask_b32 v19, v2, v19 :: v_dual_add_f32 v4, v4, v13
	s_delay_alu instid0(VALU_DEP_1)
	v_lshlrev_b32_e32 v19, 2, v19
	s_waitcnt lgkmcnt(3)
	v_dual_add_f32 v5, v5, v14 :: v_dual_add_f32 v6, v6, v15
	s_waitcnt lgkmcnt(2)
	v_add_f32_e32 v8, v8, v18
	ds_bpermute_b32 v13, v19, v4
	s_waitcnt lgkmcnt(1)
	v_add_f32_e32 v3, v3, v16
	ds_bpermute_b32 v15, v19, v6
	v_add_f32_e32 v7, v7, v17
	ds_bpermute_b32 v14, v19, v5
	ds_bpermute_b32 v17, v19, v8
	s_waitcnt lgkmcnt(3)
	v_add_f32_e32 v4, v4, v13
	ds_bpermute_b32 v18, v19, v3
	s_waitcnt lgkmcnt(3)
	v_add_f32_e32 v6, v6, v15
	ds_bpermute_b32 v16, v19, v7
	v_xor_b32_e32 v19, 2, v2
	s_waitcnt lgkmcnt(2)
	v_dual_add_f32 v5, v5, v14 :: v_dual_add_f32 v14, v8, v17
	s_delay_alu instid0(VALU_DEP_2)
	v_cmp_gt_i32_e32 vcc_lo, 32, v19
	v_cndmask_b32_e32 v19, v2, v19, vcc_lo
	s_waitcnt lgkmcnt(1)
	v_add_f32_e32 v15, v3, v18
	s_waitcnt lgkmcnt(0)
	v_add_f32_e32 v13, v7, v16
	v_lshlrev_b32_e32 v19, 2, v19
	ds_bpermute_b32 v7, v19, v5
	ds_bpermute_b32 v8, v19, v6
	;; [unrolled: 1-line block ×3, first 2 shown]
	s_waitcnt lgkmcnt(2)
	v_add_f32_e32 v5, v5, v7
	s_waitcnt lgkmcnt(1)
	v_add_f32_e32 v7, v6, v8
	s_waitcnt lgkmcnt(0)
	v_add_f32_e32 v8, v13, v16
	ds_bpermute_b32 v3, v19, v4
	ds_bpermute_b32 v17, v19, v14
	;; [unrolled: 1-line block ×3, first 2 shown]
	v_xor_b32_e32 v19, 1, v2
	s_delay_alu instid0(VALU_DEP_1) | instskip(SKIP_3) | instid1(VALU_DEP_2)
	v_cmp_gt_i32_e32 vcc_lo, 32, v19
	v_cndmask_b32_e32 v2, v2, v19, vcc_lo
	v_cmp_eq_u32_e32 vcc_lo, 31, v0
	s_waitcnt lgkmcnt(2)
	v_dual_add_f32 v2, v4, v3 :: v_dual_lshlrev_b32 v19, 2, v2
	s_waitcnt lgkmcnt(0)
	v_dual_add_f32 v3, v14, v17 :: v_dual_add_f32 v4, v15, v18
	ds_bpermute_b32 v15, v19, v5
	ds_bpermute_b32 v16, v19, v7
	;; [unrolled: 1-line block ×6, first 2 shown]
	s_and_b32 exec_lo, exec_lo, vcc_lo
	s_cbranch_execz .LBB97_29
; %bb.25:
	s_load_b64 s[2:3], s[0:1], 0x38
	v_cmp_eq_f32_e32 vcc_lo, 0, v11
	v_cmp_eq_f32_e64 s0, 0, v12
	s_waitcnt lgkmcnt(0)
	v_add_f32_e32 v0, v2, v6
	v_dual_add_f32 v6, v5, v15 :: v_dual_add_f32 v3, v3, v13
	v_dual_add_f32 v2, v7, v16 :: v_dual_add_f32 v5, v8, v17
	v_add_f32_e32 v4, v4, v14
	s_and_b32 s0, vcc_lo, s0
	s_delay_alu instid0(SALU_CYCLE_1) | instskip(NEXT) | instid1(SALU_CYCLE_1)
	s_and_saveexec_b32 s1, s0
	s_xor_b32 s0, exec_lo, s1
	s_cbranch_execz .LBB97_27
; %bb.26:
	v_lshl_add_u32 v7, v1, 1, v1
	v_mul_f32_e64 v11, v6, -v10
	v_mul_f32_e32 v12, v6, v9
	v_mul_f32_e64 v13, v5, -v10
	v_mul_f32_e32 v14, v5, v9
	v_ashrrev_i32_e32 v8, 31, v7
	v_fmac_f32_e32 v11, v9, v0
	v_mul_f32_e64 v5, v4, -v10
	v_dual_mul_f32 v6, v4, v9 :: v_dual_fmac_f32 v13, v9, v2
	s_delay_alu instid0(VALU_DEP_4) | instskip(NEXT) | instid1(VALU_DEP_3)
	v_lshlrev_b64 v[7:8], 3, v[7:8]
	v_dual_fmac_f32 v12, v10, v0 :: v_dual_fmac_f32 v5, v9, v3
	v_fmac_f32_e32 v14, v10, v2
	s_delay_alu instid0(VALU_DEP_4) | instskip(NEXT) | instid1(VALU_DEP_4)
	v_fmac_f32_e32 v6, v10, v3
                                        ; implicit-def: $vgpr9
                                        ; implicit-def: $vgpr10
                                        ; implicit-def: $vgpr2
                                        ; implicit-def: $vgpr3
                                        ; implicit-def: $vgpr4
	v_add_co_u32 v0, vcc_lo, s2, v7
	v_add_co_ci_u32_e32 v1, vcc_lo, s3, v8, vcc_lo
	s_clause 0x1
	global_store_b128 v[0:1], v[11:14], off
	global_store_b64 v[0:1], v[5:6], off offset:16
                                        ; implicit-def: $vgpr11
                                        ; implicit-def: $vgpr12
                                        ; implicit-def: $vgpr1
                                        ; implicit-def: $vgpr0
                                        ; implicit-def: $vgpr6
                                        ; implicit-def: $vgpr5
.LBB97_27:
	s_and_not1_saveexec_b32 s0, s0
	s_cbranch_execz .LBB97_29
; %bb.28:
	v_lshl_add_u32 v7, v1, 1, v1
	v_mul_f32_e64 v21, v5, -v10
	v_mul_f32_e64 v22, v4, -v10
	s_delay_alu instid0(VALU_DEP_3) | instskip(NEXT) | instid1(VALU_DEP_1)
	v_ashrrev_i32_e32 v8, 31, v7
	v_lshlrev_b64 v[7:8], 3, v[7:8]
	s_delay_alu instid0(VALU_DEP_1) | instskip(NEXT) | instid1(VALU_DEP_2)
	v_add_co_u32 v17, vcc_lo, s2, v7
	v_add_co_ci_u32_e32 v18, vcc_lo, s3, v8, vcc_lo
	v_mul_f32_e64 v7, v6, -v10
	v_mul_f32_e32 v6, v6, v9
	s_clause 0x1
	global_load_b128 v[13:16], v[17:18], off
	global_load_b64 v[19:20], v[17:18], off offset:16
	v_fmac_f32_e32 v7, v9, v0
	v_dual_mul_f32 v1, v4, v9 :: v_dual_fmac_f32 v6, v10, v0
	v_mul_f32_e32 v8, v5, v9
	v_fmac_f32_e32 v21, v9, v2
	s_delay_alu instid0(VALU_DEP_3) | instskip(SKIP_1) | instid1(VALU_DEP_3)
	v_fmac_f32_e32 v1, v10, v3
	s_waitcnt vmcnt(1)
	v_dual_fmac_f32 v8, v10, v2 :: v_dual_fmac_f32 v7, v11, v13
	v_fmac_f32_e32 v6, v12, v13
	s_waitcnt vmcnt(0)
	v_fmac_f32_e32 v1, v12, v19
	v_fmac_f32_e32 v21, v11, v15
	;; [unrolled: 1-line block ×3, first 2 shown]
	v_fma_f32 v5, -v12, v14, v7
	v_fmac_f32_e32 v6, v11, v14
	v_dual_fmac_f32 v22, v9, v3 :: v_dual_fmac_f32 v1, v11, v20
	v_fma_f32 v7, -v12, v16, v21
	v_fmac_f32_e32 v8, v11, v16
	s_delay_alu instid0(VALU_DEP_3) | instskip(NEXT) | instid1(VALU_DEP_1)
	v_fmac_f32_e32 v22, v11, v19
	v_fma_f32 v0, -v12, v20, v22
	s_clause 0x1
	global_store_b128 v[17:18], v[5:8], off
	global_store_b64 v[17:18], v[0:1], off offset:16
.LBB97_29:
	s_nop 0
	s_sendmsg sendmsg(MSG_DEALLOC_VGPRS)
	s_endpgm
	.section	.rodata,"a",@progbits
	.p2align	6, 0x0
	.amdhsa_kernel _ZN9rocsparseL19gebsrmvn_3xn_kernelILj128ELj6ELj32E21rocsparse_complex_numIfEEEvi20rocsparse_direction_NS_24const_host_device_scalarIT2_EEPKiS8_PKS5_SA_S6_PS5_21rocsparse_index_base_b
		.amdhsa_group_segment_fixed_size 0
		.amdhsa_private_segment_fixed_size 0
		.amdhsa_kernarg_size 72
		.amdhsa_user_sgpr_count 15
		.amdhsa_user_sgpr_dispatch_ptr 0
		.amdhsa_user_sgpr_queue_ptr 0
		.amdhsa_user_sgpr_kernarg_segment_ptr 1
		.amdhsa_user_sgpr_dispatch_id 0
		.amdhsa_user_sgpr_private_segment_size 0
		.amdhsa_wavefront_size32 1
		.amdhsa_uses_dynamic_stack 0
		.amdhsa_enable_private_segment 0
		.amdhsa_system_sgpr_workgroup_id_x 1
		.amdhsa_system_sgpr_workgroup_id_y 0
		.amdhsa_system_sgpr_workgroup_id_z 0
		.amdhsa_system_sgpr_workgroup_info 0
		.amdhsa_system_vgpr_workitem_id 0
		.amdhsa_next_free_vgpr 66
		.amdhsa_next_free_sgpr 16
		.amdhsa_reserve_vcc 1
		.amdhsa_float_round_mode_32 0
		.amdhsa_float_round_mode_16_64 0
		.amdhsa_float_denorm_mode_32 3
		.amdhsa_float_denorm_mode_16_64 3
		.amdhsa_dx10_clamp 1
		.amdhsa_ieee_mode 1
		.amdhsa_fp16_overflow 0
		.amdhsa_workgroup_processor_mode 1
		.amdhsa_memory_ordered 1
		.amdhsa_forward_progress 0
		.amdhsa_shared_vgpr_count 0
		.amdhsa_exception_fp_ieee_invalid_op 0
		.amdhsa_exception_fp_denorm_src 0
		.amdhsa_exception_fp_ieee_div_zero 0
		.amdhsa_exception_fp_ieee_overflow 0
		.amdhsa_exception_fp_ieee_underflow 0
		.amdhsa_exception_fp_ieee_inexact 0
		.amdhsa_exception_int_div_zero 0
	.end_amdhsa_kernel
	.section	.text._ZN9rocsparseL19gebsrmvn_3xn_kernelILj128ELj6ELj32E21rocsparse_complex_numIfEEEvi20rocsparse_direction_NS_24const_host_device_scalarIT2_EEPKiS8_PKS5_SA_S6_PS5_21rocsparse_index_base_b,"axG",@progbits,_ZN9rocsparseL19gebsrmvn_3xn_kernelILj128ELj6ELj32E21rocsparse_complex_numIfEEEvi20rocsparse_direction_NS_24const_host_device_scalarIT2_EEPKiS8_PKS5_SA_S6_PS5_21rocsparse_index_base_b,comdat
.Lfunc_end97:
	.size	_ZN9rocsparseL19gebsrmvn_3xn_kernelILj128ELj6ELj32E21rocsparse_complex_numIfEEEvi20rocsparse_direction_NS_24const_host_device_scalarIT2_EEPKiS8_PKS5_SA_S6_PS5_21rocsparse_index_base_b, .Lfunc_end97-_ZN9rocsparseL19gebsrmvn_3xn_kernelILj128ELj6ELj32E21rocsparse_complex_numIfEEEvi20rocsparse_direction_NS_24const_host_device_scalarIT2_EEPKiS8_PKS5_SA_S6_PS5_21rocsparse_index_base_b
                                        ; -- End function
	.section	.AMDGPU.csdata,"",@progbits
; Kernel info:
; codeLenInByte = 4128
; NumSgprs: 18
; NumVgprs: 66
; ScratchSize: 0
; MemoryBound: 0
; FloatMode: 240
; IeeeMode: 1
; LDSByteSize: 0 bytes/workgroup (compile time only)
; SGPRBlocks: 2
; VGPRBlocks: 8
; NumSGPRsForWavesPerEU: 18
; NumVGPRsForWavesPerEU: 66
; Occupancy: 16
; WaveLimiterHint : 1
; COMPUTE_PGM_RSRC2:SCRATCH_EN: 0
; COMPUTE_PGM_RSRC2:USER_SGPR: 15
; COMPUTE_PGM_RSRC2:TRAP_HANDLER: 0
; COMPUTE_PGM_RSRC2:TGID_X_EN: 1
; COMPUTE_PGM_RSRC2:TGID_Y_EN: 0
; COMPUTE_PGM_RSRC2:TGID_Z_EN: 0
; COMPUTE_PGM_RSRC2:TIDIG_COMP_CNT: 0
	.section	.text._ZN9rocsparseL19gebsrmvn_3xn_kernelILj128ELj6ELj64E21rocsparse_complex_numIfEEEvi20rocsparse_direction_NS_24const_host_device_scalarIT2_EEPKiS8_PKS5_SA_S6_PS5_21rocsparse_index_base_b,"axG",@progbits,_ZN9rocsparseL19gebsrmvn_3xn_kernelILj128ELj6ELj64E21rocsparse_complex_numIfEEEvi20rocsparse_direction_NS_24const_host_device_scalarIT2_EEPKiS8_PKS5_SA_S6_PS5_21rocsparse_index_base_b,comdat
	.globl	_ZN9rocsparseL19gebsrmvn_3xn_kernelILj128ELj6ELj64E21rocsparse_complex_numIfEEEvi20rocsparse_direction_NS_24const_host_device_scalarIT2_EEPKiS8_PKS5_SA_S6_PS5_21rocsparse_index_base_b ; -- Begin function _ZN9rocsparseL19gebsrmvn_3xn_kernelILj128ELj6ELj64E21rocsparse_complex_numIfEEEvi20rocsparse_direction_NS_24const_host_device_scalarIT2_EEPKiS8_PKS5_SA_S6_PS5_21rocsparse_index_base_b
	.p2align	8
	.type	_ZN9rocsparseL19gebsrmvn_3xn_kernelILj128ELj6ELj64E21rocsparse_complex_numIfEEEvi20rocsparse_direction_NS_24const_host_device_scalarIT2_EEPKiS8_PKS5_SA_S6_PS5_21rocsparse_index_base_b,@function
_ZN9rocsparseL19gebsrmvn_3xn_kernelILj128ELj6ELj64E21rocsparse_complex_numIfEEEvi20rocsparse_direction_NS_24const_host_device_scalarIT2_EEPKiS8_PKS5_SA_S6_PS5_21rocsparse_index_base_b: ; @_ZN9rocsparseL19gebsrmvn_3xn_kernelILj128ELj6ELj64E21rocsparse_complex_numIfEEEvi20rocsparse_direction_NS_24const_host_device_scalarIT2_EEPKiS8_PKS5_SA_S6_PS5_21rocsparse_index_base_b
; %bb.0:
	s_clause 0x2
	s_load_b64 s[12:13], s[0:1], 0x40
	s_load_b64 s[4:5], s[0:1], 0x8
	;; [unrolled: 1-line block ×3, first 2 shown]
	s_waitcnt lgkmcnt(0)
	s_bitcmp1_b32 s13, 0
	v_mov_b32_e32 v9, s4
	s_cselect_b32 s6, -1, 0
	s_delay_alu instid0(SALU_CYCLE_1)
	s_and_b32 vcc_lo, exec_lo, s6
	s_xor_b32 s6, s6, -1
	s_cbranch_vccz .LBB98_15
; %bb.1:
	v_cndmask_b32_e64 v1, 0, 1, s6
	v_mov_b32_e32 v10, s5
	s_and_not1_b32 vcc_lo, exec_lo, s6
	s_cbranch_vccz .LBB98_16
.LBB98_2:
	s_delay_alu instid0(VALU_DEP_2)
	v_cmp_ne_u32_e32 vcc_lo, 1, v1
	v_mov_b32_e32 v11, s2
	s_cbranch_vccz .LBB98_17
.LBB98_3:
	v_cmp_ne_u32_e32 vcc_lo, 1, v1
	v_mov_b32_e32 v12, s3
	s_cbranch_vccnz .LBB98_5
.LBB98_4:
	v_dual_mov_b32 v1, s2 :: v_dual_mov_b32 v2, s3
	flat_load_b32 v12, v[1:2] offset:4
.LBB98_5:
	s_waitcnt vmcnt(0) lgkmcnt(0)
	v_cmp_eq_f32_e32 vcc_lo, 0, v9
	v_cmp_eq_f32_e64 s2, 0, v10
	s_delay_alu instid0(VALU_DEP_1)
	s_and_b32 s4, vcc_lo, s2
	s_mov_b32 s2, -1
	s_and_saveexec_b32 s3, s4
; %bb.6:
	v_cmp_neq_f32_e32 vcc_lo, 1.0, v11
	v_cmp_neq_f32_e64 s2, 0, v12
	s_delay_alu instid0(VALU_DEP_1) | instskip(NEXT) | instid1(SALU_CYCLE_1)
	s_or_b32 s2, vcc_lo, s2
	s_or_not1_b32 s2, s2, exec_lo
; %bb.7:
	s_or_b32 exec_lo, exec_lo, s3
	s_and_saveexec_b32 s3, s2
	s_cbranch_execz .LBB98_29
; %bb.8:
	s_load_b64 s[2:3], s[0:1], 0x0
	v_lshrrev_b32_e32 v1, 6, v0
	s_delay_alu instid0(VALU_DEP_1) | instskip(SKIP_1) | instid1(VALU_DEP_1)
	v_lshl_or_b32 v1, s15, 1, v1
	s_waitcnt lgkmcnt(0)
	v_cmp_gt_i32_e32 vcc_lo, s2, v1
	s_and_b32 exec_lo, exec_lo, vcc_lo
	s_cbranch_execz .LBB98_29
; %bb.9:
	s_load_b256 s[4:11], s[0:1], 0x10
	v_ashrrev_i32_e32 v2, 31, v1
	v_and_b32_e32 v0, 63, v0
	s_cmp_lg_u32 s3, 0
	s_delay_alu instid0(VALU_DEP_2) | instskip(SKIP_1) | instid1(VALU_DEP_1)
	v_lshlrev_b64 v[2:3], 2, v[1:2]
	s_waitcnt lgkmcnt(0)
	v_add_co_u32 v2, vcc_lo, s4, v2
	s_delay_alu instid0(VALU_DEP_2) | instskip(SKIP_4) | instid1(VALU_DEP_2)
	v_add_co_ci_u32_e32 v3, vcc_lo, s5, v3, vcc_lo
	global_load_b64 v[2:3], v[2:3], off
	s_waitcnt vmcnt(0)
	v_subrev_nc_u32_e32 v2, s12, v2
	v_subrev_nc_u32_e32 v16, s12, v3
	v_add_nc_u32_e32 v2, v2, v0
	s_delay_alu instid0(VALU_DEP_1)
	v_cmp_lt_i32_e64 s2, v2, v16
	s_cbranch_scc0 .LBB98_18
; %bb.10:
	v_dual_mov_b32 v13, 0 :: v_dual_mov_b32 v18, 0
	v_dual_mov_b32 v17, 0 :: v_dual_mov_b32 v14, 0
	v_mov_b32_e32 v19, 0
	v_mov_b32_e32 v15, 0
	s_mov_b32 s3, 0
	s_and_saveexec_b32 s4, s2
	s_cbranch_execz .LBB98_14
; %bb.11:
	v_mad_u64_u32 v[3:4], null, v2, 18, 17
	v_dual_mov_b32 v6, 0 :: v_dual_mov_b32 v7, v2
	v_dual_mov_b32 v13, 0 :: v_dual_mov_b32 v18, 0
	;; [unrolled: 1-line block ×3, first 2 shown]
	v_mov_b32_e32 v19, 0
	v_mov_b32_e32 v15, 0
	s_mov_b32 s5, 0
.LBB98_12:                              ; =>This Inner Loop Header: Depth=1
	v_ashrrev_i32_e32 v8, 31, v7
	s_delay_alu instid0(VALU_DEP_1) | instskip(NEXT) | instid1(VALU_DEP_1)
	v_lshlrev_b64 v[4:5], 2, v[7:8]
	v_add_co_u32 v4, vcc_lo, s6, v4
	s_delay_alu instid0(VALU_DEP_2) | instskip(SKIP_3) | instid1(VALU_DEP_2)
	v_add_co_ci_u32_e32 v5, vcc_lo, s7, v5, vcc_lo
	global_load_b32 v8, v[4:5], off
	v_subrev_nc_u32_e32 v5, 17, v3
	v_mov_b32_e32 v4, v6
	v_lshlrev_b64 v[20:21], 3, v[5:6]
	v_add_nc_u32_e32 v5, -15, v3
	s_delay_alu instid0(VALU_DEP_3) | instskip(NEXT) | instid1(VALU_DEP_2)
	v_lshlrev_b64 v[22:23], 3, v[3:4]
	v_lshlrev_b64 v[24:25], 3, v[5:6]
	s_delay_alu instid0(VALU_DEP_4) | instskip(SKIP_1) | instid1(VALU_DEP_4)
	v_add_co_u32 v20, vcc_lo, s8, v20
	v_add_co_ci_u32_e32 v21, vcc_lo, s9, v21, vcc_lo
	v_add_co_u32 v26, vcc_lo, s8, v22
	v_add_co_ci_u32_e32 v27, vcc_lo, s9, v23, vcc_lo
	;; [unrolled: 2-line block ×3, first 2 shown]
	s_clause 0x2
	global_load_b128 v[20:23], v[20:21], off
	global_load_b64 v[36:37], v[26:27], off
	global_load_b64 v[38:39], v[24:25], off
	v_add_nc_u32_e32 v5, -14, v3
	v_mov_b32_e32 v33, v6
	s_delay_alu instid0(VALU_DEP_2) | instskip(SKIP_1) | instid1(VALU_DEP_1)
	v_lshlrev_b64 v[28:29], 3, v[5:6]
	v_add_nc_u32_e32 v5, -13, v3
	v_lshlrev_b64 v[26:27], 3, v[5:6]
	s_delay_alu instid0(VALU_DEP_3) | instskip(NEXT) | instid1(VALU_DEP_4)
	v_add_co_u32 v24, vcc_lo, s8, v28
	v_add_co_ci_u32_e32 v25, vcc_lo, s9, v29, vcc_lo
	s_delay_alu instid0(VALU_DEP_3) | instskip(NEXT) | instid1(VALU_DEP_4)
	v_add_co_u32 v26, vcc_lo, s8, v26
	v_add_co_ci_u32_e32 v27, vcc_lo, s9, v27, vcc_lo
	s_clause 0x1
	global_load_b64 v[40:41], v[24:25], off
	global_load_b64 v[42:43], v[26:27], off
	v_add_nc_u32_e32 v5, -12, v3
	s_delay_alu instid0(VALU_DEP_1) | instskip(SKIP_1) | instid1(VALU_DEP_1)
	v_lshlrev_b64 v[28:29], 3, v[5:6]
	v_add_nc_u32_e32 v5, -11, v3
	v_lshlrev_b64 v[4:5], 3, v[5:6]
	s_delay_alu instid0(VALU_DEP_3) | instskip(NEXT) | instid1(VALU_DEP_4)
	v_add_co_u32 v24, vcc_lo, s8, v28
	v_add_co_ci_u32_e32 v25, vcc_lo, s9, v29, vcc_lo
	s_delay_alu instid0(VALU_DEP_3) | instskip(NEXT) | instid1(VALU_DEP_4)
	v_add_co_u32 v4, vcc_lo, s8, v4
	v_add_co_ci_u32_e32 v5, vcc_lo, s9, v5, vcc_lo
	s_clause 0x1
	global_load_b64 v[44:45], v[24:25], off
	global_load_b64 v[46:47], v[4:5], off
	s_waitcnt vmcnt(7)
	v_subrev_nc_u32_e32 v4, s12, v8
	s_delay_alu instid0(VALU_DEP_1) | instskip(NEXT) | instid1(VALU_DEP_1)
	v_mul_lo_u32 v32, v4, 6
	v_lshlrev_b64 v[24:25], 3, v[32:33]
	s_delay_alu instid0(VALU_DEP_1) | instskip(NEXT) | instid1(VALU_DEP_2)
	v_add_co_u32 v24, vcc_lo, s10, v24
	v_add_co_ci_u32_e32 v25, vcc_lo, s11, v25, vcc_lo
	global_load_b128 v[24:27], v[24:25], off
	v_add_nc_u32_e32 v5, 2, v32
	s_delay_alu instid0(VALU_DEP_1) | instskip(SKIP_1) | instid1(VALU_DEP_1)
	v_lshlrev_b64 v[28:29], 3, v[5:6]
	v_add_nc_u32_e32 v5, -10, v3
	v_lshlrev_b64 v[30:31], 3, v[5:6]
	s_delay_alu instid0(VALU_DEP_3) | instskip(NEXT) | instid1(VALU_DEP_4)
	v_add_co_u32 v28, vcc_lo, s10, v28
	v_add_co_ci_u32_e32 v29, vcc_lo, s11, v29, vcc_lo
	s_delay_alu instid0(VALU_DEP_3) | instskip(NEXT) | instid1(VALU_DEP_4)
	v_add_co_u32 v48, vcc_lo, s8, v30
	v_add_co_ci_u32_e32 v49, vcc_lo, s9, v31, vcc_lo
	global_load_b128 v[28:31], v[28:29], off
	global_load_b64 v[48:49], v[48:49], off
	s_waitcnt vmcnt(2)
	v_fmac_f32_e32 v18, v38, v24
	v_fmac_f32_e32 v14, v39, v24
	;; [unrolled: 1-line block ×3, first 2 shown]
	s_delay_alu instid0(VALU_DEP_3) | instskip(NEXT) | instid1(VALU_DEP_3)
	v_fma_f32 v18, -v39, v25, v18
	v_fmac_f32_e32 v14, v38, v25
	s_delay_alu instid0(VALU_DEP_3) | instskip(NEXT) | instid1(VALU_DEP_3)
	v_fma_f32 v8, -v21, v25, v17
	v_fmac_f32_e32 v18, v44, v26
	s_delay_alu instid0(VALU_DEP_3) | instskip(NEXT) | instid1(VALU_DEP_3)
	v_fmac_f32_e32 v14, v45, v26
	v_dual_fmac_f32 v13, v21, v24 :: v_dual_fmac_f32 v8, v40, v26
	s_delay_alu instid0(VALU_DEP_3) | instskip(NEXT) | instid1(VALU_DEP_3)
	v_fma_f32 v18, -v45, v27, v18
	v_fmac_f32_e32 v14, v44, v27
	v_add_nc_u32_e32 v5, -9, v3
	s_delay_alu instid0(VALU_DEP_4) | instskip(SKIP_1) | instid1(VALU_DEP_3)
	v_fma_f32 v8, -v41, v27, v8
	v_fmac_f32_e32 v13, v20, v25
	v_lshlrev_b64 v[33:34], 3, v[5:6]
	s_waitcnt vmcnt(1)
	s_delay_alu instid0(VALU_DEP_2) | instskip(NEXT) | instid1(VALU_DEP_1)
	v_dual_fmac_f32 v8, v46, v28 :: v_dual_fmac_f32 v13, v41, v26
	v_fma_f32 v8, -v47, v29, v8
	s_delay_alu instid0(VALU_DEP_3) | instskip(NEXT) | instid1(VALU_DEP_4)
	v_add_co_u32 v33, vcc_lo, s8, v33
	v_add_co_ci_u32_e32 v34, vcc_lo, s9, v34, vcc_lo
	s_delay_alu instid0(VALU_DEP_4) | instskip(SKIP_3) | instid1(VALU_DEP_2)
	v_fmac_f32_e32 v13, v40, v27
	global_load_b64 v[54:55], v[33:34], off
	v_add_nc_u32_e32 v5, -8, v3
	v_fmac_f32_e32 v13, v47, v28
	v_lshlrev_b64 v[50:51], 3, v[5:6]
	v_add_nc_u32_e32 v5, -7, v3
	s_delay_alu instid0(VALU_DEP_3) | instskip(NEXT) | instid1(VALU_DEP_2)
	v_fmac_f32_e32 v13, v46, v29
	v_lshlrev_b64 v[52:53], 3, v[5:6]
	s_delay_alu instid0(VALU_DEP_4) | instskip(SKIP_1) | instid1(VALU_DEP_3)
	v_add_co_u32 v50, vcc_lo, s8, v50
	v_add_co_ci_u32_e32 v51, vcc_lo, s9, v51, vcc_lo
	v_add_co_u32 v52, vcc_lo, s8, v52
	s_delay_alu instid0(VALU_DEP_4)
	v_add_co_ci_u32_e32 v53, vcc_lo, s9, v53, vcc_lo
	global_load_b64 v[50:51], v[50:51], off
	v_add_nc_u32_e32 v5, -6, v3
	global_load_b64 v[52:53], v[52:53], off
	v_lshlrev_b64 v[33:34], 3, v[5:6]
	s_waitcnt vmcnt(2)
	v_fmac_f32_e32 v18, v54, v28
	v_fmac_f32_e32 v14, v55, v28
	s_delay_alu instid0(VALU_DEP_2) | instskip(NEXT) | instid1(VALU_DEP_2)
	v_fma_f32 v18, -v55, v29, v18
	v_dual_fmac_f32 v14, v54, v29 :: v_dual_add_nc_u32 v5, -5, v3
	s_delay_alu instid0(VALU_DEP_1)
	v_lshlrev_b64 v[56:57], 3, v[5:6]
	v_add_nc_u32_e32 v5, 4, v32
	v_add_co_u32 v32, vcc_lo, s8, v33
	v_add_co_ci_u32_e32 v33, vcc_lo, s9, v34, vcc_lo
	global_load_b64 v[58:59], v[32:33], off
	v_add_co_u32 v32, vcc_lo, s8, v56
	v_add_co_ci_u32_e32 v33, vcc_lo, s9, v57, vcc_lo
	s_waitcnt vmcnt(0)
	v_fmac_f32_e32 v14, v59, v30
	v_lshlrev_b64 v[34:35], 3, v[5:6]
	v_dual_fmac_f32 v18, v58, v30 :: v_dual_add_nc_u32 v5, -4, v3
	s_delay_alu instid0(VALU_DEP_3) | instskip(NEXT) | instid1(VALU_DEP_2)
	v_fmac_f32_e32 v14, v58, v31
	v_lshlrev_b64 v[56:57], 3, v[5:6]
	s_delay_alu instid0(VALU_DEP_3) | instskip(SKIP_3) | instid1(VALU_DEP_3)
	v_fma_f32 v18, -v59, v31, v18
	v_add_nc_u32_e32 v5, -3, v3
	v_add_co_u32 v34, vcc_lo, s10, v34
	v_add_co_ci_u32_e32 v35, vcc_lo, s11, v35, vcc_lo
	v_lshlrev_b64 v[62:63], 3, v[5:6]
	v_add_co_u32 v56, vcc_lo, s8, v56
	v_add_co_ci_u32_e32 v57, vcc_lo, s9, v57, vcc_lo
	s_delay_alu instid0(VALU_DEP_3) | instskip(NEXT) | instid1(VALU_DEP_4)
	v_add_co_u32 v62, vcc_lo, s8, v62
	v_add_co_ci_u32_e32 v63, vcc_lo, s9, v63, vcc_lo
	s_clause 0x2
	global_load_b64 v[56:57], v[56:57], off
	global_load_b64 v[62:63], v[62:63], off
	;; [unrolled: 1-line block ×3, first 2 shown]
	global_load_b128 v[32:35], v[34:35], off
	v_dual_fmac_f32 v8, v50, v30 :: v_dual_add_nc_u32 v5, -2, v3
	v_fmac_f32_e32 v13, v51, v30
	s_delay_alu instid0(VALU_DEP_2) | instskip(SKIP_1) | instid1(VALU_DEP_2)
	v_fma_f32 v8, -v51, v31, v8
	s_waitcnt vmcnt(0)
	v_dual_fmac_f32 v13, v50, v31 :: v_dual_fmac_f32 v14, v63, v32
	s_delay_alu instid0(VALU_DEP_2) | instskip(SKIP_2) | instid1(VALU_DEP_4)
	v_fmac_f32_e32 v8, v60, v32
	v_lshlrev_b64 v[64:65], 3, v[5:6]
	v_add_nc_u32_e32 v7, 64, v7
	v_dual_fmac_f32 v13, v61, v32 :: v_dual_fmac_f32 v14, v62, v33
	s_delay_alu instid0(VALU_DEP_4) | instskip(SKIP_3) | instid1(VALU_DEP_3)
	v_fma_f32 v8, -v61, v33, v8
	v_add_nc_u32_e32 v5, -1, v3
	v_add_co_u32 v64, vcc_lo, s8, v64
	v_add_co_ci_u32_e32 v65, vcc_lo, s9, v65, vcc_lo
	v_lshlrev_b64 v[4:5], 3, v[5:6]
	v_dual_fmac_f32 v19, v22, v24 :: v_dual_fmac_f32 v14, v37, v34
	v_fmac_f32_e32 v15, v23, v24
	v_dual_fmac_f32 v18, v62, v32 :: v_dual_fmac_f32 v13, v60, v33
	s_delay_alu instid0(VALU_DEP_4) | instskip(NEXT) | instid1(VALU_DEP_4)
	v_add_co_u32 v4, vcc_lo, s8, v4
	v_fmac_f32_e32 v14, v36, v35
	v_add_co_ci_u32_e32 v5, vcc_lo, s9, v5, vcc_lo
	s_clause 0x1
	global_load_b64 v[64:65], v[64:65], off
	global_load_b64 v[4:5], v[4:5], off
	v_fma_f32 v17, -v23, v25, v19
	v_fmac_f32_e32 v15, v22, v25
	v_fma_f32 v18, -v63, v33, v18
	v_add_nc_u32_e32 v3, 0x480, v3
	v_cmp_ge_i32_e32 vcc_lo, v7, v16
	v_fmac_f32_e32 v17, v42, v26
	v_fmac_f32_e32 v15, v43, v26
	;; [unrolled: 1-line block ×3, first 2 shown]
	s_or_b32 s5, vcc_lo, s5
	s_delay_alu instid0(VALU_DEP_3) | instskip(NEXT) | instid1(VALU_DEP_3)
	v_fma_f32 v17, -v43, v27, v17
	v_fmac_f32_e32 v15, v42, v27
	s_delay_alu instid0(VALU_DEP_3) | instskip(NEXT) | instid1(VALU_DEP_3)
	v_fma_f32 v18, -v37, v35, v18
	v_fmac_f32_e32 v17, v48, v28
	s_delay_alu instid0(VALU_DEP_3) | instskip(NEXT) | instid1(VALU_DEP_2)
	v_fmac_f32_e32 v15, v49, v28
	v_fma_f32 v17, -v49, v29, v17
	s_delay_alu instid0(VALU_DEP_2) | instskip(NEXT) | instid1(VALU_DEP_2)
	v_fmac_f32_e32 v15, v48, v29
	v_fmac_f32_e32 v17, v52, v30
	s_delay_alu instid0(VALU_DEP_2) | instskip(NEXT) | instid1(VALU_DEP_2)
	v_fmac_f32_e32 v15, v53, v30
	v_fma_f32 v17, -v53, v31, v17
	s_delay_alu instid0(VALU_DEP_2) | instskip(NEXT) | instid1(VALU_DEP_2)
	v_fmac_f32_e32 v15, v52, v31
	v_fmac_f32_e32 v17, v56, v32
	s_delay_alu instid0(VALU_DEP_2) | instskip(NEXT) | instid1(VALU_DEP_2)
	v_fmac_f32_e32 v15, v57, v32
	v_fma_f32 v19, -v57, v33, v17
	s_delay_alu instid0(VALU_DEP_2)
	v_fmac_f32_e32 v15, v56, v33
	s_waitcnt vmcnt(1)
	v_fmac_f32_e32 v8, v64, v34
	v_fmac_f32_e32 v13, v65, v34
	s_waitcnt vmcnt(0)
	v_fmac_f32_e32 v19, v4, v34
	v_fmac_f32_e32 v15, v5, v34
	v_fma_f32 v17, -v65, v35, v8
	v_fmac_f32_e32 v13, v64, v35
	s_delay_alu instid0(VALU_DEP_4) | instskip(NEXT) | instid1(VALU_DEP_4)
	v_fma_f32 v19, -v5, v35, v19
	v_fmac_f32_e32 v15, v4, v35
	s_and_not1_b32 exec_lo, exec_lo, s5
	s_cbranch_execnz .LBB98_12
; %bb.13:
	s_or_b32 exec_lo, exec_lo, s5
.LBB98_14:
	s_delay_alu instid0(SALU_CYCLE_1) | instskip(NEXT) | instid1(SALU_CYCLE_1)
	s_or_b32 exec_lo, exec_lo, s4
	s_and_not1_b32 vcc_lo, exec_lo, s3
	s_cbranch_vccz .LBB98_19
	s_branch .LBB98_24
.LBB98_15:
	v_dual_mov_b32 v1, s4 :: v_dual_mov_b32 v2, s5
	flat_load_b32 v9, v[1:2]
	v_cndmask_b32_e64 v1, 0, 1, s6
	v_mov_b32_e32 v10, s5
	s_and_not1_b32 vcc_lo, exec_lo, s6
	s_cbranch_vccnz .LBB98_2
.LBB98_16:
	v_dual_mov_b32 v2, s4 :: v_dual_mov_b32 v3, s5
	flat_load_b32 v10, v[2:3] offset:4
	v_cmp_ne_u32_e32 vcc_lo, 1, v1
	v_mov_b32_e32 v11, s2
	s_cbranch_vccnz .LBB98_3
.LBB98_17:
	v_dual_mov_b32 v2, s2 :: v_dual_mov_b32 v3, s3
	flat_load_b32 v11, v[2:3]
	v_cmp_ne_u32_e32 vcc_lo, 1, v1
	v_mov_b32_e32 v12, s3
	s_cbranch_vccz .LBB98_4
	s_branch .LBB98_5
.LBB98_18:
                                        ; implicit-def: $vgpr13
                                        ; implicit-def: $vgpr17
                                        ; implicit-def: $vgpr18
                                        ; implicit-def: $vgpr14
                                        ; implicit-def: $vgpr19
                                        ; implicit-def: $vgpr15
.LBB98_19:
	v_dual_mov_b32 v13, 0 :: v_dual_mov_b32 v18, 0
	v_dual_mov_b32 v17, 0 :: v_dual_mov_b32 v14, 0
	v_mov_b32_e32 v19, 0
	v_mov_b32_e32 v15, 0
	s_and_saveexec_b32 s3, s2
	s_cbranch_execz .LBB98_23
; %bb.20:
	v_mad_u64_u32 v[4:5], null, v2, 18, 17
	v_dual_mov_b32 v7, 0 :: v_dual_mov_b32 v18, 0
	v_dual_mov_b32 v13, 0 :: v_dual_mov_b32 v14, 0
	v_mov_b32_e32 v17, 0
	v_mov_b32_e32 v19, 0
	;; [unrolled: 1-line block ×3, first 2 shown]
	s_mov_b32 s2, 0
.LBB98_21:                              ; =>This Inner Loop Header: Depth=1
	v_ashrrev_i32_e32 v3, 31, v2
	v_dual_mov_b32 v33, v7 :: v_dual_add_nc_u32 v20, -11, v4
	v_dual_mov_b32 v21, v7 :: v_dual_add_nc_u32 v22, -5, v4
	s_delay_alu instid0(VALU_DEP_3) | instskip(SKIP_1) | instid1(VALU_DEP_3)
	v_lshlrev_b64 v[5:6], 2, v[2:3]
	v_mov_b32_e32 v23, v7
	v_lshlrev_b64 v[20:21], 3, v[20:21]
	s_delay_alu instid0(VALU_DEP_3) | instskip(NEXT) | instid1(VALU_DEP_4)
	v_add_co_u32 v5, vcc_lo, s6, v5
	v_add_co_ci_u32_e32 v6, vcc_lo, s7, v6, vcc_lo
	global_load_b32 v3, v[5:6], off
	v_subrev_nc_u32_e32 v6, 17, v4
	v_mov_b32_e32 v5, v7
	s_delay_alu instid0(VALU_DEP_2) | instskip(SKIP_2) | instid1(VALU_DEP_2)
	v_lshlrev_b64 v[24:25], 3, v[6:7]
	v_add_nc_u32_e32 v6, -10, v4
	v_lshlrev_b64 v[22:23], 3, v[22:23]
	v_lshlrev_b64 v[28:29], 3, v[6:7]
	v_add_nc_u32_e32 v6, -4, v4
	v_add_co_u32 v24, vcc_lo, s8, v24
	v_add_co_ci_u32_e32 v25, vcc_lo, s9, v25, vcc_lo
	v_lshlrev_b64 v[26:27], 3, v[4:5]
	v_add_co_u32 v30, vcc_lo, s8, v20
	v_add_co_ci_u32_e32 v31, vcc_lo, s9, v21, vcc_lo
	v_add_co_u32 v34, vcc_lo, s8, v22
	v_add_co_ci_u32_e32 v35, vcc_lo, s9, v23, vcc_lo
	;; [unrolled: 2-line block ×3, first 2 shown]
	v_lshlrev_b64 v[36:37], 3, v[6:7]
	global_load_b128 v[20:23], v[24:25], off
	v_add_nc_u32_e32 v6, -15, v4
	v_add_co_u32 v24, vcc_lo, s8, v28
	v_add_co_ci_u32_e32 v25, vcc_lo, s9, v29, vcc_lo
	s_delay_alu instid0(VALU_DEP_3)
	v_lshlrev_b64 v[5:6], 3, v[6:7]
	s_clause 0x3
	global_load_b64 v[38:39], v[26:27], off
	global_load_b64 v[40:41], v[30:31], off
	;; [unrolled: 1-line block ×4, first 2 shown]
	v_add_co_u32 v24, vcc_lo, s8, v36
	v_add_co_ci_u32_e32 v25, vcc_lo, s9, v37, vcc_lo
	v_add_co_u32 v5, vcc_lo, s8, v5
	v_add_co_ci_u32_e32 v6, vcc_lo, s9, v6, vcc_lo
	s_clause 0x1
	global_load_b64 v[36:37], v[24:25], off
	global_load_b64 v[46:47], v[5:6], off
	s_waitcnt vmcnt(7)
	v_subrev_nc_u32_e32 v3, s12, v3
	s_delay_alu instid0(VALU_DEP_1) | instskip(NEXT) | instid1(VALU_DEP_1)
	v_mul_lo_u32 v32, v3, 6
	v_lshlrev_b64 v[24:25], 3, v[32:33]
	s_delay_alu instid0(VALU_DEP_1) | instskip(NEXT) | instid1(VALU_DEP_2)
	v_add_co_u32 v24, vcc_lo, s10, v24
	v_add_co_ci_u32_e32 v25, vcc_lo, s11, v25, vcc_lo
	global_load_b128 v[24:27], v[24:25], off
	v_add_nc_u32_e32 v6, 2, v32
	s_delay_alu instid0(VALU_DEP_1) | instskip(SKIP_1) | instid1(VALU_DEP_1)
	v_lshlrev_b64 v[28:29], 3, v[6:7]
	v_add_nc_u32_e32 v6, -9, v4
	v_lshlrev_b64 v[30:31], 3, v[6:7]
	s_delay_alu instid0(VALU_DEP_3) | instskip(NEXT) | instid1(VALU_DEP_4)
	v_add_co_u32 v28, vcc_lo, s10, v28
	v_add_co_ci_u32_e32 v29, vcc_lo, s11, v29, vcc_lo
	s_delay_alu instid0(VALU_DEP_3) | instskip(NEXT) | instid1(VALU_DEP_4)
	v_add_co_u32 v48, vcc_lo, s8, v30
	v_add_co_ci_u32_e32 v49, vcc_lo, s9, v31, vcc_lo
	global_load_b128 v[28:31], v[28:29], off
	v_add_nc_u32_e32 v2, 64, v2
	global_load_b64 v[48:49], v[48:49], off
	s_waitcnt vmcnt(2)
	v_fmac_f32_e32 v14, v43, v24
	v_fmac_f32_e32 v13, v21, v24
	;; [unrolled: 1-line block ×4, first 2 shown]
	s_delay_alu instid0(VALU_DEP_4) | instskip(NEXT) | instid1(VALU_DEP_4)
	v_fmac_f32_e32 v14, v42, v25
	v_dual_fmac_f32 v13, v20, v25 :: v_dual_add_nc_u32 v6, -3, v4
	v_fmac_f32_e32 v19, v40, v24
	v_fma_f32 v3, -v21, v25, v17
	s_delay_alu instid0(VALU_DEP_4) | instskip(NEXT) | instid1(VALU_DEP_4)
	v_fmac_f32_e32 v14, v37, v26
	v_fmac_f32_e32 v13, v23, v26
	v_lshlrev_b64 v[33:34], 3, v[6:7]
	v_fma_f32 v8, -v41, v25, v19
	v_fmac_f32_e32 v15, v41, v24
	v_fma_f32 v17, -v43, v25, v18
	v_fmac_f32_e32 v3, v22, v26
	s_delay_alu instid0(VALU_DEP_4)
	v_dual_fmac_f32 v13, v22, v27 :: v_dual_fmac_f32 v8, v44, v26
	v_add_co_u32 v33, vcc_lo, s8, v33
	v_add_co_ci_u32_e32 v34, vcc_lo, s9, v34, vcc_lo
	v_dual_fmac_f32 v15, v40, v25 :: v_dual_add_nc_u32 v6, -14, v4
	v_fmac_f32_e32 v17, v36, v26
	global_load_b64 v[54:55], v[33:34], off
	v_fma_f32 v3, -v23, v27, v3
	v_fmac_f32_e32 v15, v45, v26
	v_lshlrev_b64 v[50:51], 3, v[6:7]
	v_add_nc_u32_e32 v6, -8, v4
	s_waitcnt vmcnt(2)
	v_dual_fmac_f32 v14, v36, v27 :: v_dual_fmac_f32 v3, v46, v28
	v_fma_f32 v17, -v37, v27, v17
	v_fma_f32 v8, -v45, v27, v8
	v_lshlrev_b64 v[52:53], 3, v[6:7]
	v_add_co_u32 v50, vcc_lo, s8, v50
	v_add_co_ci_u32_e32 v51, vcc_lo, s9, v51, vcc_lo
	v_add_nc_u32_e32 v6, -2, v4
	s_delay_alu instid0(VALU_DEP_4)
	v_add_co_u32 v52, vcc_lo, s8, v52
	global_load_b64 v[50:51], v[50:51], off
	v_add_co_ci_u32_e32 v53, vcc_lo, s9, v53, vcc_lo
	v_fmac_f32_e32 v15, v44, v27
	v_fma_f32 v3, -v47, v29, v3
	global_load_b64 v[52:53], v[52:53], off
	v_lshlrev_b64 v[33:34], 3, v[6:7]
	v_add_nc_u32_e32 v6, -13, v4
	s_delay_alu instid0(VALU_DEP_1) | instskip(SKIP_2) | instid1(VALU_DEP_1)
	v_lshlrev_b64 v[56:57], 3, v[6:7]
	s_waitcnt vmcnt(2)
	v_fmac_f32_e32 v14, v55, v28
	v_dual_fmac_f32 v13, v47, v28 :: v_dual_fmac_f32 v14, v54, v29
	s_delay_alu instid0(VALU_DEP_1) | instskip(SKIP_2) | instid1(VALU_DEP_3)
	v_dual_fmac_f32 v13, v46, v29 :: v_dual_add_nc_u32 v6, 4, v32
	v_add_co_u32 v32, vcc_lo, s8, v33
	v_add_co_ci_u32_e32 v33, vcc_lo, s9, v34, vcc_lo
	v_lshlrev_b64 v[34:35], 3, v[6:7]
	global_load_b64 v[58:59], v[32:33], off
	v_fmac_f32_e32 v15, v49, v28
	v_add_nc_u32_e32 v6, -7, v4
	v_add_co_u32 v32, vcc_lo, s8, v56
	v_add_co_ci_u32_e32 v33, vcc_lo, s9, v57, vcc_lo
	s_delay_alu instid0(VALU_DEP_4) | instskip(NEXT) | instid1(VALU_DEP_4)
	v_fmac_f32_e32 v15, v48, v29
	v_lshlrev_b64 v[56:57], 3, v[6:7]
	v_add_co_u32 v34, vcc_lo, s10, v34
	v_add_co_ci_u32_e32 v35, vcc_lo, s11, v35, vcc_lo
	v_fmac_f32_e32 v17, v54, v28
	s_delay_alu instid0(VALU_DEP_4)
	v_add_co_u32 v56, vcc_lo, s8, v56
	v_add_co_ci_u32_e32 v57, vcc_lo, s9, v57, vcc_lo
	s_waitcnt vmcnt(1)
	v_fmac_f32_e32 v15, v53, v30
	global_load_b64 v[56:57], v[56:57], off
	v_dual_fmac_f32 v15, v52, v31 :: v_dual_add_nc_u32 v6, -1, v4
	s_delay_alu instid0(VALU_DEP_1) | instskip(NEXT) | instid1(VALU_DEP_1)
	v_lshlrev_b64 v[62:63], 3, v[6:7]
	v_add_co_u32 v62, vcc_lo, s8, v62
	s_delay_alu instid0(VALU_DEP_2)
	v_add_co_ci_u32_e32 v63, vcc_lo, s9, v63, vcc_lo
	s_clause 0x1
	global_load_b64 v[62:63], v[62:63], off
	global_load_b64 v[60:61], v[32:33], off
	v_dual_fmac_f32 v3, v50, v30 :: v_dual_add_nc_u32 v6, -12, v4
	v_fmac_f32_e32 v13, v51, v30
	global_load_b128 v[32:35], v[34:35], off
	v_fma_f32 v3, -v51, v31, v3
	v_lshlrev_b64 v[64:65], 3, v[6:7]
	v_dual_fmac_f32 v13, v50, v31 :: v_dual_add_nc_u32 v6, -6, v4
	s_delay_alu instid0(VALU_DEP_1) | instskip(NEXT) | instid1(VALU_DEP_3)
	v_lshlrev_b64 v[5:6], 3, v[6:7]
	v_add_co_u32 v64, vcc_lo, s8, v64
	s_delay_alu instid0(VALU_DEP_4) | instskip(NEXT) | instid1(VALU_DEP_3)
	v_add_co_ci_u32_e32 v65, vcc_lo, s9, v65, vcc_lo
	v_add_co_u32 v5, vcc_lo, s8, v5
	s_delay_alu instid0(VALU_DEP_4)
	v_add_co_ci_u32_e32 v6, vcc_lo, s9, v6, vcc_lo
	s_clause 0x1
	global_load_b64 v[64:65], v[64:65], off
	global_load_b64 v[5:6], v[5:6], off
	v_cmp_ge_i32_e32 vcc_lo, v2, v16
	s_or_b32 s2, vcc_lo, s2
	s_waitcnt vmcnt(6)
	v_fmac_f32_e32 v14, v59, v30
	v_fma_f32 v17, -v55, v29, v17
	v_add_nc_u32_e32 v4, 0x480, v4
	s_delay_alu instid0(VALU_DEP_3) | instskip(NEXT) | instid1(VALU_DEP_3)
	v_fmac_f32_e32 v14, v58, v31
	v_fmac_f32_e32 v17, v58, v30
	s_delay_alu instid0(VALU_DEP_1) | instskip(SKIP_2) | instid1(VALU_DEP_2)
	v_fma_f32 v17, -v59, v31, v17
	s_waitcnt vmcnt(2)
	v_fmac_f32_e32 v3, v60, v32
	v_fmac_f32_e32 v17, v62, v32
	s_delay_alu instid0(VALU_DEP_2) | instskip(NEXT) | instid1(VALU_DEP_2)
	v_fma_f32 v3, -v61, v33, v3
	v_fma_f32 v18, -v63, v33, v17
	s_delay_alu instid0(VALU_DEP_1) | instskip(NEXT) | instid1(VALU_DEP_1)
	v_dual_fmac_f32 v15, v57, v32 :: v_dual_fmac_f32 v18, v38, v34
	v_dual_fmac_f32 v14, v63, v32 :: v_dual_fmac_f32 v15, v56, v33
	v_fmac_f32_e32 v13, v61, v32
	s_delay_alu instid0(VALU_DEP_3) | instskip(NEXT) | instid1(VALU_DEP_3)
	v_fma_f32 v18, -v39, v35, v18
	v_fmac_f32_e32 v14, v62, v33
	s_delay_alu instid0(VALU_DEP_3) | instskip(SKIP_2) | instid1(VALU_DEP_2)
	v_fmac_f32_e32 v13, v60, v33
	s_waitcnt vmcnt(0)
	v_dual_fmac_f32 v8, v48, v28 :: v_dual_fmac_f32 v15, v6, v34
	v_fmac_f32_e32 v13, v65, v34
	s_delay_alu instid0(VALU_DEP_2) | instskip(NEXT) | instid1(VALU_DEP_3)
	v_fma_f32 v8, -v49, v29, v8
	v_dual_fmac_f32 v14, v39, v34 :: v_dual_fmac_f32 v15, v5, v35
	s_delay_alu instid0(VALU_DEP_3) | instskip(NEXT) | instid1(VALU_DEP_3)
	v_fmac_f32_e32 v13, v64, v35
	v_fmac_f32_e32 v8, v52, v30
	s_delay_alu instid0(VALU_DEP_3) | instskip(NEXT) | instid1(VALU_DEP_2)
	v_dual_fmac_f32 v3, v64, v34 :: v_dual_fmac_f32 v14, v38, v35
	v_fma_f32 v8, -v53, v31, v8
	s_delay_alu instid0(VALU_DEP_2) | instskip(NEXT) | instid1(VALU_DEP_2)
	v_fma_f32 v17, -v65, v35, v3
	v_fmac_f32_e32 v8, v56, v32
	s_delay_alu instid0(VALU_DEP_1) | instskip(NEXT) | instid1(VALU_DEP_1)
	v_fma_f32 v8, -v57, v33, v8
	v_fmac_f32_e32 v8, v5, v34
	s_delay_alu instid0(VALU_DEP_1)
	v_fma_f32 v19, -v6, v35, v8
	s_and_not1_b32 exec_lo, exec_lo, s2
	s_cbranch_execnz .LBB98_21
; %bb.22:
	s_or_b32 exec_lo, exec_lo, s2
.LBB98_23:
	s_delay_alu instid0(SALU_CYCLE_1)
	s_or_b32 exec_lo, exec_lo, s3
.LBB98_24:
	v_mbcnt_lo_u32_b32 v2, -1, 0
	s_delay_alu instid0(VALU_DEP_1) | instskip(SKIP_1) | instid1(VALU_DEP_2)
	v_or_b32_e32 v3, 32, v2
	v_xor_b32_e32 v16, 16, v2
	v_cmp_gt_i32_e32 vcc_lo, 32, v3
	v_cndmask_b32_e32 v3, v2, v3, vcc_lo
	s_delay_alu instid0(VALU_DEP_3) | instskip(SKIP_1) | instid1(VALU_DEP_1)
	v_cmp_gt_i32_e32 vcc_lo, 32, v16
	v_cndmask_b32_e32 v16, v2, v16, vcc_lo
	v_lshlrev_b32_e32 v16, 2, v16
	s_delay_alu instid0(VALU_DEP_4)
	v_lshlrev_b32_e32 v3, 2, v3
	ds_bpermute_b32 v4, v3, v17
	s_waitcnt lgkmcnt(0)
	v_add_f32_e32 v4, v17, v4
	ds_bpermute_b32 v5, v3, v13
	ds_bpermute_b32 v6, v3, v19
	;; [unrolled: 1-line block ×5, first 2 shown]
	s_waitcnt lgkmcnt(3)
	v_dual_add_f32 v5, v13, v5 :: v_dual_add_f32 v6, v19, v6
	s_waitcnt lgkmcnt(1)
	v_dual_add_f32 v7, v15, v7 :: v_dual_add_f32 v8, v18, v8
	s_waitcnt lgkmcnt(0)
	v_add_f32_e32 v3, v14, v3
	ds_bpermute_b32 v13, v16, v4
	ds_bpermute_b32 v14, v16, v5
	;; [unrolled: 1-line block ×4, first 2 shown]
	v_xor_b32_e32 v19, 8, v2
	ds_bpermute_b32 v17, v16, v7
	ds_bpermute_b32 v16, v16, v3
	v_cmp_gt_i32_e32 vcc_lo, 32, v19
	s_waitcnt lgkmcnt(5)
	v_dual_cndmask_b32 v19, v2, v19 :: v_dual_add_f32 v4, v4, v13
	s_delay_alu instid0(VALU_DEP_1)
	v_lshlrev_b32_e32 v19, 2, v19
	s_waitcnt lgkmcnt(3)
	v_dual_add_f32 v5, v5, v14 :: v_dual_add_f32 v6, v6, v15
	s_waitcnt lgkmcnt(2)
	v_add_f32_e32 v8, v8, v18
	ds_bpermute_b32 v13, v19, v4
	s_waitcnt lgkmcnt(1)
	v_add_f32_e32 v3, v3, v16
	ds_bpermute_b32 v15, v19, v6
	v_add_f32_e32 v7, v7, v17
	ds_bpermute_b32 v17, v19, v8
	ds_bpermute_b32 v14, v19, v5
	s_waitcnt lgkmcnt(3)
	v_add_f32_e32 v4, v4, v13
	ds_bpermute_b32 v18, v19, v3
	s_waitcnt lgkmcnt(3)
	v_add_f32_e32 v6, v6, v15
	ds_bpermute_b32 v16, v19, v7
	v_xor_b32_e32 v19, 4, v2
	s_waitcnt lgkmcnt(3)
	v_add_f32_e32 v8, v8, v17
	s_delay_alu instid0(VALU_DEP_2) | instskip(SKIP_1) | instid1(VALU_DEP_1)
	v_cmp_gt_i32_e32 vcc_lo, 32, v19
	v_cndmask_b32_e32 v19, v2, v19, vcc_lo
	v_lshlrev_b32_e32 v19, 2, v19
	s_waitcnt lgkmcnt(1)
	v_add_f32_e32 v3, v3, v18
	ds_bpermute_b32 v13, v19, v4
	s_waitcnt lgkmcnt(0)
	v_add_f32_e32 v4, v4, v13
	ds_bpermute_b32 v15, v19, v6
	v_add_f32_e32 v5, v5, v14
	ds_bpermute_b32 v17, v19, v8
	;; [unrolled: 2-line block ×3, first 2 shown]
	s_waitcnt lgkmcnt(2)
	v_add_f32_e32 v6, v6, v15
	ds_bpermute_b32 v14, v19, v5
	s_waitcnt lgkmcnt(1)
	v_add_f32_e32 v15, v3, v18
	s_waitcnt lgkmcnt(0)
	v_dual_add_f32 v5, v5, v14 :: v_dual_add_f32 v14, v8, v17
	ds_bpermute_b32 v16, v19, v7
	v_xor_b32_e32 v19, 2, v2
	s_delay_alu instid0(VALU_DEP_1) | instskip(SKIP_3) | instid1(VALU_DEP_1)
	v_cmp_gt_i32_e32 vcc_lo, 32, v19
	s_waitcnt lgkmcnt(0)
	v_add_f32_e32 v13, v7, v16
	v_cndmask_b32_e32 v19, v2, v19, vcc_lo
	v_lshlrev_b32_e32 v19, 2, v19
	ds_bpermute_b32 v3, v19, v4
	ds_bpermute_b32 v7, v19, v5
	;; [unrolled: 1-line block ×6, first 2 shown]
	v_xor_b32_e32 v19, 1, v2
	s_delay_alu instid0(VALU_DEP_1) | instskip(SKIP_3) | instid1(VALU_DEP_2)
	v_cmp_gt_i32_e32 vcc_lo, 32, v19
	v_cndmask_b32_e32 v2, v2, v19, vcc_lo
	v_cmp_eq_u32_e32 vcc_lo, 63, v0
	s_waitcnt lgkmcnt(5)
	v_dual_add_f32 v2, v4, v3 :: v_dual_lshlrev_b32 v19, 2, v2
	s_waitcnt lgkmcnt(4)
	v_add_f32_e32 v5, v5, v7
	s_waitcnt lgkmcnt(0)
	v_dual_add_f32 v7, v6, v8 :: v_dual_add_f32 v4, v15, v18
	v_dual_add_f32 v8, v13, v16 :: v_dual_add_f32 v3, v14, v17
	ds_bpermute_b32 v6, v19, v2
	ds_bpermute_b32 v15, v19, v5
	;; [unrolled: 1-line block ×6, first 2 shown]
	s_and_b32 exec_lo, exec_lo, vcc_lo
	s_cbranch_execz .LBB98_29
; %bb.25:
	s_load_b64 s[2:3], s[0:1], 0x38
	v_cmp_eq_f32_e32 vcc_lo, 0, v11
	v_cmp_eq_f32_e64 s0, 0, v12
	s_waitcnt lgkmcnt(0)
	v_add_f32_e32 v0, v2, v6
	v_dual_add_f32 v6, v5, v15 :: v_dual_add_f32 v3, v3, v13
	v_dual_add_f32 v2, v7, v16 :: v_dual_add_f32 v5, v8, v17
	v_add_f32_e32 v4, v4, v14
	s_and_b32 s0, vcc_lo, s0
	s_delay_alu instid0(SALU_CYCLE_1) | instskip(NEXT) | instid1(SALU_CYCLE_1)
	s_and_saveexec_b32 s1, s0
	s_xor_b32 s0, exec_lo, s1
	s_cbranch_execz .LBB98_27
; %bb.26:
	v_lshl_add_u32 v7, v1, 1, v1
	v_mul_f32_e64 v11, v6, -v10
	v_mul_f32_e32 v12, v6, v9
	v_mul_f32_e64 v13, v5, -v10
	v_mul_f32_e32 v14, v5, v9
	v_ashrrev_i32_e32 v8, 31, v7
	v_fmac_f32_e32 v11, v9, v0
	v_mul_f32_e64 v5, v4, -v10
	v_dual_mul_f32 v6, v4, v9 :: v_dual_fmac_f32 v13, v9, v2
	s_delay_alu instid0(VALU_DEP_4) | instskip(NEXT) | instid1(VALU_DEP_3)
	v_lshlrev_b64 v[7:8], 3, v[7:8]
	v_dual_fmac_f32 v12, v10, v0 :: v_dual_fmac_f32 v5, v9, v3
	v_fmac_f32_e32 v14, v10, v2
	s_delay_alu instid0(VALU_DEP_4) | instskip(NEXT) | instid1(VALU_DEP_4)
	v_fmac_f32_e32 v6, v10, v3
                                        ; implicit-def: $vgpr9
                                        ; implicit-def: $vgpr10
                                        ; implicit-def: $vgpr2
                                        ; implicit-def: $vgpr3
                                        ; implicit-def: $vgpr4
	v_add_co_u32 v0, vcc_lo, s2, v7
	v_add_co_ci_u32_e32 v1, vcc_lo, s3, v8, vcc_lo
	s_clause 0x1
	global_store_b128 v[0:1], v[11:14], off
	global_store_b64 v[0:1], v[5:6], off offset:16
                                        ; implicit-def: $vgpr11
                                        ; implicit-def: $vgpr12
                                        ; implicit-def: $vgpr1
                                        ; implicit-def: $vgpr0
                                        ; implicit-def: $vgpr6
                                        ; implicit-def: $vgpr5
.LBB98_27:
	s_and_not1_saveexec_b32 s0, s0
	s_cbranch_execz .LBB98_29
; %bb.28:
	v_lshl_add_u32 v7, v1, 1, v1
	v_mul_f32_e64 v21, v5, -v10
	v_mul_f32_e64 v22, v4, -v10
	s_delay_alu instid0(VALU_DEP_3) | instskip(NEXT) | instid1(VALU_DEP_1)
	v_ashrrev_i32_e32 v8, 31, v7
	v_lshlrev_b64 v[7:8], 3, v[7:8]
	s_delay_alu instid0(VALU_DEP_1) | instskip(NEXT) | instid1(VALU_DEP_2)
	v_add_co_u32 v17, vcc_lo, s2, v7
	v_add_co_ci_u32_e32 v18, vcc_lo, s3, v8, vcc_lo
	v_mul_f32_e64 v7, v6, -v10
	v_mul_f32_e32 v6, v6, v9
	s_clause 0x1
	global_load_b128 v[13:16], v[17:18], off
	global_load_b64 v[19:20], v[17:18], off offset:16
	v_fmac_f32_e32 v7, v9, v0
	v_dual_mul_f32 v1, v4, v9 :: v_dual_fmac_f32 v6, v10, v0
	v_mul_f32_e32 v8, v5, v9
	v_fmac_f32_e32 v21, v9, v2
	s_delay_alu instid0(VALU_DEP_3) | instskip(SKIP_1) | instid1(VALU_DEP_3)
	v_fmac_f32_e32 v1, v10, v3
	s_waitcnt vmcnt(1)
	v_dual_fmac_f32 v8, v10, v2 :: v_dual_fmac_f32 v7, v11, v13
	v_fmac_f32_e32 v6, v12, v13
	s_waitcnt vmcnt(0)
	v_fmac_f32_e32 v1, v12, v19
	v_fmac_f32_e32 v21, v11, v15
	;; [unrolled: 1-line block ×3, first 2 shown]
	v_fma_f32 v5, -v12, v14, v7
	v_fmac_f32_e32 v6, v11, v14
	v_dual_fmac_f32 v22, v9, v3 :: v_dual_fmac_f32 v1, v11, v20
	v_fma_f32 v7, -v12, v16, v21
	v_fmac_f32_e32 v8, v11, v16
	s_delay_alu instid0(VALU_DEP_3) | instskip(NEXT) | instid1(VALU_DEP_1)
	v_fmac_f32_e32 v22, v11, v19
	v_fma_f32 v0, -v12, v20, v22
	s_clause 0x1
	global_store_b128 v[17:18], v[5:8], off
	global_store_b64 v[17:18], v[0:1], off offset:16
.LBB98_29:
	s_nop 0
	s_sendmsg sendmsg(MSG_DEALLOC_VGPRS)
	s_endpgm
	.section	.rodata,"a",@progbits
	.p2align	6, 0x0
	.amdhsa_kernel _ZN9rocsparseL19gebsrmvn_3xn_kernelILj128ELj6ELj64E21rocsparse_complex_numIfEEEvi20rocsparse_direction_NS_24const_host_device_scalarIT2_EEPKiS8_PKS5_SA_S6_PS5_21rocsparse_index_base_b
		.amdhsa_group_segment_fixed_size 0
		.amdhsa_private_segment_fixed_size 0
		.amdhsa_kernarg_size 72
		.amdhsa_user_sgpr_count 15
		.amdhsa_user_sgpr_dispatch_ptr 0
		.amdhsa_user_sgpr_queue_ptr 0
		.amdhsa_user_sgpr_kernarg_segment_ptr 1
		.amdhsa_user_sgpr_dispatch_id 0
		.amdhsa_user_sgpr_private_segment_size 0
		.amdhsa_wavefront_size32 1
		.amdhsa_uses_dynamic_stack 0
		.amdhsa_enable_private_segment 0
		.amdhsa_system_sgpr_workgroup_id_x 1
		.amdhsa_system_sgpr_workgroup_id_y 0
		.amdhsa_system_sgpr_workgroup_id_z 0
		.amdhsa_system_sgpr_workgroup_info 0
		.amdhsa_system_vgpr_workitem_id 0
		.amdhsa_next_free_vgpr 66
		.amdhsa_next_free_sgpr 16
		.amdhsa_reserve_vcc 1
		.amdhsa_float_round_mode_32 0
		.amdhsa_float_round_mode_16_64 0
		.amdhsa_float_denorm_mode_32 3
		.amdhsa_float_denorm_mode_16_64 3
		.amdhsa_dx10_clamp 1
		.amdhsa_ieee_mode 1
		.amdhsa_fp16_overflow 0
		.amdhsa_workgroup_processor_mode 1
		.amdhsa_memory_ordered 1
		.amdhsa_forward_progress 0
		.amdhsa_shared_vgpr_count 0
		.amdhsa_exception_fp_ieee_invalid_op 0
		.amdhsa_exception_fp_denorm_src 0
		.amdhsa_exception_fp_ieee_div_zero 0
		.amdhsa_exception_fp_ieee_overflow 0
		.amdhsa_exception_fp_ieee_underflow 0
		.amdhsa_exception_fp_ieee_inexact 0
		.amdhsa_exception_int_div_zero 0
	.end_amdhsa_kernel
	.section	.text._ZN9rocsparseL19gebsrmvn_3xn_kernelILj128ELj6ELj64E21rocsparse_complex_numIfEEEvi20rocsparse_direction_NS_24const_host_device_scalarIT2_EEPKiS8_PKS5_SA_S6_PS5_21rocsparse_index_base_b,"axG",@progbits,_ZN9rocsparseL19gebsrmvn_3xn_kernelILj128ELj6ELj64E21rocsparse_complex_numIfEEEvi20rocsparse_direction_NS_24const_host_device_scalarIT2_EEPKiS8_PKS5_SA_S6_PS5_21rocsparse_index_base_b,comdat
.Lfunc_end98:
	.size	_ZN9rocsparseL19gebsrmvn_3xn_kernelILj128ELj6ELj64E21rocsparse_complex_numIfEEEvi20rocsparse_direction_NS_24const_host_device_scalarIT2_EEPKiS8_PKS5_SA_S6_PS5_21rocsparse_index_base_b, .Lfunc_end98-_ZN9rocsparseL19gebsrmvn_3xn_kernelILj128ELj6ELj64E21rocsparse_complex_numIfEEEvi20rocsparse_direction_NS_24const_host_device_scalarIT2_EEPKiS8_PKS5_SA_S6_PS5_21rocsparse_index_base_b
                                        ; -- End function
	.section	.AMDGPU.csdata,"",@progbits
; Kernel info:
; codeLenInByte = 4228
; NumSgprs: 18
; NumVgprs: 66
; ScratchSize: 0
; MemoryBound: 0
; FloatMode: 240
; IeeeMode: 1
; LDSByteSize: 0 bytes/workgroup (compile time only)
; SGPRBlocks: 2
; VGPRBlocks: 8
; NumSGPRsForWavesPerEU: 18
; NumVGPRsForWavesPerEU: 66
; Occupancy: 16
; WaveLimiterHint : 1
; COMPUTE_PGM_RSRC2:SCRATCH_EN: 0
; COMPUTE_PGM_RSRC2:USER_SGPR: 15
; COMPUTE_PGM_RSRC2:TRAP_HANDLER: 0
; COMPUTE_PGM_RSRC2:TGID_X_EN: 1
; COMPUTE_PGM_RSRC2:TGID_Y_EN: 0
; COMPUTE_PGM_RSRC2:TGID_Z_EN: 0
; COMPUTE_PGM_RSRC2:TIDIG_COMP_CNT: 0
	.section	.text._ZN9rocsparseL19gebsrmvn_3xn_kernelILj128ELj7ELj4E21rocsparse_complex_numIfEEEvi20rocsparse_direction_NS_24const_host_device_scalarIT2_EEPKiS8_PKS5_SA_S6_PS5_21rocsparse_index_base_b,"axG",@progbits,_ZN9rocsparseL19gebsrmvn_3xn_kernelILj128ELj7ELj4E21rocsparse_complex_numIfEEEvi20rocsparse_direction_NS_24const_host_device_scalarIT2_EEPKiS8_PKS5_SA_S6_PS5_21rocsparse_index_base_b,comdat
	.globl	_ZN9rocsparseL19gebsrmvn_3xn_kernelILj128ELj7ELj4E21rocsparse_complex_numIfEEEvi20rocsparse_direction_NS_24const_host_device_scalarIT2_EEPKiS8_PKS5_SA_S6_PS5_21rocsparse_index_base_b ; -- Begin function _ZN9rocsparseL19gebsrmvn_3xn_kernelILj128ELj7ELj4E21rocsparse_complex_numIfEEEvi20rocsparse_direction_NS_24const_host_device_scalarIT2_EEPKiS8_PKS5_SA_S6_PS5_21rocsparse_index_base_b
	.p2align	8
	.type	_ZN9rocsparseL19gebsrmvn_3xn_kernelILj128ELj7ELj4E21rocsparse_complex_numIfEEEvi20rocsparse_direction_NS_24const_host_device_scalarIT2_EEPKiS8_PKS5_SA_S6_PS5_21rocsparse_index_base_b,@function
_ZN9rocsparseL19gebsrmvn_3xn_kernelILj128ELj7ELj4E21rocsparse_complex_numIfEEEvi20rocsparse_direction_NS_24const_host_device_scalarIT2_EEPKiS8_PKS5_SA_S6_PS5_21rocsparse_index_base_b: ; @_ZN9rocsparseL19gebsrmvn_3xn_kernelILj128ELj7ELj4E21rocsparse_complex_numIfEEEvi20rocsparse_direction_NS_24const_host_device_scalarIT2_EEPKiS8_PKS5_SA_S6_PS5_21rocsparse_index_base_b
; %bb.0:
	s_clause 0x2
	s_load_b64 s[12:13], s[0:1], 0x40
	s_load_b64 s[4:5], s[0:1], 0x8
	s_load_b64 s[2:3], s[0:1], 0x30
	s_waitcnt lgkmcnt(0)
	s_bitcmp1_b32 s13, 0
	v_mov_b32_e32 v9, s4
	s_cselect_b32 s6, -1, 0
	s_delay_alu instid0(SALU_CYCLE_1)
	s_and_b32 vcc_lo, exec_lo, s6
	s_xor_b32 s6, s6, -1
	s_cbranch_vccz .LBB99_15
; %bb.1:
	v_cndmask_b32_e64 v1, 0, 1, s6
	v_mov_b32_e32 v10, s5
	s_and_not1_b32 vcc_lo, exec_lo, s6
	s_cbranch_vccz .LBB99_16
.LBB99_2:
	s_delay_alu instid0(VALU_DEP_2)
	v_cmp_ne_u32_e32 vcc_lo, 1, v1
	v_mov_b32_e32 v11, s2
	s_cbranch_vccz .LBB99_17
.LBB99_3:
	v_cmp_ne_u32_e32 vcc_lo, 1, v1
	v_mov_b32_e32 v12, s3
	s_cbranch_vccnz .LBB99_5
.LBB99_4:
	v_dual_mov_b32 v1, s2 :: v_dual_mov_b32 v2, s3
	flat_load_b32 v12, v[1:2] offset:4
.LBB99_5:
	s_waitcnt vmcnt(0) lgkmcnt(0)
	v_cmp_eq_f32_e32 vcc_lo, 0, v9
	v_cmp_eq_f32_e64 s2, 0, v10
	s_delay_alu instid0(VALU_DEP_1)
	s_and_b32 s4, vcc_lo, s2
	s_mov_b32 s2, -1
	s_and_saveexec_b32 s3, s4
; %bb.6:
	v_cmp_neq_f32_e32 vcc_lo, 1.0, v11
	v_cmp_neq_f32_e64 s2, 0, v12
	s_delay_alu instid0(VALU_DEP_1) | instskip(NEXT) | instid1(SALU_CYCLE_1)
	s_or_b32 s2, vcc_lo, s2
	s_or_not1_b32 s2, s2, exec_lo
; %bb.7:
	s_or_b32 exec_lo, exec_lo, s3
	s_and_saveexec_b32 s3, s2
	s_cbranch_execz .LBB99_29
; %bb.8:
	s_load_b64 s[2:3], s[0:1], 0x0
	v_lshrrev_b32_e32 v1, 2, v0
	s_delay_alu instid0(VALU_DEP_1) | instskip(SKIP_1) | instid1(VALU_DEP_1)
	v_lshl_or_b32 v1, s15, 5, v1
	s_waitcnt lgkmcnt(0)
	v_cmp_gt_i32_e32 vcc_lo, s2, v1
	s_and_b32 exec_lo, exec_lo, vcc_lo
	s_cbranch_execz .LBB99_29
; %bb.9:
	s_load_b256 s[4:11], s[0:1], 0x10
	v_ashrrev_i32_e32 v2, 31, v1
	v_and_b32_e32 v0, 3, v0
	s_cmp_lg_u32 s3, 0
	s_delay_alu instid0(VALU_DEP_2) | instskip(SKIP_1) | instid1(VALU_DEP_1)
	v_lshlrev_b64 v[2:3], 2, v[1:2]
	s_waitcnt lgkmcnt(0)
	v_add_co_u32 v2, vcc_lo, s4, v2
	s_delay_alu instid0(VALU_DEP_2) | instskip(SKIP_4) | instid1(VALU_DEP_2)
	v_add_co_ci_u32_e32 v3, vcc_lo, s5, v3, vcc_lo
	global_load_b64 v[2:3], v[2:3], off
	s_waitcnt vmcnt(0)
	v_subrev_nc_u32_e32 v2, s12, v2
	v_subrev_nc_u32_e32 v16, s12, v3
	v_add_nc_u32_e32 v2, v2, v0
	s_delay_alu instid0(VALU_DEP_1)
	v_cmp_lt_i32_e64 s2, v2, v16
	s_cbranch_scc0 .LBB99_18
; %bb.10:
	v_dual_mov_b32 v13, 0 :: v_dual_mov_b32 v18, 0
	v_dual_mov_b32 v17, 0 :: v_dual_mov_b32 v14, 0
	v_mov_b32_e32 v19, 0
	v_mov_b32_e32 v15, 0
	s_mov_b32 s3, 0
	s_and_saveexec_b32 s4, s2
	s_cbranch_execz .LBB99_14
; %bb.11:
	v_mad_u64_u32 v[3:4], null, v2, 21, 20
	v_dual_mov_b32 v6, 0 :: v_dual_mov_b32 v7, v2
	v_dual_mov_b32 v13, 0 :: v_dual_mov_b32 v18, 0
	v_dual_mov_b32 v17, 0 :: v_dual_mov_b32 v14, 0
	v_mov_b32_e32 v19, 0
	v_mov_b32_e32 v15, 0
	s_mov_b32 s5, 0
.LBB99_12:                              ; =>This Inner Loop Header: Depth=1
	v_ashrrev_i32_e32 v8, 31, v7
	s_delay_alu instid0(VALU_DEP_1) | instskip(NEXT) | instid1(VALU_DEP_1)
	v_lshlrev_b64 v[4:5], 2, v[7:8]
	v_add_co_u32 v4, vcc_lo, s6, v4
	s_delay_alu instid0(VALU_DEP_2) | instskip(SKIP_3) | instid1(VALU_DEP_2)
	v_add_co_ci_u32_e32 v5, vcc_lo, s7, v5, vcc_lo
	global_load_b32 v8, v[4:5], off
	v_subrev_nc_u32_e32 v5, 20, v3
	v_mov_b32_e32 v4, v6
	v_lshlrev_b64 v[22:23], 3, v[5:6]
	v_subrev_nc_u32_e32 v5, 19, v3
	s_delay_alu instid0(VALU_DEP_3) | instskip(NEXT) | instid1(VALU_DEP_2)
	v_lshlrev_b64 v[24:25], 3, v[3:4]
	v_lshlrev_b64 v[26:27], 3, v[5:6]
	v_subrev_nc_u32_e32 v5, 18, v3
	v_add_co_u32 v22, vcc_lo, s8, v22
	v_add_co_ci_u32_e32 v23, vcc_lo, s9, v23, vcc_lo
	s_delay_alu instid0(VALU_DEP_3) | instskip(SKIP_4) | instid1(VALU_DEP_4)
	v_lshlrev_b64 v[28:29], 3, v[5:6]
	v_subrev_nc_u32_e32 v5, 17, v3
	v_add_co_u32 v24, vcc_lo, s8, v24
	v_add_co_ci_u32_e32 v25, vcc_lo, s9, v25, vcc_lo
	v_add_co_u32 v26, vcc_lo, s8, v26
	v_lshlrev_b64 v[4:5], 3, v[5:6]
	v_add_co_ci_u32_e32 v27, vcc_lo, s9, v27, vcc_lo
	v_add_co_u32 v28, vcc_lo, s8, v28
	v_add_co_ci_u32_e32 v29, vcc_lo, s9, v29, vcc_lo
	s_delay_alu instid0(VALU_DEP_4)
	v_add_co_u32 v4, vcc_lo, s8, v4
	v_add_co_ci_u32_e32 v5, vcc_lo, s9, v5, vcc_lo
	s_clause 0x3
	global_load_b64 v[22:23], v[22:23], off
	global_load_b64 v[26:27], v[26:27], off
	;; [unrolled: 1-line block ×4, first 2 shown]
	v_mov_b32_e32 v21, v6
	s_waitcnt vmcnt(4)
	v_subrev_nc_u32_e32 v4, s12, v8
	s_delay_alu instid0(VALU_DEP_1) | instskip(NEXT) | instid1(VALU_DEP_1)
	v_mul_lo_u32 v20, v4, 7
	v_lshlrev_b64 v[32:33], 3, v[20:21]
	v_add_nc_u32_e32 v5, 1, v20
	s_delay_alu instid0(VALU_DEP_1) | instskip(NEXT) | instid1(VALU_DEP_3)
	v_lshlrev_b64 v[34:35], 3, v[5:6]
	v_add_co_u32 v32, vcc_lo, s10, v32
	s_delay_alu instid0(VALU_DEP_4) | instskip(NEXT) | instid1(VALU_DEP_3)
	v_add_co_ci_u32_e32 v33, vcc_lo, s11, v33, vcc_lo
	v_add_co_u32 v34, vcc_lo, s10, v34
	global_load_b64 v[32:33], v[32:33], off
	v_add_co_ci_u32_e32 v35, vcc_lo, s11, v35, vcc_lo
	global_load_b64 v[34:35], v[34:35], off
	s_waitcnt vmcnt(1)
	v_dual_fmac_f32 v14, v29, v32 :: v_dual_add_nc_u32 v5, -16, v3
	s_delay_alu instid0(VALU_DEP_1) | instskip(SKIP_4) | instid1(VALU_DEP_4)
	v_lshlrev_b64 v[36:37], 3, v[5:6]
	v_add_nc_u32_e32 v5, -15, v3
	v_fmac_f32_e32 v17, v22, v32
	v_fmac_f32_e32 v18, v28, v32
	v_dual_fmac_f32 v14, v28, v33 :: v_dual_fmac_f32 v15, v27, v32
	v_lshlrev_b64 v[38:39], 3, v[5:6]
	v_add_co_u32 v36, vcc_lo, s8, v36
	v_add_co_ci_u32_e32 v37, vcc_lo, s9, v37, vcc_lo
	v_fma_f32 v8, -v23, v33, v17
	s_delay_alu instid0(VALU_DEP_4)
	v_add_co_u32 v38, vcc_lo, s8, v38
	v_add_co_ci_u32_e32 v39, vcc_lo, s9, v39, vcc_lo
	global_load_b64 v[36:37], v[36:37], off
	s_waitcnt vmcnt(1)
	v_dual_fmac_f32 v8, v30, v34 :: v_dual_add_nc_u32 v5, -14, v3
	global_load_b64 v[38:39], v[38:39], off
	v_fma_f32 v18, -v29, v33, v18
	v_fmac_f32_e32 v15, v26, v33
	v_lshlrev_b64 v[40:41], 3, v[5:6]
	v_fma_f32 v8, -v31, v35, v8
	s_delay_alu instid0(VALU_DEP_2) | instskip(NEXT) | instid1(VALU_DEP_3)
	v_add_co_u32 v40, vcc_lo, s8, v40
	v_add_co_ci_u32_e32 v41, vcc_lo, s9, v41, vcc_lo
	global_load_b64 v[40:41], v[40:41], off
	v_add_nc_u32_e32 v5, 2, v20
	s_waitcnt vmcnt(2)
	v_fmac_f32_e32 v15, v37, v34
	s_waitcnt vmcnt(1)
	v_fmac_f32_e32 v18, v38, v34
	v_lshlrev_b64 v[42:43], 3, v[5:6]
	v_dual_fmac_f32 v14, v39, v34 :: v_dual_add_nc_u32 v5, -13, v3
	v_fmac_f32_e32 v15, v36, v35
	s_delay_alu instid0(VALU_DEP_4) | instskip(NEXT) | instid1(VALU_DEP_4)
	v_fma_f32 v18, -v39, v35, v18
	v_add_co_u32 v42, vcc_lo, s10, v42
	v_add_co_ci_u32_e32 v43, vcc_lo, s11, v43, vcc_lo
	v_lshlrev_b64 v[44:45], 3, v[5:6]
	v_fmac_f32_e32 v14, v38, v35
	global_load_b64 v[42:43], v[42:43], off
	v_add_nc_u32_e32 v5, -12, v3
	v_add_co_u32 v44, vcc_lo, s8, v44
	v_add_co_ci_u32_e32 v45, vcc_lo, s9, v45, vcc_lo
	global_load_b64 v[44:45], v[44:45], off
	s_waitcnt vmcnt(1)
	v_fmac_f32_e32 v8, v40, v42
	v_lshlrev_b64 v[46:47], 3, v[5:6]
	s_delay_alu instid0(VALU_DEP_2) | instskip(NEXT) | instid1(VALU_DEP_2)
	v_fma_f32 v8, -v41, v43, v8
	v_add_co_u32 v46, vcc_lo, s8, v46
	s_delay_alu instid0(VALU_DEP_3) | instskip(SKIP_2) | instid1(VALU_DEP_1)
	v_add_co_ci_u32_e32 v47, vcc_lo, s9, v47, vcc_lo
	global_load_b64 v[46:47], v[46:47], off
	v_add_nc_u32_e32 v5, -11, v3
	v_lshlrev_b64 v[48:49], 3, v[5:6]
	v_add_nc_u32_e32 v5, 3, v20
	s_delay_alu instid0(VALU_DEP_1) | instskip(NEXT) | instid1(VALU_DEP_3)
	v_lshlrev_b64 v[50:51], 3, v[5:6]
	v_add_co_u32 v48, vcc_lo, s8, v48
	s_delay_alu instid0(VALU_DEP_4) | instskip(NEXT) | instid1(VALU_DEP_3)
	v_add_co_ci_u32_e32 v49, vcc_lo, s9, v49, vcc_lo
	v_add_co_u32 v50, vcc_lo, s10, v50
	s_delay_alu instid0(VALU_DEP_4)
	v_add_co_ci_u32_e32 v51, vcc_lo, s11, v51, vcc_lo
	global_load_b64 v[48:49], v[48:49], off
	v_add_nc_u32_e32 v5, -10, v3
	s_waitcnt vmcnt(2)
	v_fmac_f32_e32 v15, v45, v42
	global_load_b64 v[50:51], v[50:51], off
	s_waitcnt vmcnt(2)
	v_dual_fmac_f32 v15, v44, v43 :: v_dual_fmac_f32 v14, v47, v42
	v_lshlrev_b64 v[52:53], 3, v[5:6]
	v_dual_fmac_f32 v18, v46, v42 :: v_dual_add_nc_u32 v5, -9, v3
	s_delay_alu instid0(VALU_DEP_3) | instskip(NEXT) | instid1(VALU_DEP_3)
	v_fmac_f32_e32 v14, v46, v43
	v_add_co_u32 v52, vcc_lo, s8, v52
	s_delay_alu instid0(VALU_DEP_4) | instskip(NEXT) | instid1(VALU_DEP_4)
	v_add_co_ci_u32_e32 v53, vcc_lo, s9, v53, vcc_lo
	v_fma_f32 v18, -v47, v43, v18
	global_load_b64 v[52:53], v[52:53], off
	s_waitcnt vmcnt(1)
	v_fmac_f32_e32 v8, v48, v50
	v_lshlrev_b64 v[54:55], 3, v[5:6]
	s_delay_alu instid0(VALU_DEP_2) | instskip(NEXT) | instid1(VALU_DEP_2)
	v_fma_f32 v8, -v49, v51, v8
	v_add_co_u32 v54, vcc_lo, s8, v54
	s_delay_alu instid0(VALU_DEP_3) | instskip(SKIP_2) | instid1(VALU_DEP_1)
	v_add_co_ci_u32_e32 v55, vcc_lo, s9, v55, vcc_lo
	global_load_b64 v[54:55], v[54:55], off
	v_add_nc_u32_e32 v5, -8, v3
	v_lshlrev_b64 v[56:57], 3, v[5:6]
	v_add_nc_u32_e32 v5, 4, v20
	s_delay_alu instid0(VALU_DEP_1) | instskip(NEXT) | instid1(VALU_DEP_3)
	v_lshlrev_b64 v[58:59], 3, v[5:6]
	v_add_co_u32 v56, vcc_lo, s8, v56
	s_delay_alu instid0(VALU_DEP_4) | instskip(NEXT) | instid1(VALU_DEP_3)
	v_add_co_ci_u32_e32 v57, vcc_lo, s9, v57, vcc_lo
	v_add_co_u32 v58, vcc_lo, s10, v58
	s_delay_alu instid0(VALU_DEP_4)
	v_add_co_ci_u32_e32 v59, vcc_lo, s11, v59, vcc_lo
	global_load_b64 v[56:57], v[56:57], off
	v_add_nc_u32_e32 v5, -7, v3
	global_load_b64 v[58:59], v[58:59], off
	s_waitcnt vmcnt(3)
	v_fmac_f32_e32 v15, v53, v50
	s_waitcnt vmcnt(2)
	s_delay_alu instid0(VALU_DEP_1) | instskip(SKIP_2) | instid1(VALU_DEP_3)
	v_dual_fmac_f32 v15, v52, v51 :: v_dual_fmac_f32 v14, v55, v50
	v_lshlrev_b64 v[60:61], 3, v[5:6]
	v_dual_fmac_f32 v18, v54, v50 :: v_dual_add_nc_u32 v5, -6, v3
	v_fmac_f32_e32 v14, v54, v51
	s_delay_alu instid0(VALU_DEP_3) | instskip(NEXT) | instid1(VALU_DEP_4)
	v_add_co_u32 v60, vcc_lo, s8, v60
	v_add_co_ci_u32_e32 v61, vcc_lo, s9, v61, vcc_lo
	s_delay_alu instid0(VALU_DEP_4) | instskip(SKIP_4) | instid1(VALU_DEP_2)
	v_fma_f32 v18, -v55, v51, v18
	global_load_b64 v[60:61], v[60:61], off
	s_waitcnt vmcnt(1)
	v_fmac_f32_e32 v8, v56, v58
	v_lshlrev_b64 v[62:63], 3, v[5:6]
	v_fma_f32 v8, -v57, v59, v8
	s_delay_alu instid0(VALU_DEP_2) | instskip(NEXT) | instid1(VALU_DEP_3)
	v_add_co_u32 v62, vcc_lo, s8, v62
	v_add_co_ci_u32_e32 v63, vcc_lo, s9, v63, vcc_lo
	global_load_b64 v[62:63], v[62:63], off
	v_add_nc_u32_e32 v5, -5, v3
	s_delay_alu instid0(VALU_DEP_1) | instskip(SKIP_1) | instid1(VALU_DEP_1)
	v_lshlrev_b64 v[64:65], 3, v[5:6]
	v_add_nc_u32_e32 v5, 5, v20
	v_lshlrev_b64 v[66:67], 3, v[5:6]
	s_delay_alu instid0(VALU_DEP_3) | instskip(NEXT) | instid1(VALU_DEP_4)
	v_add_co_u32 v64, vcc_lo, s8, v64
	v_add_co_ci_u32_e32 v65, vcc_lo, s9, v65, vcc_lo
	s_delay_alu instid0(VALU_DEP_3) | instskip(NEXT) | instid1(VALU_DEP_4)
	v_add_co_u32 v66, vcc_lo, s10, v66
	v_add_co_ci_u32_e32 v67, vcc_lo, s11, v67, vcc_lo
	global_load_b64 v[64:65], v[64:65], off
	v_add_nc_u32_e32 v5, -4, v3
	global_load_b64 v[66:67], v[66:67], off
	s_waitcnt vmcnt(3)
	v_fmac_f32_e32 v15, v61, v58
	s_waitcnt vmcnt(2)
	s_delay_alu instid0(VALU_DEP_1) | instskip(SKIP_2) | instid1(VALU_DEP_3)
	v_dual_fmac_f32 v15, v60, v59 :: v_dual_fmac_f32 v14, v63, v58
	v_lshlrev_b64 v[68:69], 3, v[5:6]
	v_dual_fmac_f32 v18, v62, v58 :: v_dual_add_nc_u32 v5, -3, v3
	v_fmac_f32_e32 v14, v62, v59
	s_delay_alu instid0(VALU_DEP_3) | instskip(NEXT) | instid1(VALU_DEP_4)
	v_add_co_u32 v68, vcc_lo, s8, v68
	v_add_co_ci_u32_e32 v69, vcc_lo, s9, v69, vcc_lo
	s_delay_alu instid0(VALU_DEP_4) | instskip(SKIP_4) | instid1(VALU_DEP_3)
	v_fma_f32 v18, -v63, v59, v18
	s_waitcnt vmcnt(0)
	v_fmac_f32_e32 v8, v64, v66
	v_lshlrev_b64 v[70:71], 3, v[5:6]
	v_add_nc_u32_e32 v5, -2, v3
	v_fma_f32 v8, -v65, v67, v8
	s_delay_alu instid0(VALU_DEP_2)
	v_lshlrev_b64 v[72:73], 3, v[5:6]
	v_add_nc_u32_e32 v5, 6, v20
	global_load_b64 v[20:21], v[68:69], off
	v_add_co_u32 v68, vcc_lo, s8, v70
	v_add_co_ci_u32_e32 v69, vcc_lo, s9, v71, vcc_lo
	v_add_co_u32 v72, vcc_lo, s8, v72
	v_add_co_ci_u32_e32 v73, vcc_lo, s9, v73, vcc_lo
	global_load_b64 v[68:69], v[68:69], off
	v_lshlrev_b64 v[70:71], 3, v[5:6]
	global_load_b64 v[72:73], v[72:73], off
	v_add_nc_u32_e32 v5, -1, v3
	v_add_co_u32 v70, vcc_lo, s10, v70
	v_add_co_ci_u32_e32 v71, vcc_lo, s11, v71, vcc_lo
	s_waitcnt vmcnt(2)
	v_fmac_f32_e32 v15, v21, v66
	s_waitcnt vmcnt(1)
	s_delay_alu instid0(VALU_DEP_1) | instskip(SKIP_2) | instid1(VALU_DEP_3)
	v_dual_fmac_f32 v15, v20, v67 :: v_dual_fmac_f32 v14, v69, v66
	v_lshlrev_b64 v[4:5], 3, v[5:6]
	v_fmac_f32_e32 v18, v68, v66
	v_fmac_f32_e32 v14, v68, v67
	s_delay_alu instid0(VALU_DEP_3) | instskip(NEXT) | instid1(VALU_DEP_4)
	v_add_co_u32 v4, vcc_lo, s8, v4
	v_add_co_ci_u32_e32 v5, vcc_lo, s9, v5, vcc_lo
	global_load_b64 v[70:71], v[70:71], off
	s_clause 0x1
	global_load_b64 v[4:5], v[4:5], off
	global_load_b64 v[24:25], v[24:25], off
	v_fmac_f32_e32 v13, v23, v32
	v_fma_f32 v18, -v69, v67, v18
	v_add_nc_u32_e32 v7, 4, v7
	s_waitcnt vmcnt(2)
	v_dual_fmac_f32 v8, v72, v70 :: v_dual_add_nc_u32 v3, 0x54, v3
	s_waitcnt vmcnt(1)
	v_fmac_f32_e32 v15, v5, v70
	s_waitcnt vmcnt(0)
	v_fmac_f32_e32 v18, v24, v70
	v_dual_fmac_f32 v14, v25, v70 :: v_dual_fmac_f32 v19, v26, v32
	v_fmac_f32_e32 v13, v22, v33
	v_cmp_ge_i32_e32 vcc_lo, v7, v16
	v_fmac_f32_e32 v15, v4, v71
	s_delay_alu instid0(VALU_DEP_4) | instskip(SKIP_4) | instid1(VALU_DEP_3)
	v_fmac_f32_e32 v14, v24, v71
	v_fma_f32 v17, -v27, v33, v19
	v_fmac_f32_e32 v13, v31, v34
	v_fma_f32 v18, -v25, v71, v18
	s_or_b32 s5, vcc_lo, s5
	v_fmac_f32_e32 v17, v36, v34
	s_delay_alu instid0(VALU_DEP_3) | instskip(NEXT) | instid1(VALU_DEP_2)
	v_fmac_f32_e32 v13, v30, v35
	v_fma_f32 v17, -v37, v35, v17
	s_delay_alu instid0(VALU_DEP_2) | instskip(NEXT) | instid1(VALU_DEP_2)
	v_fmac_f32_e32 v13, v41, v42
	v_fmac_f32_e32 v17, v44, v42
	s_delay_alu instid0(VALU_DEP_2) | instskip(NEXT) | instid1(VALU_DEP_2)
	v_fmac_f32_e32 v13, v40, v43
	v_fma_f32 v17, -v45, v43, v17
	s_delay_alu instid0(VALU_DEP_2) | instskip(NEXT) | instid1(VALU_DEP_2)
	v_fmac_f32_e32 v13, v49, v50
	v_fmac_f32_e32 v17, v52, v50
	s_delay_alu instid0(VALU_DEP_2) | instskip(NEXT) | instid1(VALU_DEP_2)
	;; [unrolled: 6-line block ×4, first 2 shown]
	v_fmac_f32_e32 v13, v64, v67
	v_fma_f32 v19, -v21, v67, v17
	s_delay_alu instid0(VALU_DEP_2) | instskip(SKIP_1) | instid1(VALU_DEP_3)
	v_fmac_f32_e32 v13, v73, v70
	v_fma_f32 v17, -v73, v71, v8
	v_fmac_f32_e32 v19, v4, v70
	s_delay_alu instid0(VALU_DEP_3) | instskip(NEXT) | instid1(VALU_DEP_2)
	v_fmac_f32_e32 v13, v72, v71
	v_fma_f32 v19, -v5, v71, v19
	s_and_not1_b32 exec_lo, exec_lo, s5
	s_cbranch_execnz .LBB99_12
; %bb.13:
	s_or_b32 exec_lo, exec_lo, s5
.LBB99_14:
	s_delay_alu instid0(SALU_CYCLE_1) | instskip(NEXT) | instid1(SALU_CYCLE_1)
	s_or_b32 exec_lo, exec_lo, s4
	s_and_not1_b32 vcc_lo, exec_lo, s3
	s_cbranch_vccz .LBB99_19
	s_branch .LBB99_24
.LBB99_15:
	v_dual_mov_b32 v1, s4 :: v_dual_mov_b32 v2, s5
	flat_load_b32 v9, v[1:2]
	v_cndmask_b32_e64 v1, 0, 1, s6
	v_mov_b32_e32 v10, s5
	s_and_not1_b32 vcc_lo, exec_lo, s6
	s_cbranch_vccnz .LBB99_2
.LBB99_16:
	v_dual_mov_b32 v2, s4 :: v_dual_mov_b32 v3, s5
	flat_load_b32 v10, v[2:3] offset:4
	v_cmp_ne_u32_e32 vcc_lo, 1, v1
	v_mov_b32_e32 v11, s2
	s_cbranch_vccnz .LBB99_3
.LBB99_17:
	v_dual_mov_b32 v2, s2 :: v_dual_mov_b32 v3, s3
	flat_load_b32 v11, v[2:3]
	v_cmp_ne_u32_e32 vcc_lo, 1, v1
	v_mov_b32_e32 v12, s3
	s_cbranch_vccz .LBB99_4
	s_branch .LBB99_5
.LBB99_18:
                                        ; implicit-def: $vgpr13
                                        ; implicit-def: $vgpr17
                                        ; implicit-def: $vgpr18
                                        ; implicit-def: $vgpr14
                                        ; implicit-def: $vgpr19
                                        ; implicit-def: $vgpr15
.LBB99_19:
	v_dual_mov_b32 v13, 0 :: v_dual_mov_b32 v18, 0
	v_dual_mov_b32 v17, 0 :: v_dual_mov_b32 v14, 0
	v_mov_b32_e32 v19, 0
	v_mov_b32_e32 v15, 0
	s_and_saveexec_b32 s3, s2
	s_cbranch_execz .LBB99_23
; %bb.20:
	v_mad_u64_u32 v[4:5], null, v2, 21, 20
	v_dual_mov_b32 v7, 0 :: v_dual_mov_b32 v18, 0
	v_dual_mov_b32 v13, 0 :: v_dual_mov_b32 v14, 0
	v_mov_b32_e32 v17, 0
	v_mov_b32_e32 v19, 0
	;; [unrolled: 1-line block ×3, first 2 shown]
	s_mov_b32 s2, 0
.LBB99_21:                              ; =>This Inner Loop Header: Depth=1
	v_ashrrev_i32_e32 v3, 31, v2
	v_dual_mov_b32 v21, v7 :: v_dual_add_nc_u32 v20, -13, v4
	v_dual_mov_b32 v23, v7 :: v_dual_add_nc_u32 v22, -6, v4
	s_delay_alu instid0(VALU_DEP_3) | instskip(NEXT) | instid1(VALU_DEP_3)
	v_lshlrev_b64 v[5:6], 2, v[2:3]
	v_lshlrev_b64 v[20:21], 3, v[20:21]
	s_delay_alu instid0(VALU_DEP_3) | instskip(NEXT) | instid1(VALU_DEP_3)
	v_lshlrev_b64 v[22:23], 3, v[22:23]
	v_add_co_u32 v5, vcc_lo, s6, v5
	s_delay_alu instid0(VALU_DEP_4) | instskip(SKIP_3) | instid1(VALU_DEP_2)
	v_add_co_ci_u32_e32 v6, vcc_lo, s7, v6, vcc_lo
	global_load_b32 v3, v[5:6], off
	v_subrev_nc_u32_e32 v6, 20, v4
	v_mov_b32_e32 v5, v7
	v_lshlrev_b64 v[25:26], 3, v[6:7]
	v_subrev_nc_u32_e32 v6, 19, v4
	s_delay_alu instid0(VALU_DEP_3) | instskip(NEXT) | instid1(VALU_DEP_2)
	v_lshlrev_b64 v[27:28], 3, v[4:5]
	v_lshlrev_b64 v[5:6], 3, v[6:7]
	s_delay_alu instid0(VALU_DEP_4)
	v_add_co_u32 v25, vcc_lo, s8, v25
	v_add_co_ci_u32_e32 v26, vcc_lo, s9, v26, vcc_lo
	v_add_co_u32 v20, vcc_lo, s8, v20
	v_add_co_ci_u32_e32 v21, vcc_lo, s9, v21, vcc_lo
	;; [unrolled: 2-line block ×5, first 2 shown]
	s_clause 0x3
	global_load_b64 v[25:26], v[25:26], off
	global_load_b64 v[20:21], v[20:21], off
	;; [unrolled: 1-line block ×4, first 2 shown]
	v_mov_b32_e32 v24, v7
	s_waitcnt vmcnt(4)
	v_subrev_nc_u32_e32 v3, s12, v3
	s_delay_alu instid0(VALU_DEP_1) | instskip(NEXT) | instid1(VALU_DEP_1)
	v_mul_lo_u32 v23, v3, 7
	v_lshlrev_b64 v[33:34], 3, v[23:24]
	v_add_nc_u32_e32 v6, 1, v23
	s_delay_alu instid0(VALU_DEP_1) | instskip(NEXT) | instid1(VALU_DEP_3)
	v_lshlrev_b64 v[35:36], 3, v[6:7]
	v_add_co_u32 v33, vcc_lo, s10, v33
	s_delay_alu instid0(VALU_DEP_4) | instskip(NEXT) | instid1(VALU_DEP_3)
	v_add_co_ci_u32_e32 v34, vcc_lo, s11, v34, vcc_lo
	v_add_co_u32 v35, vcc_lo, s10, v35
	global_load_b64 v[33:34], v[33:34], off
	v_add_co_ci_u32_e32 v36, vcc_lo, s11, v36, vcc_lo
	global_load_b64 v[35:36], v[35:36], off
	s_waitcnt vmcnt(1)
	v_dual_fmac_f32 v13, v26, v33 :: v_dual_add_nc_u32 v6, -12, v4
	s_delay_alu instid0(VALU_DEP_1) | instskip(SKIP_4) | instid1(VALU_DEP_4)
	v_lshlrev_b64 v[37:38], 3, v[6:7]
	v_dual_fmac_f32 v19, v20, v33 :: v_dual_add_nc_u32 v6, -5, v4
	v_fmac_f32_e32 v17, v25, v33
	v_fmac_f32_e32 v18, v29, v33
	;; [unrolled: 1-line block ×3, first 2 shown]
	v_lshlrev_b64 v[39:40], 3, v[6:7]
	v_subrev_nc_u32_e32 v6, 18, v4
	v_add_co_u32 v37, vcc_lo, s8, v37
	v_add_co_ci_u32_e32 v38, vcc_lo, s9, v38, vcc_lo
	s_delay_alu instid0(VALU_DEP_3)
	v_lshlrev_b64 v[41:42], 3, v[6:7]
	v_add_nc_u32_e32 v6, 2, v23
	v_add_co_u32 v39, vcc_lo, s8, v39
	global_load_b64 v[37:38], v[37:38], off
	v_add_co_ci_u32_e32 v40, vcc_lo, s9, v40, vcc_lo
	v_lshlrev_b64 v[43:44], 3, v[6:7]
	v_add_co_u32 v41, vcc_lo, s8, v41
	global_load_b64 v[39:40], v[39:40], off
	v_dual_fmac_f32 v13, v25, v34 :: v_dual_add_nc_u32 v6, -11, v4
	v_add_co_ci_u32_e32 v42, vcc_lo, s9, v42, vcc_lo
	v_add_co_u32 v43, vcc_lo, s10, v43
	v_add_co_ci_u32_e32 v44, vcc_lo, s11, v44, vcc_lo
	s_delay_alu instid0(VALU_DEP_4)
	v_lshlrev_b64 v[45:46], 3, v[6:7]
	v_dual_fmac_f32 v15, v20, v34 :: v_dual_add_nc_u32 v6, -4, v4
	global_load_b64 v[41:42], v[41:42], off
	global_load_b64 v[43:44], v[43:44], off
	s_waitcnt vmcnt(4)
	v_dual_fmac_f32 v13, v32, v35 :: v_dual_add_nc_u32 v2, 4, v2
	v_add_co_u32 v45, vcc_lo, s8, v45
	v_lshlrev_b64 v[47:48], 3, v[6:7]
	v_subrev_nc_u32_e32 v6, 17, v4
	v_add_co_ci_u32_e32 v46, vcc_lo, s9, v46, vcc_lo
	v_fmac_f32_e32 v13, v31, v36
	v_fma_f32 v3, -v26, v34, v17
	s_delay_alu instid0(VALU_DEP_4)
	v_lshlrev_b64 v[49:50], 3, v[6:7]
	v_add_nc_u32_e32 v6, 3, v23
	global_load_b64 v[45:46], v[45:46], off
	v_add_co_u32 v47, vcc_lo, s8, v47
	v_add_co_ci_u32_e32 v48, vcc_lo, s9, v48, vcc_lo
	v_lshlrev_b64 v[51:52], 3, v[6:7]
	v_add_co_u32 v49, vcc_lo, s8, v49
	global_load_b64 v[47:48], v[47:48], off
	v_add_co_ci_u32_e32 v50, vcc_lo, s9, v50, vcc_lo
	v_add_co_u32 v51, vcc_lo, s10, v51
	v_add_co_ci_u32_e32 v52, vcc_lo, s11, v52, vcc_lo
	global_load_b64 v[49:50], v[49:50], off
	v_dual_fmac_f32 v3, v31, v35 :: v_dual_add_nc_u32 v6, -10, v4
	global_load_b64 v[51:52], v[51:52], off
	v_fma_f32 v17, -v30, v34, v18
	v_fma_f32 v8, -v21, v34, v19
	v_lshlrev_b64 v[53:54], 3, v[6:7]
	v_add_nc_u32_e32 v6, -3, v4
	v_fma_f32 v3, -v32, v36, v3
	s_delay_alu instid0(VALU_DEP_3) | instskip(NEXT) | instid1(VALU_DEP_4)
	v_add_co_u32 v53, vcc_lo, s8, v53
	v_add_co_ci_u32_e32 v54, vcc_lo, s9, v54, vcc_lo
	global_load_b64 v[53:54], v[53:54], off
	s_waitcnt vmcnt(8)
	v_fmac_f32_e32 v15, v38, v35
	v_lshlrev_b64 v[55:56], 3, v[6:7]
	v_add_nc_u32_e32 v6, -16, v4
	s_delay_alu instid0(VALU_DEP_3) | instskip(SKIP_2) | instid1(VALU_DEP_3)
	v_fmac_f32_e32 v15, v37, v36
	s_waitcnt vmcnt(7)
	v_fmac_f32_e32 v17, v39, v35
	v_lshlrev_b64 v[57:58], 3, v[6:7]
	v_add_nc_u32_e32 v6, 4, v23
	v_add_co_u32 v55, vcc_lo, s8, v55
	v_add_co_ci_u32_e32 v56, vcc_lo, s9, v56, vcc_lo
	s_delay_alu instid0(VALU_DEP_3)
	v_lshlrev_b64 v[59:60], 3, v[6:7]
	v_add_nc_u32_e32 v6, -9, v4
	v_add_co_u32 v57, vcc_lo, s8, v57
	v_add_co_ci_u32_e32 v58, vcc_lo, s9, v58, vcc_lo
	s_waitcnt vmcnt(5)
	v_fmac_f32_e32 v3, v41, v43
	v_lshlrev_b64 v[61:62], 3, v[6:7]
	v_dual_fmac_f32 v13, v42, v43 :: v_dual_add_nc_u32 v6, -2, v4
	v_add_co_u32 v59, vcc_lo, s10, v59
	v_add_co_ci_u32_e32 v60, vcc_lo, s11, v60, vcc_lo
	s_delay_alu instid0(VALU_DEP_3)
	v_lshlrev_b64 v[63:64], 3, v[6:7]
	v_add_nc_u32_e32 v6, -15, v4
	v_add_co_u32 v61, vcc_lo, s8, v61
	v_add_co_ci_u32_e32 v62, vcc_lo, s9, v62, vcc_lo
	s_waitcnt vmcnt(4)
	v_fmac_f32_e32 v15, v46, v43
	v_lshlrev_b64 v[65:66], 3, v[6:7]
	v_dual_fmac_f32 v13, v41, v44 :: v_dual_add_nc_u32 v6, 5, v23
	v_fma_f32 v17, -v40, v36, v17
	v_add_co_u32 v63, vcc_lo, s8, v63
	s_delay_alu instid0(VALU_DEP_3) | instskip(SKIP_1) | instid1(VALU_DEP_3)
	v_lshlrev_b64 v[67:68], 3, v[6:7]
	s_waitcnt vmcnt(3)
	v_dual_fmac_f32 v17, v47, v43 :: v_dual_add_nc_u32 v6, -8, v4
	s_clause 0x1
	global_load_b64 v[55:56], v[55:56], off
	global_load_b64 v[57:58], v[57:58], off
	;; [unrolled: 1-line block ×4, first 2 shown]
	v_add_co_ci_u32_e32 v64, vcc_lo, s9, v64, vcc_lo
	v_add_co_u32 v65, vcc_lo, s8, v65
	v_lshlrev_b64 v[69:70], 3, v[6:7]
	global_load_b64 v[63:64], v[63:64], off
	v_add_co_ci_u32_e32 v66, vcc_lo, s9, v66, vcc_lo
	v_add_co_u32 v67, vcc_lo, s10, v67
	v_fma_f32 v3, -v42, v44, v3
	global_load_b64 v[65:66], v[65:66], off
	v_add_nc_u32_e32 v6, -1, v4
	v_add_co_ci_u32_e32 v68, vcc_lo, s11, v68, vcc_lo
	s_waitcnt vmcnt(7)
	v_fmac_f32_e32 v3, v49, v51
	v_add_co_u32 v69, vcc_lo, s8, v69
	v_lshlrev_b64 v[71:72], 3, v[6:7]
	v_dual_fmac_f32 v13, v50, v51 :: v_dual_add_nc_u32 v6, -14, v4
	v_add_co_ci_u32_e32 v70, vcc_lo, s9, v70, vcc_lo
	global_load_b64 v[67:68], v[67:68], off
	v_lshlrev_b64 v[73:74], 3, v[6:7]
	v_dual_fmac_f32 v15, v45, v44 :: v_dual_add_nc_u32 v6, 6, v23
	global_load_b64 v[22:23], v[69:70], off
	v_add_co_u32 v69, vcc_lo, s8, v71
	v_add_co_ci_u32_e32 v70, vcc_lo, s9, v72, vcc_lo
	v_lshlrev_b64 v[71:72], 3, v[6:7]
	s_waitcnt vmcnt(8)
	v_dual_fmac_f32 v15, v54, v51 :: v_dual_add_nc_u32 v6, -7, v4
	v_add_co_u32 v73, vcc_lo, s8, v73
	global_load_b64 v[69:70], v[69:70], off
	v_lshlrev_b64 v[5:6], 3, v[6:7]
	v_add_co_ci_u32_e32 v74, vcc_lo, s9, v74, vcc_lo
	v_add_co_u32 v71, vcc_lo, s10, v71
	v_add_co_ci_u32_e32 v72, vcc_lo, s11, v72, vcc_lo
	global_load_b64 v[73:74], v[73:74], off
	v_add_co_u32 v5, vcc_lo, s8, v5
	v_add_co_ci_u32_e32 v6, vcc_lo, s9, v6, vcc_lo
	global_load_b64 v[71:72], v[71:72], off
	s_clause 0x1
	global_load_b64 v[5:6], v[5:6], off
	global_load_b64 v[27:28], v[27:28], off
	v_dual_fmac_f32 v14, v30, v33 :: v_dual_fmac_f32 v13, v49, v52
	v_fmac_f32_e32 v15, v53, v52
	v_fma_f32 v3, -v50, v52, v3
	v_fma_f32 v17, -v48, v44, v17
	s_delay_alu instid0(VALU_DEP_4)
	v_fmac_f32_e32 v14, v29, v34
	v_add_nc_u32_e32 v4, 0x54, v4
	v_cmp_ge_i32_e32 vcc_lo, v2, v16
	s_or_b32 s2, vcc_lo, s2
	s_waitcnt vmcnt(12)
	v_fmac_f32_e32 v17, v55, v51
	s_waitcnt vmcnt(10)
	v_fmac_f32_e32 v13, v58, v59
	;; [unrolled: 2-line block ×3, first 2 shown]
	v_fmac_f32_e32 v14, v40, v35
	v_fmac_f32_e32 v3, v57, v59
	v_fma_f32 v17, -v56, v52, v17
	v_fmac_f32_e32 v13, v57, v60
	v_fmac_f32_e32 v15, v61, v60
	;; [unrolled: 1-line block ×3, first 2 shown]
	v_fma_f32 v3, -v58, v60, v3
	s_waitcnt vmcnt(8)
	v_fmac_f32_e32 v17, v63, v59
	s_delay_alu instid0(VALU_DEP_3) | instskip(NEXT) | instid1(VALU_DEP_2)
	v_fmac_f32_e32 v14, v48, v43
	v_fma_f32 v17, -v64, v60, v17
	s_waitcnt vmcnt(6)
	s_delay_alu instid0(VALU_DEP_2) | instskip(SKIP_1) | instid1(VALU_DEP_2)
	v_dual_fmac_f32 v14, v47, v44 :: v_dual_fmac_f32 v3, v65, v67
	v_fmac_f32_e32 v13, v66, v67
	v_fmac_f32_e32 v14, v56, v51
	s_waitcnt vmcnt(5)
	v_fmac_f32_e32 v15, v23, v67
	v_fmac_f32_e32 v8, v37, v35
	;; [unrolled: 1-line block ×4, first 2 shown]
	v_fma_f32 v3, -v66, v68, v3
	v_fmac_f32_e32 v15, v22, v68
	v_fma_f32 v8, -v38, v36, v8
	s_waitcnt vmcnt(4)
	v_fmac_f32_e32 v17, v69, v67
	s_delay_alu instid0(VALU_DEP_2) | instskip(SKIP_1) | instid1(VALU_DEP_3)
	v_fmac_f32_e32 v8, v45, v43
	v_fmac_f32_e32 v14, v64, v59
	v_fma_f32 v18, -v70, v68, v17
	s_delay_alu instid0(VALU_DEP_3) | instskip(NEXT) | instid1(VALU_DEP_3)
	v_fma_f32 v8, -v46, v44, v8
	v_fmac_f32_e32 v14, v63, v60
	s_delay_alu instid0(VALU_DEP_2)
	v_fmac_f32_e32 v8, v53, v51
	s_waitcnt vmcnt(2)
	v_fmac_f32_e32 v3, v73, v71
	v_fmac_f32_e32 v13, v74, v71
	s_waitcnt vmcnt(1)
	v_fmac_f32_e32 v15, v6, v71
	v_fma_f32 v8, -v54, v52, v8
	v_fmac_f32_e32 v14, v70, v67
	s_waitcnt vmcnt(0)
	v_dual_fmac_f32 v18, v27, v71 :: v_dual_fmac_f32 v13, v73, v72
	v_fmac_f32_e32 v15, v5, v72
	v_fmac_f32_e32 v8, v61, v59
	;; [unrolled: 1-line block ×3, first 2 shown]
	v_fma_f32 v17, -v74, v72, v3
	v_fma_f32 v18, -v28, v72, v18
	s_delay_alu instid0(VALU_DEP_4) | instskip(NEXT) | instid1(VALU_DEP_4)
	v_fma_f32 v8, -v62, v60, v8
	v_fmac_f32_e32 v14, v28, v71
	s_delay_alu instid0(VALU_DEP_2) | instskip(NEXT) | instid1(VALU_DEP_2)
	v_fmac_f32_e32 v8, v22, v67
	v_fmac_f32_e32 v14, v27, v72
	s_delay_alu instid0(VALU_DEP_2) | instskip(NEXT) | instid1(VALU_DEP_1)
	v_fma_f32 v8, -v23, v68, v8
	v_fmac_f32_e32 v8, v5, v71
	s_delay_alu instid0(VALU_DEP_1)
	v_fma_f32 v19, -v6, v72, v8
	s_and_not1_b32 exec_lo, exec_lo, s2
	s_cbranch_execnz .LBB99_21
; %bb.22:
	s_or_b32 exec_lo, exec_lo, s2
.LBB99_23:
	s_delay_alu instid0(SALU_CYCLE_1)
	s_or_b32 exec_lo, exec_lo, s3
.LBB99_24:
	v_mbcnt_lo_u32_b32 v2, -1, 0
	s_delay_alu instid0(VALU_DEP_1) | instskip(NEXT) | instid1(VALU_DEP_1)
	v_xor_b32_e32 v3, 2, v2
	v_cmp_gt_i32_e32 vcc_lo, 32, v3
	v_cndmask_b32_e32 v3, v2, v3, vcc_lo
	s_delay_alu instid0(VALU_DEP_1)
	v_lshlrev_b32_e32 v3, 2, v3
	ds_bpermute_b32 v8, v3, v15
	s_waitcnt lgkmcnt(0)
	v_add_f32_e32 v8, v15, v8
	ds_bpermute_b32 v4, v3, v17
	ds_bpermute_b32 v5, v3, v13
	;; [unrolled: 1-line block ×5, first 2 shown]
	v_xor_b32_e32 v3, 1, v2
	s_delay_alu instid0(VALU_DEP_1) | instskip(SKIP_4) | instid1(VALU_DEP_3)
	v_cmp_gt_i32_e32 vcc_lo, 32, v3
	v_cndmask_b32_e32 v2, v2, v3, vcc_lo
	v_cmp_eq_u32_e32 vcc_lo, 3, v0
	s_waitcnt lgkmcnt(3)
	v_add_f32_e32 v5, v13, v5
	v_dual_add_f32 v2, v17, v4 :: v_dual_lshlrev_b32 v21, 2, v2
	s_waitcnt lgkmcnt(0)
	v_dual_add_f32 v4, v14, v20 :: v_dual_add_f32 v7, v19, v6
	v_add_f32_e32 v3, v18, v16
	ds_bpermute_b32 v15, v21, v5
	ds_bpermute_b32 v6, v21, v2
	;; [unrolled: 1-line block ×6, first 2 shown]
	s_and_b32 exec_lo, exec_lo, vcc_lo
	s_cbranch_execz .LBB99_29
; %bb.25:
	s_load_b64 s[2:3], s[0:1], 0x38
	v_cmp_eq_f32_e32 vcc_lo, 0, v11
	v_cmp_eq_f32_e64 s0, 0, v12
	s_waitcnt lgkmcnt(0)
	v_add_f32_e32 v0, v2, v6
	v_dual_add_f32 v6, v5, v15 :: v_dual_add_f32 v3, v3, v13
	v_dual_add_f32 v2, v7, v16 :: v_dual_add_f32 v5, v8, v17
	v_add_f32_e32 v4, v4, v14
	s_and_b32 s0, vcc_lo, s0
	s_delay_alu instid0(SALU_CYCLE_1) | instskip(NEXT) | instid1(SALU_CYCLE_1)
	s_and_saveexec_b32 s1, s0
	s_xor_b32 s0, exec_lo, s1
	s_cbranch_execz .LBB99_27
; %bb.26:
	v_lshl_add_u32 v7, v1, 1, v1
	v_mul_f32_e64 v11, v6, -v10
	v_mul_f32_e32 v12, v6, v9
	v_mul_f32_e64 v13, v5, -v10
	v_mul_f32_e32 v14, v5, v9
	v_ashrrev_i32_e32 v8, 31, v7
	v_fmac_f32_e32 v11, v9, v0
	v_mul_f32_e64 v5, v4, -v10
	v_dual_mul_f32 v6, v4, v9 :: v_dual_fmac_f32 v13, v9, v2
	s_delay_alu instid0(VALU_DEP_4) | instskip(NEXT) | instid1(VALU_DEP_3)
	v_lshlrev_b64 v[7:8], 3, v[7:8]
	v_dual_fmac_f32 v12, v10, v0 :: v_dual_fmac_f32 v5, v9, v3
	v_fmac_f32_e32 v14, v10, v2
	s_delay_alu instid0(VALU_DEP_4) | instskip(NEXT) | instid1(VALU_DEP_4)
	v_fmac_f32_e32 v6, v10, v3
                                        ; implicit-def: $vgpr9
                                        ; implicit-def: $vgpr10
                                        ; implicit-def: $vgpr2
                                        ; implicit-def: $vgpr3
                                        ; implicit-def: $vgpr4
	v_add_co_u32 v0, vcc_lo, s2, v7
	v_add_co_ci_u32_e32 v1, vcc_lo, s3, v8, vcc_lo
	s_clause 0x1
	global_store_b128 v[0:1], v[11:14], off
	global_store_b64 v[0:1], v[5:6], off offset:16
                                        ; implicit-def: $vgpr11
                                        ; implicit-def: $vgpr12
                                        ; implicit-def: $vgpr1
                                        ; implicit-def: $vgpr0
                                        ; implicit-def: $vgpr6
                                        ; implicit-def: $vgpr5
.LBB99_27:
	s_and_not1_saveexec_b32 s0, s0
	s_cbranch_execz .LBB99_29
; %bb.28:
	v_lshl_add_u32 v7, v1, 1, v1
	v_mul_f32_e64 v21, v5, -v10
	v_mul_f32_e64 v22, v4, -v10
	s_delay_alu instid0(VALU_DEP_3) | instskip(NEXT) | instid1(VALU_DEP_1)
	v_ashrrev_i32_e32 v8, 31, v7
	v_lshlrev_b64 v[7:8], 3, v[7:8]
	s_delay_alu instid0(VALU_DEP_1) | instskip(NEXT) | instid1(VALU_DEP_2)
	v_add_co_u32 v17, vcc_lo, s2, v7
	v_add_co_ci_u32_e32 v18, vcc_lo, s3, v8, vcc_lo
	v_mul_f32_e64 v7, v6, -v10
	v_mul_f32_e32 v6, v6, v9
	s_clause 0x1
	global_load_b128 v[13:16], v[17:18], off
	global_load_b64 v[19:20], v[17:18], off offset:16
	v_fmac_f32_e32 v7, v9, v0
	v_dual_mul_f32 v1, v4, v9 :: v_dual_fmac_f32 v6, v10, v0
	v_mul_f32_e32 v8, v5, v9
	v_fmac_f32_e32 v21, v9, v2
	s_delay_alu instid0(VALU_DEP_3) | instskip(SKIP_1) | instid1(VALU_DEP_3)
	v_fmac_f32_e32 v1, v10, v3
	s_waitcnt vmcnt(1)
	v_dual_fmac_f32 v8, v10, v2 :: v_dual_fmac_f32 v7, v11, v13
	v_fmac_f32_e32 v6, v12, v13
	s_waitcnt vmcnt(0)
	v_fmac_f32_e32 v1, v12, v19
	v_fmac_f32_e32 v21, v11, v15
	;; [unrolled: 1-line block ×3, first 2 shown]
	v_fma_f32 v5, -v12, v14, v7
	v_fmac_f32_e32 v6, v11, v14
	v_dual_fmac_f32 v22, v9, v3 :: v_dual_fmac_f32 v1, v11, v20
	v_fma_f32 v7, -v12, v16, v21
	v_fmac_f32_e32 v8, v11, v16
	s_delay_alu instid0(VALU_DEP_3) | instskip(NEXT) | instid1(VALU_DEP_1)
	v_fmac_f32_e32 v22, v11, v19
	v_fma_f32 v0, -v12, v20, v22
	s_clause 0x1
	global_store_b128 v[17:18], v[5:8], off
	global_store_b64 v[17:18], v[0:1], off offset:16
.LBB99_29:
	s_nop 0
	s_sendmsg sendmsg(MSG_DEALLOC_VGPRS)
	s_endpgm
	.section	.rodata,"a",@progbits
	.p2align	6, 0x0
	.amdhsa_kernel _ZN9rocsparseL19gebsrmvn_3xn_kernelILj128ELj7ELj4E21rocsparse_complex_numIfEEEvi20rocsparse_direction_NS_24const_host_device_scalarIT2_EEPKiS8_PKS5_SA_S6_PS5_21rocsparse_index_base_b
		.amdhsa_group_segment_fixed_size 0
		.amdhsa_private_segment_fixed_size 0
		.amdhsa_kernarg_size 72
		.amdhsa_user_sgpr_count 15
		.amdhsa_user_sgpr_dispatch_ptr 0
		.amdhsa_user_sgpr_queue_ptr 0
		.amdhsa_user_sgpr_kernarg_segment_ptr 1
		.amdhsa_user_sgpr_dispatch_id 0
		.amdhsa_user_sgpr_private_segment_size 0
		.amdhsa_wavefront_size32 1
		.amdhsa_uses_dynamic_stack 0
		.amdhsa_enable_private_segment 0
		.amdhsa_system_sgpr_workgroup_id_x 1
		.amdhsa_system_sgpr_workgroup_id_y 0
		.amdhsa_system_sgpr_workgroup_id_z 0
		.amdhsa_system_sgpr_workgroup_info 0
		.amdhsa_system_vgpr_workitem_id 0
		.amdhsa_next_free_vgpr 75
		.amdhsa_next_free_sgpr 16
		.amdhsa_reserve_vcc 1
		.amdhsa_float_round_mode_32 0
		.amdhsa_float_round_mode_16_64 0
		.amdhsa_float_denorm_mode_32 3
		.amdhsa_float_denorm_mode_16_64 3
		.amdhsa_dx10_clamp 1
		.amdhsa_ieee_mode 1
		.amdhsa_fp16_overflow 0
		.amdhsa_workgroup_processor_mode 1
		.amdhsa_memory_ordered 1
		.amdhsa_forward_progress 0
		.amdhsa_shared_vgpr_count 0
		.amdhsa_exception_fp_ieee_invalid_op 0
		.amdhsa_exception_fp_denorm_src 0
		.amdhsa_exception_fp_ieee_div_zero 0
		.amdhsa_exception_fp_ieee_overflow 0
		.amdhsa_exception_fp_ieee_underflow 0
		.amdhsa_exception_fp_ieee_inexact 0
		.amdhsa_exception_int_div_zero 0
	.end_amdhsa_kernel
	.section	.text._ZN9rocsparseL19gebsrmvn_3xn_kernelILj128ELj7ELj4E21rocsparse_complex_numIfEEEvi20rocsparse_direction_NS_24const_host_device_scalarIT2_EEPKiS8_PKS5_SA_S6_PS5_21rocsparse_index_base_b,"axG",@progbits,_ZN9rocsparseL19gebsrmvn_3xn_kernelILj128ELj7ELj4E21rocsparse_complex_numIfEEEvi20rocsparse_direction_NS_24const_host_device_scalarIT2_EEPKiS8_PKS5_SA_S6_PS5_21rocsparse_index_base_b,comdat
.Lfunc_end99:
	.size	_ZN9rocsparseL19gebsrmvn_3xn_kernelILj128ELj7ELj4E21rocsparse_complex_numIfEEEvi20rocsparse_direction_NS_24const_host_device_scalarIT2_EEPKiS8_PKS5_SA_S6_PS5_21rocsparse_index_base_b, .Lfunc_end99-_ZN9rocsparseL19gebsrmvn_3xn_kernelILj128ELj7ELj4E21rocsparse_complex_numIfEEEvi20rocsparse_direction_NS_24const_host_device_scalarIT2_EEPKiS8_PKS5_SA_S6_PS5_21rocsparse_index_base_b
                                        ; -- End function
	.section	.AMDGPU.csdata,"",@progbits
; Kernel info:
; codeLenInByte = 4496
; NumSgprs: 18
; NumVgprs: 75
; ScratchSize: 0
; MemoryBound: 0
; FloatMode: 240
; IeeeMode: 1
; LDSByteSize: 0 bytes/workgroup (compile time only)
; SGPRBlocks: 2
; VGPRBlocks: 9
; NumSGPRsForWavesPerEU: 18
; NumVGPRsForWavesPerEU: 75
; Occupancy: 16
; WaveLimiterHint : 1
; COMPUTE_PGM_RSRC2:SCRATCH_EN: 0
; COMPUTE_PGM_RSRC2:USER_SGPR: 15
; COMPUTE_PGM_RSRC2:TRAP_HANDLER: 0
; COMPUTE_PGM_RSRC2:TGID_X_EN: 1
; COMPUTE_PGM_RSRC2:TGID_Y_EN: 0
; COMPUTE_PGM_RSRC2:TGID_Z_EN: 0
; COMPUTE_PGM_RSRC2:TIDIG_COMP_CNT: 0
	.section	.text._ZN9rocsparseL19gebsrmvn_3xn_kernelILj128ELj7ELj8E21rocsparse_complex_numIfEEEvi20rocsparse_direction_NS_24const_host_device_scalarIT2_EEPKiS8_PKS5_SA_S6_PS5_21rocsparse_index_base_b,"axG",@progbits,_ZN9rocsparseL19gebsrmvn_3xn_kernelILj128ELj7ELj8E21rocsparse_complex_numIfEEEvi20rocsparse_direction_NS_24const_host_device_scalarIT2_EEPKiS8_PKS5_SA_S6_PS5_21rocsparse_index_base_b,comdat
	.globl	_ZN9rocsparseL19gebsrmvn_3xn_kernelILj128ELj7ELj8E21rocsparse_complex_numIfEEEvi20rocsparse_direction_NS_24const_host_device_scalarIT2_EEPKiS8_PKS5_SA_S6_PS5_21rocsparse_index_base_b ; -- Begin function _ZN9rocsparseL19gebsrmvn_3xn_kernelILj128ELj7ELj8E21rocsparse_complex_numIfEEEvi20rocsparse_direction_NS_24const_host_device_scalarIT2_EEPKiS8_PKS5_SA_S6_PS5_21rocsparse_index_base_b
	.p2align	8
	.type	_ZN9rocsparseL19gebsrmvn_3xn_kernelILj128ELj7ELj8E21rocsparse_complex_numIfEEEvi20rocsparse_direction_NS_24const_host_device_scalarIT2_EEPKiS8_PKS5_SA_S6_PS5_21rocsparse_index_base_b,@function
_ZN9rocsparseL19gebsrmvn_3xn_kernelILj128ELj7ELj8E21rocsparse_complex_numIfEEEvi20rocsparse_direction_NS_24const_host_device_scalarIT2_EEPKiS8_PKS5_SA_S6_PS5_21rocsparse_index_base_b: ; @_ZN9rocsparseL19gebsrmvn_3xn_kernelILj128ELj7ELj8E21rocsparse_complex_numIfEEEvi20rocsparse_direction_NS_24const_host_device_scalarIT2_EEPKiS8_PKS5_SA_S6_PS5_21rocsparse_index_base_b
; %bb.0:
	s_clause 0x2
	s_load_b64 s[12:13], s[0:1], 0x40
	s_load_b64 s[4:5], s[0:1], 0x8
	;; [unrolled: 1-line block ×3, first 2 shown]
	s_waitcnt lgkmcnt(0)
	s_bitcmp1_b32 s13, 0
	v_mov_b32_e32 v9, s4
	s_cselect_b32 s6, -1, 0
	s_delay_alu instid0(SALU_CYCLE_1)
	s_and_b32 vcc_lo, exec_lo, s6
	s_xor_b32 s6, s6, -1
	s_cbranch_vccz .LBB100_15
; %bb.1:
	v_cndmask_b32_e64 v1, 0, 1, s6
	v_mov_b32_e32 v10, s5
	s_and_not1_b32 vcc_lo, exec_lo, s6
	s_cbranch_vccz .LBB100_16
.LBB100_2:
	s_delay_alu instid0(VALU_DEP_2)
	v_cmp_ne_u32_e32 vcc_lo, 1, v1
	v_mov_b32_e32 v11, s2
	s_cbranch_vccz .LBB100_17
.LBB100_3:
	v_cmp_ne_u32_e32 vcc_lo, 1, v1
	v_mov_b32_e32 v12, s3
	s_cbranch_vccnz .LBB100_5
.LBB100_4:
	v_dual_mov_b32 v1, s2 :: v_dual_mov_b32 v2, s3
	flat_load_b32 v12, v[1:2] offset:4
.LBB100_5:
	s_waitcnt vmcnt(0) lgkmcnt(0)
	v_cmp_eq_f32_e32 vcc_lo, 0, v9
	v_cmp_eq_f32_e64 s2, 0, v10
	s_delay_alu instid0(VALU_DEP_1)
	s_and_b32 s4, vcc_lo, s2
	s_mov_b32 s2, -1
	s_and_saveexec_b32 s3, s4
; %bb.6:
	v_cmp_neq_f32_e32 vcc_lo, 1.0, v11
	v_cmp_neq_f32_e64 s2, 0, v12
	s_delay_alu instid0(VALU_DEP_1) | instskip(NEXT) | instid1(SALU_CYCLE_1)
	s_or_b32 s2, vcc_lo, s2
	s_or_not1_b32 s2, s2, exec_lo
; %bb.7:
	s_or_b32 exec_lo, exec_lo, s3
	s_and_saveexec_b32 s3, s2
	s_cbranch_execz .LBB100_29
; %bb.8:
	s_load_b64 s[2:3], s[0:1], 0x0
	v_lshrrev_b32_e32 v1, 3, v0
	s_delay_alu instid0(VALU_DEP_1) | instskip(SKIP_1) | instid1(VALU_DEP_1)
	v_lshl_or_b32 v1, s15, 4, v1
	s_waitcnt lgkmcnt(0)
	v_cmp_gt_i32_e32 vcc_lo, s2, v1
	s_and_b32 exec_lo, exec_lo, vcc_lo
	s_cbranch_execz .LBB100_29
; %bb.9:
	s_load_b256 s[4:11], s[0:1], 0x10
	v_ashrrev_i32_e32 v2, 31, v1
	v_and_b32_e32 v0, 7, v0
	s_cmp_lg_u32 s3, 0
	s_delay_alu instid0(VALU_DEP_2) | instskip(SKIP_1) | instid1(VALU_DEP_1)
	v_lshlrev_b64 v[2:3], 2, v[1:2]
	s_waitcnt lgkmcnt(0)
	v_add_co_u32 v2, vcc_lo, s4, v2
	s_delay_alu instid0(VALU_DEP_2) | instskip(SKIP_4) | instid1(VALU_DEP_2)
	v_add_co_ci_u32_e32 v3, vcc_lo, s5, v3, vcc_lo
	global_load_b64 v[2:3], v[2:3], off
	s_waitcnt vmcnt(0)
	v_subrev_nc_u32_e32 v2, s12, v2
	v_subrev_nc_u32_e32 v16, s12, v3
	v_add_nc_u32_e32 v2, v2, v0
	s_delay_alu instid0(VALU_DEP_1)
	v_cmp_lt_i32_e64 s2, v2, v16
	s_cbranch_scc0 .LBB100_18
; %bb.10:
	v_dual_mov_b32 v13, 0 :: v_dual_mov_b32 v18, 0
	v_dual_mov_b32 v17, 0 :: v_dual_mov_b32 v14, 0
	v_mov_b32_e32 v19, 0
	v_mov_b32_e32 v15, 0
	s_mov_b32 s3, 0
	s_and_saveexec_b32 s4, s2
	s_cbranch_execz .LBB100_14
; %bb.11:
	v_mad_u64_u32 v[3:4], null, v2, 21, 20
	v_dual_mov_b32 v6, 0 :: v_dual_mov_b32 v7, v2
	v_dual_mov_b32 v13, 0 :: v_dual_mov_b32 v18, 0
	;; [unrolled: 1-line block ×3, first 2 shown]
	v_mov_b32_e32 v19, 0
	v_mov_b32_e32 v15, 0
	s_mov_b32 s5, 0
.LBB100_12:                             ; =>This Inner Loop Header: Depth=1
	v_ashrrev_i32_e32 v8, 31, v7
	s_delay_alu instid0(VALU_DEP_1) | instskip(NEXT) | instid1(VALU_DEP_1)
	v_lshlrev_b64 v[4:5], 2, v[7:8]
	v_add_co_u32 v4, vcc_lo, s6, v4
	s_delay_alu instid0(VALU_DEP_2) | instskip(SKIP_3) | instid1(VALU_DEP_2)
	v_add_co_ci_u32_e32 v5, vcc_lo, s7, v5, vcc_lo
	global_load_b32 v8, v[4:5], off
	v_subrev_nc_u32_e32 v5, 20, v3
	v_mov_b32_e32 v4, v6
	v_lshlrev_b64 v[22:23], 3, v[5:6]
	v_subrev_nc_u32_e32 v5, 19, v3
	s_delay_alu instid0(VALU_DEP_3) | instskip(NEXT) | instid1(VALU_DEP_2)
	v_lshlrev_b64 v[24:25], 3, v[3:4]
	v_lshlrev_b64 v[26:27], 3, v[5:6]
	v_subrev_nc_u32_e32 v5, 18, v3
	v_add_co_u32 v22, vcc_lo, s8, v22
	v_add_co_ci_u32_e32 v23, vcc_lo, s9, v23, vcc_lo
	s_delay_alu instid0(VALU_DEP_3) | instskip(SKIP_4) | instid1(VALU_DEP_4)
	v_lshlrev_b64 v[28:29], 3, v[5:6]
	v_subrev_nc_u32_e32 v5, 17, v3
	v_add_co_u32 v24, vcc_lo, s8, v24
	v_add_co_ci_u32_e32 v25, vcc_lo, s9, v25, vcc_lo
	v_add_co_u32 v26, vcc_lo, s8, v26
	v_lshlrev_b64 v[4:5], 3, v[5:6]
	v_add_co_ci_u32_e32 v27, vcc_lo, s9, v27, vcc_lo
	v_add_co_u32 v28, vcc_lo, s8, v28
	v_add_co_ci_u32_e32 v29, vcc_lo, s9, v29, vcc_lo
	s_delay_alu instid0(VALU_DEP_4)
	v_add_co_u32 v4, vcc_lo, s8, v4
	v_add_co_ci_u32_e32 v5, vcc_lo, s9, v5, vcc_lo
	s_clause 0x3
	global_load_b64 v[22:23], v[22:23], off
	global_load_b64 v[26:27], v[26:27], off
	;; [unrolled: 1-line block ×4, first 2 shown]
	v_mov_b32_e32 v21, v6
	s_waitcnt vmcnt(4)
	v_subrev_nc_u32_e32 v4, s12, v8
	s_delay_alu instid0(VALU_DEP_1) | instskip(NEXT) | instid1(VALU_DEP_1)
	v_mul_lo_u32 v20, v4, 7
	v_lshlrev_b64 v[32:33], 3, v[20:21]
	v_add_nc_u32_e32 v5, 1, v20
	s_delay_alu instid0(VALU_DEP_1) | instskip(NEXT) | instid1(VALU_DEP_3)
	v_lshlrev_b64 v[34:35], 3, v[5:6]
	v_add_co_u32 v32, vcc_lo, s10, v32
	s_delay_alu instid0(VALU_DEP_4) | instskip(NEXT) | instid1(VALU_DEP_3)
	v_add_co_ci_u32_e32 v33, vcc_lo, s11, v33, vcc_lo
	v_add_co_u32 v34, vcc_lo, s10, v34
	global_load_b64 v[32:33], v[32:33], off
	v_add_co_ci_u32_e32 v35, vcc_lo, s11, v35, vcc_lo
	global_load_b64 v[34:35], v[34:35], off
	s_waitcnt vmcnt(1)
	v_dual_fmac_f32 v14, v29, v32 :: v_dual_add_nc_u32 v5, -16, v3
	s_delay_alu instid0(VALU_DEP_1) | instskip(SKIP_4) | instid1(VALU_DEP_4)
	v_lshlrev_b64 v[36:37], 3, v[5:6]
	v_add_nc_u32_e32 v5, -15, v3
	v_fmac_f32_e32 v17, v22, v32
	v_fmac_f32_e32 v18, v28, v32
	v_dual_fmac_f32 v14, v28, v33 :: v_dual_fmac_f32 v15, v27, v32
	v_lshlrev_b64 v[38:39], 3, v[5:6]
	v_add_co_u32 v36, vcc_lo, s8, v36
	v_add_co_ci_u32_e32 v37, vcc_lo, s9, v37, vcc_lo
	v_fma_f32 v8, -v23, v33, v17
	s_delay_alu instid0(VALU_DEP_4)
	v_add_co_u32 v38, vcc_lo, s8, v38
	v_add_co_ci_u32_e32 v39, vcc_lo, s9, v39, vcc_lo
	global_load_b64 v[36:37], v[36:37], off
	s_waitcnt vmcnt(1)
	v_dual_fmac_f32 v8, v30, v34 :: v_dual_add_nc_u32 v5, -14, v3
	global_load_b64 v[38:39], v[38:39], off
	v_fma_f32 v18, -v29, v33, v18
	v_fmac_f32_e32 v15, v26, v33
	v_lshlrev_b64 v[40:41], 3, v[5:6]
	v_fma_f32 v8, -v31, v35, v8
	s_delay_alu instid0(VALU_DEP_2) | instskip(NEXT) | instid1(VALU_DEP_3)
	v_add_co_u32 v40, vcc_lo, s8, v40
	v_add_co_ci_u32_e32 v41, vcc_lo, s9, v41, vcc_lo
	global_load_b64 v[40:41], v[40:41], off
	v_add_nc_u32_e32 v5, 2, v20
	s_waitcnt vmcnt(2)
	v_fmac_f32_e32 v15, v37, v34
	s_waitcnt vmcnt(1)
	v_fmac_f32_e32 v18, v38, v34
	v_lshlrev_b64 v[42:43], 3, v[5:6]
	v_dual_fmac_f32 v14, v39, v34 :: v_dual_add_nc_u32 v5, -13, v3
	v_fmac_f32_e32 v15, v36, v35
	s_delay_alu instid0(VALU_DEP_4) | instskip(NEXT) | instid1(VALU_DEP_4)
	v_fma_f32 v18, -v39, v35, v18
	v_add_co_u32 v42, vcc_lo, s10, v42
	v_add_co_ci_u32_e32 v43, vcc_lo, s11, v43, vcc_lo
	v_lshlrev_b64 v[44:45], 3, v[5:6]
	v_fmac_f32_e32 v14, v38, v35
	global_load_b64 v[42:43], v[42:43], off
	v_add_nc_u32_e32 v5, -12, v3
	v_add_co_u32 v44, vcc_lo, s8, v44
	v_add_co_ci_u32_e32 v45, vcc_lo, s9, v45, vcc_lo
	global_load_b64 v[44:45], v[44:45], off
	s_waitcnt vmcnt(1)
	v_fmac_f32_e32 v8, v40, v42
	v_lshlrev_b64 v[46:47], 3, v[5:6]
	s_delay_alu instid0(VALU_DEP_2) | instskip(NEXT) | instid1(VALU_DEP_2)
	v_fma_f32 v8, -v41, v43, v8
	v_add_co_u32 v46, vcc_lo, s8, v46
	s_delay_alu instid0(VALU_DEP_3) | instskip(SKIP_2) | instid1(VALU_DEP_1)
	v_add_co_ci_u32_e32 v47, vcc_lo, s9, v47, vcc_lo
	global_load_b64 v[46:47], v[46:47], off
	v_add_nc_u32_e32 v5, -11, v3
	v_lshlrev_b64 v[48:49], 3, v[5:6]
	v_add_nc_u32_e32 v5, 3, v20
	s_delay_alu instid0(VALU_DEP_1) | instskip(NEXT) | instid1(VALU_DEP_3)
	v_lshlrev_b64 v[50:51], 3, v[5:6]
	v_add_co_u32 v48, vcc_lo, s8, v48
	s_delay_alu instid0(VALU_DEP_4) | instskip(NEXT) | instid1(VALU_DEP_3)
	v_add_co_ci_u32_e32 v49, vcc_lo, s9, v49, vcc_lo
	v_add_co_u32 v50, vcc_lo, s10, v50
	s_delay_alu instid0(VALU_DEP_4)
	v_add_co_ci_u32_e32 v51, vcc_lo, s11, v51, vcc_lo
	global_load_b64 v[48:49], v[48:49], off
	v_add_nc_u32_e32 v5, -10, v3
	s_waitcnt vmcnt(2)
	v_fmac_f32_e32 v15, v45, v42
	global_load_b64 v[50:51], v[50:51], off
	s_waitcnt vmcnt(2)
	v_dual_fmac_f32 v15, v44, v43 :: v_dual_fmac_f32 v14, v47, v42
	v_lshlrev_b64 v[52:53], 3, v[5:6]
	v_dual_fmac_f32 v18, v46, v42 :: v_dual_add_nc_u32 v5, -9, v3
	s_delay_alu instid0(VALU_DEP_3) | instskip(NEXT) | instid1(VALU_DEP_3)
	v_fmac_f32_e32 v14, v46, v43
	v_add_co_u32 v52, vcc_lo, s8, v52
	s_delay_alu instid0(VALU_DEP_4) | instskip(NEXT) | instid1(VALU_DEP_4)
	v_add_co_ci_u32_e32 v53, vcc_lo, s9, v53, vcc_lo
	v_fma_f32 v18, -v47, v43, v18
	global_load_b64 v[52:53], v[52:53], off
	s_waitcnt vmcnt(1)
	v_fmac_f32_e32 v8, v48, v50
	v_lshlrev_b64 v[54:55], 3, v[5:6]
	s_delay_alu instid0(VALU_DEP_2) | instskip(NEXT) | instid1(VALU_DEP_2)
	v_fma_f32 v8, -v49, v51, v8
	v_add_co_u32 v54, vcc_lo, s8, v54
	s_delay_alu instid0(VALU_DEP_3) | instskip(SKIP_2) | instid1(VALU_DEP_1)
	v_add_co_ci_u32_e32 v55, vcc_lo, s9, v55, vcc_lo
	global_load_b64 v[54:55], v[54:55], off
	v_add_nc_u32_e32 v5, -8, v3
	v_lshlrev_b64 v[56:57], 3, v[5:6]
	v_add_nc_u32_e32 v5, 4, v20
	s_delay_alu instid0(VALU_DEP_1) | instskip(NEXT) | instid1(VALU_DEP_3)
	v_lshlrev_b64 v[58:59], 3, v[5:6]
	v_add_co_u32 v56, vcc_lo, s8, v56
	s_delay_alu instid0(VALU_DEP_4) | instskip(NEXT) | instid1(VALU_DEP_3)
	v_add_co_ci_u32_e32 v57, vcc_lo, s9, v57, vcc_lo
	v_add_co_u32 v58, vcc_lo, s10, v58
	s_delay_alu instid0(VALU_DEP_4)
	v_add_co_ci_u32_e32 v59, vcc_lo, s11, v59, vcc_lo
	global_load_b64 v[56:57], v[56:57], off
	v_add_nc_u32_e32 v5, -7, v3
	global_load_b64 v[58:59], v[58:59], off
	s_waitcnt vmcnt(3)
	v_fmac_f32_e32 v15, v53, v50
	s_waitcnt vmcnt(2)
	s_delay_alu instid0(VALU_DEP_1) | instskip(SKIP_2) | instid1(VALU_DEP_3)
	v_dual_fmac_f32 v15, v52, v51 :: v_dual_fmac_f32 v14, v55, v50
	v_lshlrev_b64 v[60:61], 3, v[5:6]
	v_dual_fmac_f32 v18, v54, v50 :: v_dual_add_nc_u32 v5, -6, v3
	v_fmac_f32_e32 v14, v54, v51
	s_delay_alu instid0(VALU_DEP_3) | instskip(NEXT) | instid1(VALU_DEP_4)
	v_add_co_u32 v60, vcc_lo, s8, v60
	v_add_co_ci_u32_e32 v61, vcc_lo, s9, v61, vcc_lo
	s_delay_alu instid0(VALU_DEP_4) | instskip(SKIP_4) | instid1(VALU_DEP_2)
	v_fma_f32 v18, -v55, v51, v18
	global_load_b64 v[60:61], v[60:61], off
	s_waitcnt vmcnt(1)
	v_fmac_f32_e32 v8, v56, v58
	v_lshlrev_b64 v[62:63], 3, v[5:6]
	v_fma_f32 v8, -v57, v59, v8
	s_delay_alu instid0(VALU_DEP_2) | instskip(NEXT) | instid1(VALU_DEP_3)
	v_add_co_u32 v62, vcc_lo, s8, v62
	v_add_co_ci_u32_e32 v63, vcc_lo, s9, v63, vcc_lo
	global_load_b64 v[62:63], v[62:63], off
	v_add_nc_u32_e32 v5, -5, v3
	s_delay_alu instid0(VALU_DEP_1) | instskip(SKIP_1) | instid1(VALU_DEP_1)
	v_lshlrev_b64 v[64:65], 3, v[5:6]
	v_add_nc_u32_e32 v5, 5, v20
	v_lshlrev_b64 v[66:67], 3, v[5:6]
	s_delay_alu instid0(VALU_DEP_3) | instskip(NEXT) | instid1(VALU_DEP_4)
	v_add_co_u32 v64, vcc_lo, s8, v64
	v_add_co_ci_u32_e32 v65, vcc_lo, s9, v65, vcc_lo
	s_delay_alu instid0(VALU_DEP_3) | instskip(NEXT) | instid1(VALU_DEP_4)
	v_add_co_u32 v66, vcc_lo, s10, v66
	v_add_co_ci_u32_e32 v67, vcc_lo, s11, v67, vcc_lo
	global_load_b64 v[64:65], v[64:65], off
	v_add_nc_u32_e32 v5, -4, v3
	global_load_b64 v[66:67], v[66:67], off
	s_waitcnt vmcnt(3)
	v_fmac_f32_e32 v15, v61, v58
	s_waitcnt vmcnt(2)
	s_delay_alu instid0(VALU_DEP_1) | instskip(SKIP_2) | instid1(VALU_DEP_3)
	v_dual_fmac_f32 v15, v60, v59 :: v_dual_fmac_f32 v14, v63, v58
	v_lshlrev_b64 v[68:69], 3, v[5:6]
	v_dual_fmac_f32 v18, v62, v58 :: v_dual_add_nc_u32 v5, -3, v3
	v_fmac_f32_e32 v14, v62, v59
	s_delay_alu instid0(VALU_DEP_3) | instskip(NEXT) | instid1(VALU_DEP_4)
	v_add_co_u32 v68, vcc_lo, s8, v68
	v_add_co_ci_u32_e32 v69, vcc_lo, s9, v69, vcc_lo
	s_delay_alu instid0(VALU_DEP_4) | instskip(SKIP_4) | instid1(VALU_DEP_3)
	v_fma_f32 v18, -v63, v59, v18
	s_waitcnt vmcnt(0)
	v_fmac_f32_e32 v8, v64, v66
	v_lshlrev_b64 v[70:71], 3, v[5:6]
	v_add_nc_u32_e32 v5, -2, v3
	v_fma_f32 v8, -v65, v67, v8
	s_delay_alu instid0(VALU_DEP_2)
	v_lshlrev_b64 v[72:73], 3, v[5:6]
	v_add_nc_u32_e32 v5, 6, v20
	global_load_b64 v[20:21], v[68:69], off
	v_add_co_u32 v68, vcc_lo, s8, v70
	v_add_co_ci_u32_e32 v69, vcc_lo, s9, v71, vcc_lo
	v_add_co_u32 v72, vcc_lo, s8, v72
	v_add_co_ci_u32_e32 v73, vcc_lo, s9, v73, vcc_lo
	global_load_b64 v[68:69], v[68:69], off
	v_lshlrev_b64 v[70:71], 3, v[5:6]
	global_load_b64 v[72:73], v[72:73], off
	v_add_nc_u32_e32 v5, -1, v3
	v_add_co_u32 v70, vcc_lo, s10, v70
	v_add_co_ci_u32_e32 v71, vcc_lo, s11, v71, vcc_lo
	s_waitcnt vmcnt(2)
	v_fmac_f32_e32 v15, v21, v66
	s_waitcnt vmcnt(1)
	s_delay_alu instid0(VALU_DEP_1) | instskip(SKIP_2) | instid1(VALU_DEP_3)
	v_dual_fmac_f32 v15, v20, v67 :: v_dual_fmac_f32 v14, v69, v66
	v_lshlrev_b64 v[4:5], 3, v[5:6]
	v_fmac_f32_e32 v18, v68, v66
	v_fmac_f32_e32 v14, v68, v67
	s_delay_alu instid0(VALU_DEP_3) | instskip(NEXT) | instid1(VALU_DEP_4)
	v_add_co_u32 v4, vcc_lo, s8, v4
	v_add_co_ci_u32_e32 v5, vcc_lo, s9, v5, vcc_lo
	global_load_b64 v[70:71], v[70:71], off
	s_clause 0x1
	global_load_b64 v[4:5], v[4:5], off
	global_load_b64 v[24:25], v[24:25], off
	v_fmac_f32_e32 v13, v23, v32
	v_fma_f32 v18, -v69, v67, v18
	v_add_nc_u32_e32 v7, 8, v7
	s_waitcnt vmcnt(2)
	v_dual_fmac_f32 v8, v72, v70 :: v_dual_add_nc_u32 v3, 0xa8, v3
	s_waitcnt vmcnt(1)
	v_fmac_f32_e32 v15, v5, v70
	s_waitcnt vmcnt(0)
	v_fmac_f32_e32 v18, v24, v70
	v_dual_fmac_f32 v14, v25, v70 :: v_dual_fmac_f32 v19, v26, v32
	v_fmac_f32_e32 v13, v22, v33
	v_cmp_ge_i32_e32 vcc_lo, v7, v16
	v_fmac_f32_e32 v15, v4, v71
	s_delay_alu instid0(VALU_DEP_4) | instskip(SKIP_4) | instid1(VALU_DEP_3)
	v_fmac_f32_e32 v14, v24, v71
	v_fma_f32 v17, -v27, v33, v19
	v_fmac_f32_e32 v13, v31, v34
	v_fma_f32 v18, -v25, v71, v18
	s_or_b32 s5, vcc_lo, s5
	v_fmac_f32_e32 v17, v36, v34
	s_delay_alu instid0(VALU_DEP_3) | instskip(NEXT) | instid1(VALU_DEP_2)
	v_fmac_f32_e32 v13, v30, v35
	v_fma_f32 v17, -v37, v35, v17
	s_delay_alu instid0(VALU_DEP_2) | instskip(NEXT) | instid1(VALU_DEP_2)
	v_fmac_f32_e32 v13, v41, v42
	v_fmac_f32_e32 v17, v44, v42
	s_delay_alu instid0(VALU_DEP_2) | instskip(NEXT) | instid1(VALU_DEP_2)
	v_fmac_f32_e32 v13, v40, v43
	v_fma_f32 v17, -v45, v43, v17
	s_delay_alu instid0(VALU_DEP_2) | instskip(NEXT) | instid1(VALU_DEP_2)
	v_fmac_f32_e32 v13, v49, v50
	v_fmac_f32_e32 v17, v52, v50
	s_delay_alu instid0(VALU_DEP_2) | instskip(NEXT) | instid1(VALU_DEP_2)
	;; [unrolled: 6-line block ×4, first 2 shown]
	v_fmac_f32_e32 v13, v64, v67
	v_fma_f32 v19, -v21, v67, v17
	s_delay_alu instid0(VALU_DEP_2) | instskip(SKIP_1) | instid1(VALU_DEP_3)
	v_fmac_f32_e32 v13, v73, v70
	v_fma_f32 v17, -v73, v71, v8
	v_fmac_f32_e32 v19, v4, v70
	s_delay_alu instid0(VALU_DEP_3) | instskip(NEXT) | instid1(VALU_DEP_2)
	v_fmac_f32_e32 v13, v72, v71
	v_fma_f32 v19, -v5, v71, v19
	s_and_not1_b32 exec_lo, exec_lo, s5
	s_cbranch_execnz .LBB100_12
; %bb.13:
	s_or_b32 exec_lo, exec_lo, s5
.LBB100_14:
	s_delay_alu instid0(SALU_CYCLE_1) | instskip(NEXT) | instid1(SALU_CYCLE_1)
	s_or_b32 exec_lo, exec_lo, s4
	s_and_not1_b32 vcc_lo, exec_lo, s3
	s_cbranch_vccz .LBB100_19
	s_branch .LBB100_24
.LBB100_15:
	v_dual_mov_b32 v1, s4 :: v_dual_mov_b32 v2, s5
	flat_load_b32 v9, v[1:2]
	v_cndmask_b32_e64 v1, 0, 1, s6
	v_mov_b32_e32 v10, s5
	s_and_not1_b32 vcc_lo, exec_lo, s6
	s_cbranch_vccnz .LBB100_2
.LBB100_16:
	v_dual_mov_b32 v2, s4 :: v_dual_mov_b32 v3, s5
	flat_load_b32 v10, v[2:3] offset:4
	v_cmp_ne_u32_e32 vcc_lo, 1, v1
	v_mov_b32_e32 v11, s2
	s_cbranch_vccnz .LBB100_3
.LBB100_17:
	v_dual_mov_b32 v2, s2 :: v_dual_mov_b32 v3, s3
	flat_load_b32 v11, v[2:3]
	v_cmp_ne_u32_e32 vcc_lo, 1, v1
	v_mov_b32_e32 v12, s3
	s_cbranch_vccz .LBB100_4
	s_branch .LBB100_5
.LBB100_18:
                                        ; implicit-def: $vgpr13
                                        ; implicit-def: $vgpr17
                                        ; implicit-def: $vgpr18
                                        ; implicit-def: $vgpr14
                                        ; implicit-def: $vgpr19
                                        ; implicit-def: $vgpr15
.LBB100_19:
	v_dual_mov_b32 v13, 0 :: v_dual_mov_b32 v18, 0
	v_dual_mov_b32 v17, 0 :: v_dual_mov_b32 v14, 0
	v_mov_b32_e32 v19, 0
	v_mov_b32_e32 v15, 0
	s_and_saveexec_b32 s3, s2
	s_cbranch_execz .LBB100_23
; %bb.20:
	v_mad_u64_u32 v[4:5], null, v2, 21, 20
	v_dual_mov_b32 v7, 0 :: v_dual_mov_b32 v18, 0
	v_dual_mov_b32 v13, 0 :: v_dual_mov_b32 v14, 0
	v_mov_b32_e32 v17, 0
	v_mov_b32_e32 v19, 0
	;; [unrolled: 1-line block ×3, first 2 shown]
	s_mov_b32 s2, 0
.LBB100_21:                             ; =>This Inner Loop Header: Depth=1
	v_ashrrev_i32_e32 v3, 31, v2
	v_dual_mov_b32 v21, v7 :: v_dual_add_nc_u32 v20, -13, v4
	v_dual_mov_b32 v23, v7 :: v_dual_add_nc_u32 v22, -6, v4
	s_delay_alu instid0(VALU_DEP_3) | instskip(NEXT) | instid1(VALU_DEP_3)
	v_lshlrev_b64 v[5:6], 2, v[2:3]
	v_lshlrev_b64 v[20:21], 3, v[20:21]
	s_delay_alu instid0(VALU_DEP_3) | instskip(NEXT) | instid1(VALU_DEP_3)
	v_lshlrev_b64 v[22:23], 3, v[22:23]
	v_add_co_u32 v5, vcc_lo, s6, v5
	s_delay_alu instid0(VALU_DEP_4) | instskip(SKIP_3) | instid1(VALU_DEP_2)
	v_add_co_ci_u32_e32 v6, vcc_lo, s7, v6, vcc_lo
	global_load_b32 v3, v[5:6], off
	v_subrev_nc_u32_e32 v6, 20, v4
	v_mov_b32_e32 v5, v7
	v_lshlrev_b64 v[25:26], 3, v[6:7]
	v_subrev_nc_u32_e32 v6, 19, v4
	s_delay_alu instid0(VALU_DEP_3) | instskip(NEXT) | instid1(VALU_DEP_2)
	v_lshlrev_b64 v[27:28], 3, v[4:5]
	v_lshlrev_b64 v[5:6], 3, v[6:7]
	s_delay_alu instid0(VALU_DEP_4)
	v_add_co_u32 v25, vcc_lo, s8, v25
	v_add_co_ci_u32_e32 v26, vcc_lo, s9, v26, vcc_lo
	v_add_co_u32 v20, vcc_lo, s8, v20
	v_add_co_ci_u32_e32 v21, vcc_lo, s9, v21, vcc_lo
	;; [unrolled: 2-line block ×5, first 2 shown]
	s_clause 0x3
	global_load_b64 v[25:26], v[25:26], off
	global_load_b64 v[20:21], v[20:21], off
	;; [unrolled: 1-line block ×4, first 2 shown]
	v_mov_b32_e32 v24, v7
	s_waitcnt vmcnt(4)
	v_subrev_nc_u32_e32 v3, s12, v3
	s_delay_alu instid0(VALU_DEP_1) | instskip(NEXT) | instid1(VALU_DEP_1)
	v_mul_lo_u32 v23, v3, 7
	v_lshlrev_b64 v[33:34], 3, v[23:24]
	v_add_nc_u32_e32 v6, 1, v23
	s_delay_alu instid0(VALU_DEP_1) | instskip(NEXT) | instid1(VALU_DEP_3)
	v_lshlrev_b64 v[35:36], 3, v[6:7]
	v_add_co_u32 v33, vcc_lo, s10, v33
	s_delay_alu instid0(VALU_DEP_4) | instskip(NEXT) | instid1(VALU_DEP_3)
	v_add_co_ci_u32_e32 v34, vcc_lo, s11, v34, vcc_lo
	v_add_co_u32 v35, vcc_lo, s10, v35
	global_load_b64 v[33:34], v[33:34], off
	v_add_co_ci_u32_e32 v36, vcc_lo, s11, v36, vcc_lo
	global_load_b64 v[35:36], v[35:36], off
	s_waitcnt vmcnt(1)
	v_dual_fmac_f32 v13, v26, v33 :: v_dual_add_nc_u32 v6, -12, v4
	s_delay_alu instid0(VALU_DEP_1) | instskip(SKIP_4) | instid1(VALU_DEP_4)
	v_lshlrev_b64 v[37:38], 3, v[6:7]
	v_dual_fmac_f32 v19, v20, v33 :: v_dual_add_nc_u32 v6, -5, v4
	v_fmac_f32_e32 v17, v25, v33
	v_fmac_f32_e32 v18, v29, v33
	;; [unrolled: 1-line block ×3, first 2 shown]
	v_lshlrev_b64 v[39:40], 3, v[6:7]
	v_subrev_nc_u32_e32 v6, 18, v4
	v_add_co_u32 v37, vcc_lo, s8, v37
	v_add_co_ci_u32_e32 v38, vcc_lo, s9, v38, vcc_lo
	s_delay_alu instid0(VALU_DEP_3)
	v_lshlrev_b64 v[41:42], 3, v[6:7]
	v_add_nc_u32_e32 v6, 2, v23
	v_add_co_u32 v39, vcc_lo, s8, v39
	global_load_b64 v[37:38], v[37:38], off
	v_add_co_ci_u32_e32 v40, vcc_lo, s9, v40, vcc_lo
	v_lshlrev_b64 v[43:44], 3, v[6:7]
	v_add_co_u32 v41, vcc_lo, s8, v41
	global_load_b64 v[39:40], v[39:40], off
	v_dual_fmac_f32 v13, v25, v34 :: v_dual_add_nc_u32 v6, -11, v4
	v_add_co_ci_u32_e32 v42, vcc_lo, s9, v42, vcc_lo
	v_add_co_u32 v43, vcc_lo, s10, v43
	v_add_co_ci_u32_e32 v44, vcc_lo, s11, v44, vcc_lo
	s_delay_alu instid0(VALU_DEP_4)
	v_lshlrev_b64 v[45:46], 3, v[6:7]
	v_dual_fmac_f32 v15, v20, v34 :: v_dual_add_nc_u32 v6, -4, v4
	global_load_b64 v[41:42], v[41:42], off
	global_load_b64 v[43:44], v[43:44], off
	s_waitcnt vmcnt(4)
	v_dual_fmac_f32 v13, v32, v35 :: v_dual_add_nc_u32 v2, 8, v2
	v_add_co_u32 v45, vcc_lo, s8, v45
	v_lshlrev_b64 v[47:48], 3, v[6:7]
	v_subrev_nc_u32_e32 v6, 17, v4
	v_add_co_ci_u32_e32 v46, vcc_lo, s9, v46, vcc_lo
	v_fmac_f32_e32 v13, v31, v36
	v_fma_f32 v3, -v26, v34, v17
	s_delay_alu instid0(VALU_DEP_4)
	v_lshlrev_b64 v[49:50], 3, v[6:7]
	v_add_nc_u32_e32 v6, 3, v23
	global_load_b64 v[45:46], v[45:46], off
	v_add_co_u32 v47, vcc_lo, s8, v47
	v_add_co_ci_u32_e32 v48, vcc_lo, s9, v48, vcc_lo
	v_lshlrev_b64 v[51:52], 3, v[6:7]
	v_add_co_u32 v49, vcc_lo, s8, v49
	global_load_b64 v[47:48], v[47:48], off
	v_add_co_ci_u32_e32 v50, vcc_lo, s9, v50, vcc_lo
	v_add_co_u32 v51, vcc_lo, s10, v51
	v_add_co_ci_u32_e32 v52, vcc_lo, s11, v52, vcc_lo
	global_load_b64 v[49:50], v[49:50], off
	v_dual_fmac_f32 v3, v31, v35 :: v_dual_add_nc_u32 v6, -10, v4
	global_load_b64 v[51:52], v[51:52], off
	v_fma_f32 v17, -v30, v34, v18
	v_fma_f32 v8, -v21, v34, v19
	v_lshlrev_b64 v[53:54], 3, v[6:7]
	v_add_nc_u32_e32 v6, -3, v4
	v_fma_f32 v3, -v32, v36, v3
	s_delay_alu instid0(VALU_DEP_3) | instskip(NEXT) | instid1(VALU_DEP_4)
	v_add_co_u32 v53, vcc_lo, s8, v53
	v_add_co_ci_u32_e32 v54, vcc_lo, s9, v54, vcc_lo
	global_load_b64 v[53:54], v[53:54], off
	s_waitcnt vmcnt(8)
	v_fmac_f32_e32 v15, v38, v35
	v_lshlrev_b64 v[55:56], 3, v[6:7]
	v_add_nc_u32_e32 v6, -16, v4
	s_delay_alu instid0(VALU_DEP_3) | instskip(SKIP_2) | instid1(VALU_DEP_3)
	v_fmac_f32_e32 v15, v37, v36
	s_waitcnt vmcnt(7)
	v_fmac_f32_e32 v17, v39, v35
	v_lshlrev_b64 v[57:58], 3, v[6:7]
	v_add_nc_u32_e32 v6, 4, v23
	v_add_co_u32 v55, vcc_lo, s8, v55
	v_add_co_ci_u32_e32 v56, vcc_lo, s9, v56, vcc_lo
	s_delay_alu instid0(VALU_DEP_3)
	v_lshlrev_b64 v[59:60], 3, v[6:7]
	v_add_nc_u32_e32 v6, -9, v4
	v_add_co_u32 v57, vcc_lo, s8, v57
	v_add_co_ci_u32_e32 v58, vcc_lo, s9, v58, vcc_lo
	s_waitcnt vmcnt(5)
	v_fmac_f32_e32 v3, v41, v43
	v_lshlrev_b64 v[61:62], 3, v[6:7]
	v_dual_fmac_f32 v13, v42, v43 :: v_dual_add_nc_u32 v6, -2, v4
	v_add_co_u32 v59, vcc_lo, s10, v59
	v_add_co_ci_u32_e32 v60, vcc_lo, s11, v60, vcc_lo
	s_delay_alu instid0(VALU_DEP_3)
	v_lshlrev_b64 v[63:64], 3, v[6:7]
	v_add_nc_u32_e32 v6, -15, v4
	v_add_co_u32 v61, vcc_lo, s8, v61
	v_add_co_ci_u32_e32 v62, vcc_lo, s9, v62, vcc_lo
	s_waitcnt vmcnt(4)
	v_fmac_f32_e32 v15, v46, v43
	v_lshlrev_b64 v[65:66], 3, v[6:7]
	v_dual_fmac_f32 v13, v41, v44 :: v_dual_add_nc_u32 v6, 5, v23
	v_fma_f32 v17, -v40, v36, v17
	v_add_co_u32 v63, vcc_lo, s8, v63
	s_delay_alu instid0(VALU_DEP_3) | instskip(SKIP_1) | instid1(VALU_DEP_3)
	v_lshlrev_b64 v[67:68], 3, v[6:7]
	s_waitcnt vmcnt(3)
	v_dual_fmac_f32 v17, v47, v43 :: v_dual_add_nc_u32 v6, -8, v4
	s_clause 0x1
	global_load_b64 v[55:56], v[55:56], off
	global_load_b64 v[57:58], v[57:58], off
	;; [unrolled: 1-line block ×4, first 2 shown]
	v_add_co_ci_u32_e32 v64, vcc_lo, s9, v64, vcc_lo
	v_add_co_u32 v65, vcc_lo, s8, v65
	v_lshlrev_b64 v[69:70], 3, v[6:7]
	global_load_b64 v[63:64], v[63:64], off
	v_add_co_ci_u32_e32 v66, vcc_lo, s9, v66, vcc_lo
	v_add_co_u32 v67, vcc_lo, s10, v67
	v_fma_f32 v3, -v42, v44, v3
	global_load_b64 v[65:66], v[65:66], off
	v_add_nc_u32_e32 v6, -1, v4
	v_add_co_ci_u32_e32 v68, vcc_lo, s11, v68, vcc_lo
	s_waitcnt vmcnt(7)
	v_fmac_f32_e32 v3, v49, v51
	v_add_co_u32 v69, vcc_lo, s8, v69
	v_lshlrev_b64 v[71:72], 3, v[6:7]
	v_dual_fmac_f32 v13, v50, v51 :: v_dual_add_nc_u32 v6, -14, v4
	v_add_co_ci_u32_e32 v70, vcc_lo, s9, v70, vcc_lo
	global_load_b64 v[67:68], v[67:68], off
	v_lshlrev_b64 v[73:74], 3, v[6:7]
	v_dual_fmac_f32 v15, v45, v44 :: v_dual_add_nc_u32 v6, 6, v23
	global_load_b64 v[22:23], v[69:70], off
	v_add_co_u32 v69, vcc_lo, s8, v71
	v_add_co_ci_u32_e32 v70, vcc_lo, s9, v72, vcc_lo
	v_lshlrev_b64 v[71:72], 3, v[6:7]
	s_waitcnt vmcnt(8)
	v_dual_fmac_f32 v15, v54, v51 :: v_dual_add_nc_u32 v6, -7, v4
	v_add_co_u32 v73, vcc_lo, s8, v73
	global_load_b64 v[69:70], v[69:70], off
	v_lshlrev_b64 v[5:6], 3, v[6:7]
	v_add_co_ci_u32_e32 v74, vcc_lo, s9, v74, vcc_lo
	v_add_co_u32 v71, vcc_lo, s10, v71
	v_add_co_ci_u32_e32 v72, vcc_lo, s11, v72, vcc_lo
	global_load_b64 v[73:74], v[73:74], off
	v_add_co_u32 v5, vcc_lo, s8, v5
	v_add_co_ci_u32_e32 v6, vcc_lo, s9, v6, vcc_lo
	global_load_b64 v[71:72], v[71:72], off
	s_clause 0x1
	global_load_b64 v[5:6], v[5:6], off
	global_load_b64 v[27:28], v[27:28], off
	v_dual_fmac_f32 v14, v30, v33 :: v_dual_fmac_f32 v13, v49, v52
	v_fmac_f32_e32 v15, v53, v52
	v_fma_f32 v3, -v50, v52, v3
	v_fma_f32 v17, -v48, v44, v17
	s_delay_alu instid0(VALU_DEP_4)
	v_fmac_f32_e32 v14, v29, v34
	v_add_nc_u32_e32 v4, 0xa8, v4
	v_cmp_ge_i32_e32 vcc_lo, v2, v16
	s_or_b32 s2, vcc_lo, s2
	s_waitcnt vmcnt(12)
	v_fmac_f32_e32 v17, v55, v51
	s_waitcnt vmcnt(10)
	v_fmac_f32_e32 v13, v58, v59
	;; [unrolled: 2-line block ×3, first 2 shown]
	v_fmac_f32_e32 v14, v40, v35
	v_fmac_f32_e32 v3, v57, v59
	v_fma_f32 v17, -v56, v52, v17
	v_fmac_f32_e32 v13, v57, v60
	v_fmac_f32_e32 v15, v61, v60
	v_fmac_f32_e32 v14, v39, v36
	v_fma_f32 v3, -v58, v60, v3
	s_waitcnt vmcnt(8)
	v_fmac_f32_e32 v17, v63, v59
	s_delay_alu instid0(VALU_DEP_3) | instskip(NEXT) | instid1(VALU_DEP_2)
	v_fmac_f32_e32 v14, v48, v43
	v_fma_f32 v17, -v64, v60, v17
	s_waitcnt vmcnt(6)
	s_delay_alu instid0(VALU_DEP_2) | instskip(SKIP_1) | instid1(VALU_DEP_2)
	v_dual_fmac_f32 v14, v47, v44 :: v_dual_fmac_f32 v3, v65, v67
	v_fmac_f32_e32 v13, v66, v67
	v_fmac_f32_e32 v14, v56, v51
	s_waitcnt vmcnt(5)
	v_fmac_f32_e32 v15, v23, v67
	v_fmac_f32_e32 v8, v37, v35
	;; [unrolled: 1-line block ×4, first 2 shown]
	v_fma_f32 v3, -v66, v68, v3
	v_fmac_f32_e32 v15, v22, v68
	v_fma_f32 v8, -v38, v36, v8
	s_waitcnt vmcnt(4)
	v_fmac_f32_e32 v17, v69, v67
	s_delay_alu instid0(VALU_DEP_2) | instskip(SKIP_1) | instid1(VALU_DEP_3)
	v_fmac_f32_e32 v8, v45, v43
	v_fmac_f32_e32 v14, v64, v59
	v_fma_f32 v18, -v70, v68, v17
	s_delay_alu instid0(VALU_DEP_3) | instskip(NEXT) | instid1(VALU_DEP_3)
	v_fma_f32 v8, -v46, v44, v8
	v_fmac_f32_e32 v14, v63, v60
	s_delay_alu instid0(VALU_DEP_2)
	v_fmac_f32_e32 v8, v53, v51
	s_waitcnt vmcnt(2)
	v_fmac_f32_e32 v3, v73, v71
	v_fmac_f32_e32 v13, v74, v71
	s_waitcnt vmcnt(1)
	v_fmac_f32_e32 v15, v6, v71
	v_fma_f32 v8, -v54, v52, v8
	v_fmac_f32_e32 v14, v70, v67
	s_waitcnt vmcnt(0)
	v_dual_fmac_f32 v18, v27, v71 :: v_dual_fmac_f32 v13, v73, v72
	v_fmac_f32_e32 v15, v5, v72
	v_fmac_f32_e32 v8, v61, v59
	;; [unrolled: 1-line block ×3, first 2 shown]
	v_fma_f32 v17, -v74, v72, v3
	v_fma_f32 v18, -v28, v72, v18
	s_delay_alu instid0(VALU_DEP_4) | instskip(NEXT) | instid1(VALU_DEP_4)
	v_fma_f32 v8, -v62, v60, v8
	v_fmac_f32_e32 v14, v28, v71
	s_delay_alu instid0(VALU_DEP_2) | instskip(NEXT) | instid1(VALU_DEP_2)
	v_fmac_f32_e32 v8, v22, v67
	v_fmac_f32_e32 v14, v27, v72
	s_delay_alu instid0(VALU_DEP_2) | instskip(NEXT) | instid1(VALU_DEP_1)
	v_fma_f32 v8, -v23, v68, v8
	v_fmac_f32_e32 v8, v5, v71
	s_delay_alu instid0(VALU_DEP_1)
	v_fma_f32 v19, -v6, v72, v8
	s_and_not1_b32 exec_lo, exec_lo, s2
	s_cbranch_execnz .LBB100_21
; %bb.22:
	s_or_b32 exec_lo, exec_lo, s2
.LBB100_23:
	s_delay_alu instid0(SALU_CYCLE_1)
	s_or_b32 exec_lo, exec_lo, s3
.LBB100_24:
	v_mbcnt_lo_u32_b32 v2, -1, 0
	s_delay_alu instid0(VALU_DEP_1) | instskip(SKIP_1) | instid1(VALU_DEP_2)
	v_xor_b32_e32 v3, 4, v2
	v_xor_b32_e32 v16, 2, v2
	v_cmp_gt_i32_e32 vcc_lo, 32, v3
	v_cndmask_b32_e32 v3, v2, v3, vcc_lo
	s_delay_alu instid0(VALU_DEP_3) | instskip(SKIP_1) | instid1(VALU_DEP_1)
	v_cmp_gt_i32_e32 vcc_lo, 32, v16
	v_cndmask_b32_e32 v16, v2, v16, vcc_lo
	v_lshlrev_b32_e32 v16, 2, v16
	s_delay_alu instid0(VALU_DEP_4)
	v_lshlrev_b32_e32 v3, 2, v3
	ds_bpermute_b32 v4, v3, v17
	s_waitcnt lgkmcnt(0)
	v_add_f32_e32 v4, v17, v4
	ds_bpermute_b32 v6, v3, v19
	ds_bpermute_b32 v5, v3, v13
	;; [unrolled: 1-line block ×5, first 2 shown]
	s_waitcnt lgkmcnt(4)
	v_add_f32_e32 v6, v19, v6
	v_xor_b32_e32 v19, 1, v2
	s_waitcnt lgkmcnt(3)
	v_add_f32_e32 v5, v13, v5
	s_delay_alu instid0(VALU_DEP_2)
	v_cmp_gt_i32_e32 vcc_lo, 32, v19
	v_cndmask_b32_e32 v2, v2, v19, vcc_lo
	s_waitcnt lgkmcnt(0)
	v_add_f32_e32 v14, v14, v3
	ds_bpermute_b32 v3, v16, v4
	v_cmp_eq_u32_e32 vcc_lo, 7, v0
	v_lshlrev_b32_e32 v19, 2, v2
	v_add_f32_e32 v13, v15, v7
	v_add_f32_e32 v15, v18, v8
	ds_bpermute_b32 v7, v16, v5
	ds_bpermute_b32 v8, v16, v6
	;; [unrolled: 1-line block ×5, first 2 shown]
	s_waitcnt lgkmcnt(5)
	v_add_f32_e32 v2, v4, v3
	s_waitcnt lgkmcnt(4)
	v_add_f32_e32 v5, v5, v7
	;; [unrolled: 2-line block ×3, first 2 shown]
	ds_bpermute_b32 v6, v19, v2
	s_waitcnt lgkmcnt(1)
	v_dual_add_f32 v3, v15, v18 :: v_dual_add_f32 v4, v14, v16
	v_add_f32_e32 v8, v13, v17
	ds_bpermute_b32 v15, v19, v5
	ds_bpermute_b32 v16, v19, v7
	;; [unrolled: 1-line block ×5, first 2 shown]
	s_and_b32 exec_lo, exec_lo, vcc_lo
	s_cbranch_execz .LBB100_29
; %bb.25:
	s_load_b64 s[2:3], s[0:1], 0x38
	v_cmp_eq_f32_e32 vcc_lo, 0, v11
	v_cmp_eq_f32_e64 s0, 0, v12
	s_waitcnt lgkmcnt(0)
	v_add_f32_e32 v0, v2, v6
	v_dual_add_f32 v6, v5, v15 :: v_dual_add_f32 v3, v3, v13
	v_dual_add_f32 v2, v7, v16 :: v_dual_add_f32 v5, v8, v17
	v_add_f32_e32 v4, v4, v14
	s_and_b32 s0, vcc_lo, s0
	s_delay_alu instid0(SALU_CYCLE_1) | instskip(NEXT) | instid1(SALU_CYCLE_1)
	s_and_saveexec_b32 s1, s0
	s_xor_b32 s0, exec_lo, s1
	s_cbranch_execz .LBB100_27
; %bb.26:
	v_lshl_add_u32 v7, v1, 1, v1
	v_mul_f32_e64 v11, v6, -v10
	v_mul_f32_e32 v12, v6, v9
	v_mul_f32_e64 v13, v5, -v10
	v_mul_f32_e32 v14, v5, v9
	v_ashrrev_i32_e32 v8, 31, v7
	v_fmac_f32_e32 v11, v9, v0
	v_mul_f32_e64 v5, v4, -v10
	v_dual_mul_f32 v6, v4, v9 :: v_dual_fmac_f32 v13, v9, v2
	s_delay_alu instid0(VALU_DEP_4) | instskip(NEXT) | instid1(VALU_DEP_3)
	v_lshlrev_b64 v[7:8], 3, v[7:8]
	v_dual_fmac_f32 v12, v10, v0 :: v_dual_fmac_f32 v5, v9, v3
	v_fmac_f32_e32 v14, v10, v2
	s_delay_alu instid0(VALU_DEP_4) | instskip(NEXT) | instid1(VALU_DEP_4)
	v_fmac_f32_e32 v6, v10, v3
                                        ; implicit-def: $vgpr9
                                        ; implicit-def: $vgpr10
                                        ; implicit-def: $vgpr2
                                        ; implicit-def: $vgpr3
                                        ; implicit-def: $vgpr4
	v_add_co_u32 v0, vcc_lo, s2, v7
	v_add_co_ci_u32_e32 v1, vcc_lo, s3, v8, vcc_lo
	s_clause 0x1
	global_store_b128 v[0:1], v[11:14], off
	global_store_b64 v[0:1], v[5:6], off offset:16
                                        ; implicit-def: $vgpr11
                                        ; implicit-def: $vgpr12
                                        ; implicit-def: $vgpr1
                                        ; implicit-def: $vgpr0
                                        ; implicit-def: $vgpr6
                                        ; implicit-def: $vgpr5
.LBB100_27:
	s_and_not1_saveexec_b32 s0, s0
	s_cbranch_execz .LBB100_29
; %bb.28:
	v_lshl_add_u32 v7, v1, 1, v1
	v_mul_f32_e64 v21, v5, -v10
	v_mul_f32_e64 v22, v4, -v10
	s_delay_alu instid0(VALU_DEP_3) | instskip(NEXT) | instid1(VALU_DEP_1)
	v_ashrrev_i32_e32 v8, 31, v7
	v_lshlrev_b64 v[7:8], 3, v[7:8]
	s_delay_alu instid0(VALU_DEP_1) | instskip(NEXT) | instid1(VALU_DEP_2)
	v_add_co_u32 v17, vcc_lo, s2, v7
	v_add_co_ci_u32_e32 v18, vcc_lo, s3, v8, vcc_lo
	v_mul_f32_e64 v7, v6, -v10
	v_mul_f32_e32 v6, v6, v9
	s_clause 0x1
	global_load_b128 v[13:16], v[17:18], off
	global_load_b64 v[19:20], v[17:18], off offset:16
	v_fmac_f32_e32 v7, v9, v0
	v_dual_mul_f32 v1, v4, v9 :: v_dual_fmac_f32 v6, v10, v0
	v_mul_f32_e32 v8, v5, v9
	v_fmac_f32_e32 v21, v9, v2
	s_delay_alu instid0(VALU_DEP_3) | instskip(SKIP_1) | instid1(VALU_DEP_3)
	v_fmac_f32_e32 v1, v10, v3
	s_waitcnt vmcnt(1)
	v_dual_fmac_f32 v8, v10, v2 :: v_dual_fmac_f32 v7, v11, v13
	v_fmac_f32_e32 v6, v12, v13
	s_waitcnt vmcnt(0)
	v_fmac_f32_e32 v1, v12, v19
	v_fmac_f32_e32 v21, v11, v15
	v_fmac_f32_e32 v8, v12, v15
	v_fma_f32 v5, -v12, v14, v7
	v_fmac_f32_e32 v6, v11, v14
	v_dual_fmac_f32 v22, v9, v3 :: v_dual_fmac_f32 v1, v11, v20
	v_fma_f32 v7, -v12, v16, v21
	v_fmac_f32_e32 v8, v11, v16
	s_delay_alu instid0(VALU_DEP_3) | instskip(NEXT) | instid1(VALU_DEP_1)
	v_fmac_f32_e32 v22, v11, v19
	v_fma_f32 v0, -v12, v20, v22
	s_clause 0x1
	global_store_b128 v[17:18], v[5:8], off
	global_store_b64 v[17:18], v[0:1], off offset:16
.LBB100_29:
	s_nop 0
	s_sendmsg sendmsg(MSG_DEALLOC_VGPRS)
	s_endpgm
	.section	.rodata,"a",@progbits
	.p2align	6, 0x0
	.amdhsa_kernel _ZN9rocsparseL19gebsrmvn_3xn_kernelILj128ELj7ELj8E21rocsparse_complex_numIfEEEvi20rocsparse_direction_NS_24const_host_device_scalarIT2_EEPKiS8_PKS5_SA_S6_PS5_21rocsparse_index_base_b
		.amdhsa_group_segment_fixed_size 0
		.amdhsa_private_segment_fixed_size 0
		.amdhsa_kernarg_size 72
		.amdhsa_user_sgpr_count 15
		.amdhsa_user_sgpr_dispatch_ptr 0
		.amdhsa_user_sgpr_queue_ptr 0
		.amdhsa_user_sgpr_kernarg_segment_ptr 1
		.amdhsa_user_sgpr_dispatch_id 0
		.amdhsa_user_sgpr_private_segment_size 0
		.amdhsa_wavefront_size32 1
		.amdhsa_uses_dynamic_stack 0
		.amdhsa_enable_private_segment 0
		.amdhsa_system_sgpr_workgroup_id_x 1
		.amdhsa_system_sgpr_workgroup_id_y 0
		.amdhsa_system_sgpr_workgroup_id_z 0
		.amdhsa_system_sgpr_workgroup_info 0
		.amdhsa_system_vgpr_workitem_id 0
		.amdhsa_next_free_vgpr 75
		.amdhsa_next_free_sgpr 16
		.amdhsa_reserve_vcc 1
		.amdhsa_float_round_mode_32 0
		.amdhsa_float_round_mode_16_64 0
		.amdhsa_float_denorm_mode_32 3
		.amdhsa_float_denorm_mode_16_64 3
		.amdhsa_dx10_clamp 1
		.amdhsa_ieee_mode 1
		.amdhsa_fp16_overflow 0
		.amdhsa_workgroup_processor_mode 1
		.amdhsa_memory_ordered 1
		.amdhsa_forward_progress 0
		.amdhsa_shared_vgpr_count 0
		.amdhsa_exception_fp_ieee_invalid_op 0
		.amdhsa_exception_fp_denorm_src 0
		.amdhsa_exception_fp_ieee_div_zero 0
		.amdhsa_exception_fp_ieee_overflow 0
		.amdhsa_exception_fp_ieee_underflow 0
		.amdhsa_exception_fp_ieee_inexact 0
		.amdhsa_exception_int_div_zero 0
	.end_amdhsa_kernel
	.section	.text._ZN9rocsparseL19gebsrmvn_3xn_kernelILj128ELj7ELj8E21rocsparse_complex_numIfEEEvi20rocsparse_direction_NS_24const_host_device_scalarIT2_EEPKiS8_PKS5_SA_S6_PS5_21rocsparse_index_base_b,"axG",@progbits,_ZN9rocsparseL19gebsrmvn_3xn_kernelILj128ELj7ELj8E21rocsparse_complex_numIfEEEvi20rocsparse_direction_NS_24const_host_device_scalarIT2_EEPKiS8_PKS5_SA_S6_PS5_21rocsparse_index_base_b,comdat
.Lfunc_end100:
	.size	_ZN9rocsparseL19gebsrmvn_3xn_kernelILj128ELj7ELj8E21rocsparse_complex_numIfEEEvi20rocsparse_direction_NS_24const_host_device_scalarIT2_EEPKiS8_PKS5_SA_S6_PS5_21rocsparse_index_base_b, .Lfunc_end100-_ZN9rocsparseL19gebsrmvn_3xn_kernelILj128ELj7ELj8E21rocsparse_complex_numIfEEEvi20rocsparse_direction_NS_24const_host_device_scalarIT2_EEPKiS8_PKS5_SA_S6_PS5_21rocsparse_index_base_b
                                        ; -- End function
	.section	.AMDGPU.csdata,"",@progbits
; Kernel info:
; codeLenInByte = 4608
; NumSgprs: 18
; NumVgprs: 75
; ScratchSize: 0
; MemoryBound: 0
; FloatMode: 240
; IeeeMode: 1
; LDSByteSize: 0 bytes/workgroup (compile time only)
; SGPRBlocks: 2
; VGPRBlocks: 9
; NumSGPRsForWavesPerEU: 18
; NumVGPRsForWavesPerEU: 75
; Occupancy: 16
; WaveLimiterHint : 1
; COMPUTE_PGM_RSRC2:SCRATCH_EN: 0
; COMPUTE_PGM_RSRC2:USER_SGPR: 15
; COMPUTE_PGM_RSRC2:TRAP_HANDLER: 0
; COMPUTE_PGM_RSRC2:TGID_X_EN: 1
; COMPUTE_PGM_RSRC2:TGID_Y_EN: 0
; COMPUTE_PGM_RSRC2:TGID_Z_EN: 0
; COMPUTE_PGM_RSRC2:TIDIG_COMP_CNT: 0
	.section	.text._ZN9rocsparseL19gebsrmvn_3xn_kernelILj128ELj7ELj16E21rocsparse_complex_numIfEEEvi20rocsparse_direction_NS_24const_host_device_scalarIT2_EEPKiS8_PKS5_SA_S6_PS5_21rocsparse_index_base_b,"axG",@progbits,_ZN9rocsparseL19gebsrmvn_3xn_kernelILj128ELj7ELj16E21rocsparse_complex_numIfEEEvi20rocsparse_direction_NS_24const_host_device_scalarIT2_EEPKiS8_PKS5_SA_S6_PS5_21rocsparse_index_base_b,comdat
	.globl	_ZN9rocsparseL19gebsrmvn_3xn_kernelILj128ELj7ELj16E21rocsparse_complex_numIfEEEvi20rocsparse_direction_NS_24const_host_device_scalarIT2_EEPKiS8_PKS5_SA_S6_PS5_21rocsparse_index_base_b ; -- Begin function _ZN9rocsparseL19gebsrmvn_3xn_kernelILj128ELj7ELj16E21rocsparse_complex_numIfEEEvi20rocsparse_direction_NS_24const_host_device_scalarIT2_EEPKiS8_PKS5_SA_S6_PS5_21rocsparse_index_base_b
	.p2align	8
	.type	_ZN9rocsparseL19gebsrmvn_3xn_kernelILj128ELj7ELj16E21rocsparse_complex_numIfEEEvi20rocsparse_direction_NS_24const_host_device_scalarIT2_EEPKiS8_PKS5_SA_S6_PS5_21rocsparse_index_base_b,@function
_ZN9rocsparseL19gebsrmvn_3xn_kernelILj128ELj7ELj16E21rocsparse_complex_numIfEEEvi20rocsparse_direction_NS_24const_host_device_scalarIT2_EEPKiS8_PKS5_SA_S6_PS5_21rocsparse_index_base_b: ; @_ZN9rocsparseL19gebsrmvn_3xn_kernelILj128ELj7ELj16E21rocsparse_complex_numIfEEEvi20rocsparse_direction_NS_24const_host_device_scalarIT2_EEPKiS8_PKS5_SA_S6_PS5_21rocsparse_index_base_b
; %bb.0:
	s_clause 0x2
	s_load_b64 s[12:13], s[0:1], 0x40
	s_load_b64 s[4:5], s[0:1], 0x8
	;; [unrolled: 1-line block ×3, first 2 shown]
	s_waitcnt lgkmcnt(0)
	s_bitcmp1_b32 s13, 0
	v_mov_b32_e32 v9, s4
	s_cselect_b32 s6, -1, 0
	s_delay_alu instid0(SALU_CYCLE_1)
	s_and_b32 vcc_lo, exec_lo, s6
	s_xor_b32 s6, s6, -1
	s_cbranch_vccz .LBB101_15
; %bb.1:
	v_cndmask_b32_e64 v1, 0, 1, s6
	v_mov_b32_e32 v10, s5
	s_and_not1_b32 vcc_lo, exec_lo, s6
	s_cbranch_vccz .LBB101_16
.LBB101_2:
	s_delay_alu instid0(VALU_DEP_2)
	v_cmp_ne_u32_e32 vcc_lo, 1, v1
	v_mov_b32_e32 v11, s2
	s_cbranch_vccz .LBB101_17
.LBB101_3:
	v_cmp_ne_u32_e32 vcc_lo, 1, v1
	v_mov_b32_e32 v12, s3
	s_cbranch_vccnz .LBB101_5
.LBB101_4:
	v_dual_mov_b32 v1, s2 :: v_dual_mov_b32 v2, s3
	flat_load_b32 v12, v[1:2] offset:4
.LBB101_5:
	s_waitcnt vmcnt(0) lgkmcnt(0)
	v_cmp_eq_f32_e32 vcc_lo, 0, v9
	v_cmp_eq_f32_e64 s2, 0, v10
	s_delay_alu instid0(VALU_DEP_1)
	s_and_b32 s4, vcc_lo, s2
	s_mov_b32 s2, -1
	s_and_saveexec_b32 s3, s4
; %bb.6:
	v_cmp_neq_f32_e32 vcc_lo, 1.0, v11
	v_cmp_neq_f32_e64 s2, 0, v12
	s_delay_alu instid0(VALU_DEP_1) | instskip(NEXT) | instid1(SALU_CYCLE_1)
	s_or_b32 s2, vcc_lo, s2
	s_or_not1_b32 s2, s2, exec_lo
; %bb.7:
	s_or_b32 exec_lo, exec_lo, s3
	s_and_saveexec_b32 s3, s2
	s_cbranch_execz .LBB101_29
; %bb.8:
	s_load_b64 s[2:3], s[0:1], 0x0
	v_lshrrev_b32_e32 v1, 4, v0
	s_delay_alu instid0(VALU_DEP_1) | instskip(SKIP_1) | instid1(VALU_DEP_1)
	v_lshl_or_b32 v1, s15, 3, v1
	s_waitcnt lgkmcnt(0)
	v_cmp_gt_i32_e32 vcc_lo, s2, v1
	s_and_b32 exec_lo, exec_lo, vcc_lo
	s_cbranch_execz .LBB101_29
; %bb.9:
	s_load_b256 s[4:11], s[0:1], 0x10
	v_ashrrev_i32_e32 v2, 31, v1
	v_and_b32_e32 v0, 15, v0
	s_cmp_lg_u32 s3, 0
	s_delay_alu instid0(VALU_DEP_2) | instskip(SKIP_1) | instid1(VALU_DEP_1)
	v_lshlrev_b64 v[2:3], 2, v[1:2]
	s_waitcnt lgkmcnt(0)
	v_add_co_u32 v2, vcc_lo, s4, v2
	s_delay_alu instid0(VALU_DEP_2) | instskip(SKIP_4) | instid1(VALU_DEP_2)
	v_add_co_ci_u32_e32 v3, vcc_lo, s5, v3, vcc_lo
	global_load_b64 v[2:3], v[2:3], off
	s_waitcnt vmcnt(0)
	v_subrev_nc_u32_e32 v2, s12, v2
	v_subrev_nc_u32_e32 v16, s12, v3
	v_add_nc_u32_e32 v2, v2, v0
	s_delay_alu instid0(VALU_DEP_1)
	v_cmp_lt_i32_e64 s2, v2, v16
	s_cbranch_scc0 .LBB101_18
; %bb.10:
	v_dual_mov_b32 v13, 0 :: v_dual_mov_b32 v18, 0
	v_dual_mov_b32 v17, 0 :: v_dual_mov_b32 v14, 0
	v_mov_b32_e32 v19, 0
	v_mov_b32_e32 v15, 0
	s_mov_b32 s3, 0
	s_and_saveexec_b32 s4, s2
	s_cbranch_execz .LBB101_14
; %bb.11:
	v_mad_u64_u32 v[3:4], null, v2, 21, 20
	v_dual_mov_b32 v6, 0 :: v_dual_mov_b32 v7, v2
	v_dual_mov_b32 v13, 0 :: v_dual_mov_b32 v18, 0
	;; [unrolled: 1-line block ×3, first 2 shown]
	v_mov_b32_e32 v19, 0
	v_mov_b32_e32 v15, 0
	s_mov_b32 s5, 0
.LBB101_12:                             ; =>This Inner Loop Header: Depth=1
	v_ashrrev_i32_e32 v8, 31, v7
	s_delay_alu instid0(VALU_DEP_1) | instskip(NEXT) | instid1(VALU_DEP_1)
	v_lshlrev_b64 v[4:5], 2, v[7:8]
	v_add_co_u32 v4, vcc_lo, s6, v4
	s_delay_alu instid0(VALU_DEP_2) | instskip(SKIP_3) | instid1(VALU_DEP_2)
	v_add_co_ci_u32_e32 v5, vcc_lo, s7, v5, vcc_lo
	global_load_b32 v8, v[4:5], off
	v_subrev_nc_u32_e32 v5, 20, v3
	v_mov_b32_e32 v4, v6
	v_lshlrev_b64 v[22:23], 3, v[5:6]
	v_subrev_nc_u32_e32 v5, 19, v3
	s_delay_alu instid0(VALU_DEP_3) | instskip(NEXT) | instid1(VALU_DEP_2)
	v_lshlrev_b64 v[24:25], 3, v[3:4]
	v_lshlrev_b64 v[26:27], 3, v[5:6]
	v_subrev_nc_u32_e32 v5, 18, v3
	v_add_co_u32 v22, vcc_lo, s8, v22
	v_add_co_ci_u32_e32 v23, vcc_lo, s9, v23, vcc_lo
	s_delay_alu instid0(VALU_DEP_3) | instskip(SKIP_4) | instid1(VALU_DEP_4)
	v_lshlrev_b64 v[28:29], 3, v[5:6]
	v_subrev_nc_u32_e32 v5, 17, v3
	v_add_co_u32 v24, vcc_lo, s8, v24
	v_add_co_ci_u32_e32 v25, vcc_lo, s9, v25, vcc_lo
	v_add_co_u32 v26, vcc_lo, s8, v26
	v_lshlrev_b64 v[4:5], 3, v[5:6]
	v_add_co_ci_u32_e32 v27, vcc_lo, s9, v27, vcc_lo
	v_add_co_u32 v28, vcc_lo, s8, v28
	v_add_co_ci_u32_e32 v29, vcc_lo, s9, v29, vcc_lo
	s_delay_alu instid0(VALU_DEP_4)
	v_add_co_u32 v4, vcc_lo, s8, v4
	v_add_co_ci_u32_e32 v5, vcc_lo, s9, v5, vcc_lo
	s_clause 0x3
	global_load_b64 v[22:23], v[22:23], off
	global_load_b64 v[26:27], v[26:27], off
	;; [unrolled: 1-line block ×4, first 2 shown]
	v_mov_b32_e32 v21, v6
	s_waitcnt vmcnt(4)
	v_subrev_nc_u32_e32 v4, s12, v8
	s_delay_alu instid0(VALU_DEP_1) | instskip(NEXT) | instid1(VALU_DEP_1)
	v_mul_lo_u32 v20, v4, 7
	v_lshlrev_b64 v[32:33], 3, v[20:21]
	v_add_nc_u32_e32 v5, 1, v20
	s_delay_alu instid0(VALU_DEP_1) | instskip(NEXT) | instid1(VALU_DEP_3)
	v_lshlrev_b64 v[34:35], 3, v[5:6]
	v_add_co_u32 v32, vcc_lo, s10, v32
	s_delay_alu instid0(VALU_DEP_4) | instskip(NEXT) | instid1(VALU_DEP_3)
	v_add_co_ci_u32_e32 v33, vcc_lo, s11, v33, vcc_lo
	v_add_co_u32 v34, vcc_lo, s10, v34
	global_load_b64 v[32:33], v[32:33], off
	v_add_co_ci_u32_e32 v35, vcc_lo, s11, v35, vcc_lo
	global_load_b64 v[34:35], v[34:35], off
	s_waitcnt vmcnt(1)
	v_dual_fmac_f32 v14, v29, v32 :: v_dual_add_nc_u32 v5, -16, v3
	s_delay_alu instid0(VALU_DEP_1) | instskip(SKIP_4) | instid1(VALU_DEP_4)
	v_lshlrev_b64 v[36:37], 3, v[5:6]
	v_add_nc_u32_e32 v5, -15, v3
	v_fmac_f32_e32 v17, v22, v32
	v_fmac_f32_e32 v18, v28, v32
	v_dual_fmac_f32 v14, v28, v33 :: v_dual_fmac_f32 v15, v27, v32
	v_lshlrev_b64 v[38:39], 3, v[5:6]
	v_add_co_u32 v36, vcc_lo, s8, v36
	v_add_co_ci_u32_e32 v37, vcc_lo, s9, v37, vcc_lo
	v_fma_f32 v8, -v23, v33, v17
	s_delay_alu instid0(VALU_DEP_4)
	v_add_co_u32 v38, vcc_lo, s8, v38
	v_add_co_ci_u32_e32 v39, vcc_lo, s9, v39, vcc_lo
	global_load_b64 v[36:37], v[36:37], off
	s_waitcnt vmcnt(1)
	v_dual_fmac_f32 v8, v30, v34 :: v_dual_add_nc_u32 v5, -14, v3
	global_load_b64 v[38:39], v[38:39], off
	v_fma_f32 v18, -v29, v33, v18
	v_fmac_f32_e32 v15, v26, v33
	v_lshlrev_b64 v[40:41], 3, v[5:6]
	v_fma_f32 v8, -v31, v35, v8
	s_delay_alu instid0(VALU_DEP_2) | instskip(NEXT) | instid1(VALU_DEP_3)
	v_add_co_u32 v40, vcc_lo, s8, v40
	v_add_co_ci_u32_e32 v41, vcc_lo, s9, v41, vcc_lo
	global_load_b64 v[40:41], v[40:41], off
	v_add_nc_u32_e32 v5, 2, v20
	s_waitcnt vmcnt(2)
	v_fmac_f32_e32 v15, v37, v34
	s_waitcnt vmcnt(1)
	v_fmac_f32_e32 v18, v38, v34
	v_lshlrev_b64 v[42:43], 3, v[5:6]
	v_dual_fmac_f32 v14, v39, v34 :: v_dual_add_nc_u32 v5, -13, v3
	v_fmac_f32_e32 v15, v36, v35
	s_delay_alu instid0(VALU_DEP_4) | instskip(NEXT) | instid1(VALU_DEP_4)
	v_fma_f32 v18, -v39, v35, v18
	v_add_co_u32 v42, vcc_lo, s10, v42
	v_add_co_ci_u32_e32 v43, vcc_lo, s11, v43, vcc_lo
	v_lshlrev_b64 v[44:45], 3, v[5:6]
	v_fmac_f32_e32 v14, v38, v35
	global_load_b64 v[42:43], v[42:43], off
	v_add_nc_u32_e32 v5, -12, v3
	v_add_co_u32 v44, vcc_lo, s8, v44
	v_add_co_ci_u32_e32 v45, vcc_lo, s9, v45, vcc_lo
	global_load_b64 v[44:45], v[44:45], off
	s_waitcnt vmcnt(1)
	v_fmac_f32_e32 v8, v40, v42
	v_lshlrev_b64 v[46:47], 3, v[5:6]
	s_delay_alu instid0(VALU_DEP_2) | instskip(NEXT) | instid1(VALU_DEP_2)
	v_fma_f32 v8, -v41, v43, v8
	v_add_co_u32 v46, vcc_lo, s8, v46
	s_delay_alu instid0(VALU_DEP_3) | instskip(SKIP_2) | instid1(VALU_DEP_1)
	v_add_co_ci_u32_e32 v47, vcc_lo, s9, v47, vcc_lo
	global_load_b64 v[46:47], v[46:47], off
	v_add_nc_u32_e32 v5, -11, v3
	v_lshlrev_b64 v[48:49], 3, v[5:6]
	v_add_nc_u32_e32 v5, 3, v20
	s_delay_alu instid0(VALU_DEP_1) | instskip(NEXT) | instid1(VALU_DEP_3)
	v_lshlrev_b64 v[50:51], 3, v[5:6]
	v_add_co_u32 v48, vcc_lo, s8, v48
	s_delay_alu instid0(VALU_DEP_4) | instskip(NEXT) | instid1(VALU_DEP_3)
	v_add_co_ci_u32_e32 v49, vcc_lo, s9, v49, vcc_lo
	v_add_co_u32 v50, vcc_lo, s10, v50
	s_delay_alu instid0(VALU_DEP_4)
	v_add_co_ci_u32_e32 v51, vcc_lo, s11, v51, vcc_lo
	global_load_b64 v[48:49], v[48:49], off
	v_add_nc_u32_e32 v5, -10, v3
	s_waitcnt vmcnt(2)
	v_fmac_f32_e32 v15, v45, v42
	global_load_b64 v[50:51], v[50:51], off
	s_waitcnt vmcnt(2)
	v_dual_fmac_f32 v15, v44, v43 :: v_dual_fmac_f32 v14, v47, v42
	v_lshlrev_b64 v[52:53], 3, v[5:6]
	v_dual_fmac_f32 v18, v46, v42 :: v_dual_add_nc_u32 v5, -9, v3
	s_delay_alu instid0(VALU_DEP_3) | instskip(NEXT) | instid1(VALU_DEP_3)
	v_fmac_f32_e32 v14, v46, v43
	v_add_co_u32 v52, vcc_lo, s8, v52
	s_delay_alu instid0(VALU_DEP_4) | instskip(NEXT) | instid1(VALU_DEP_4)
	v_add_co_ci_u32_e32 v53, vcc_lo, s9, v53, vcc_lo
	v_fma_f32 v18, -v47, v43, v18
	global_load_b64 v[52:53], v[52:53], off
	s_waitcnt vmcnt(1)
	v_fmac_f32_e32 v8, v48, v50
	v_lshlrev_b64 v[54:55], 3, v[5:6]
	s_delay_alu instid0(VALU_DEP_2) | instskip(NEXT) | instid1(VALU_DEP_2)
	v_fma_f32 v8, -v49, v51, v8
	v_add_co_u32 v54, vcc_lo, s8, v54
	s_delay_alu instid0(VALU_DEP_3) | instskip(SKIP_2) | instid1(VALU_DEP_1)
	v_add_co_ci_u32_e32 v55, vcc_lo, s9, v55, vcc_lo
	global_load_b64 v[54:55], v[54:55], off
	v_add_nc_u32_e32 v5, -8, v3
	v_lshlrev_b64 v[56:57], 3, v[5:6]
	v_add_nc_u32_e32 v5, 4, v20
	s_delay_alu instid0(VALU_DEP_1) | instskip(NEXT) | instid1(VALU_DEP_3)
	v_lshlrev_b64 v[58:59], 3, v[5:6]
	v_add_co_u32 v56, vcc_lo, s8, v56
	s_delay_alu instid0(VALU_DEP_4) | instskip(NEXT) | instid1(VALU_DEP_3)
	v_add_co_ci_u32_e32 v57, vcc_lo, s9, v57, vcc_lo
	v_add_co_u32 v58, vcc_lo, s10, v58
	s_delay_alu instid0(VALU_DEP_4)
	v_add_co_ci_u32_e32 v59, vcc_lo, s11, v59, vcc_lo
	global_load_b64 v[56:57], v[56:57], off
	v_add_nc_u32_e32 v5, -7, v3
	global_load_b64 v[58:59], v[58:59], off
	s_waitcnt vmcnt(3)
	v_fmac_f32_e32 v15, v53, v50
	s_waitcnt vmcnt(2)
	s_delay_alu instid0(VALU_DEP_1) | instskip(SKIP_2) | instid1(VALU_DEP_3)
	v_dual_fmac_f32 v15, v52, v51 :: v_dual_fmac_f32 v14, v55, v50
	v_lshlrev_b64 v[60:61], 3, v[5:6]
	v_dual_fmac_f32 v18, v54, v50 :: v_dual_add_nc_u32 v5, -6, v3
	v_fmac_f32_e32 v14, v54, v51
	s_delay_alu instid0(VALU_DEP_3) | instskip(NEXT) | instid1(VALU_DEP_4)
	v_add_co_u32 v60, vcc_lo, s8, v60
	v_add_co_ci_u32_e32 v61, vcc_lo, s9, v61, vcc_lo
	s_delay_alu instid0(VALU_DEP_4) | instskip(SKIP_4) | instid1(VALU_DEP_2)
	v_fma_f32 v18, -v55, v51, v18
	global_load_b64 v[60:61], v[60:61], off
	s_waitcnt vmcnt(1)
	v_fmac_f32_e32 v8, v56, v58
	v_lshlrev_b64 v[62:63], 3, v[5:6]
	v_fma_f32 v8, -v57, v59, v8
	s_delay_alu instid0(VALU_DEP_2) | instskip(NEXT) | instid1(VALU_DEP_3)
	v_add_co_u32 v62, vcc_lo, s8, v62
	v_add_co_ci_u32_e32 v63, vcc_lo, s9, v63, vcc_lo
	global_load_b64 v[62:63], v[62:63], off
	v_add_nc_u32_e32 v5, -5, v3
	s_delay_alu instid0(VALU_DEP_1) | instskip(SKIP_1) | instid1(VALU_DEP_1)
	v_lshlrev_b64 v[64:65], 3, v[5:6]
	v_add_nc_u32_e32 v5, 5, v20
	v_lshlrev_b64 v[66:67], 3, v[5:6]
	s_delay_alu instid0(VALU_DEP_3) | instskip(NEXT) | instid1(VALU_DEP_4)
	v_add_co_u32 v64, vcc_lo, s8, v64
	v_add_co_ci_u32_e32 v65, vcc_lo, s9, v65, vcc_lo
	s_delay_alu instid0(VALU_DEP_3) | instskip(NEXT) | instid1(VALU_DEP_4)
	v_add_co_u32 v66, vcc_lo, s10, v66
	v_add_co_ci_u32_e32 v67, vcc_lo, s11, v67, vcc_lo
	global_load_b64 v[64:65], v[64:65], off
	v_add_nc_u32_e32 v5, -4, v3
	global_load_b64 v[66:67], v[66:67], off
	s_waitcnt vmcnt(3)
	v_fmac_f32_e32 v15, v61, v58
	s_waitcnt vmcnt(2)
	s_delay_alu instid0(VALU_DEP_1) | instskip(SKIP_2) | instid1(VALU_DEP_3)
	v_dual_fmac_f32 v15, v60, v59 :: v_dual_fmac_f32 v14, v63, v58
	v_lshlrev_b64 v[68:69], 3, v[5:6]
	v_dual_fmac_f32 v18, v62, v58 :: v_dual_add_nc_u32 v5, -3, v3
	v_fmac_f32_e32 v14, v62, v59
	s_delay_alu instid0(VALU_DEP_3) | instskip(NEXT) | instid1(VALU_DEP_4)
	v_add_co_u32 v68, vcc_lo, s8, v68
	v_add_co_ci_u32_e32 v69, vcc_lo, s9, v69, vcc_lo
	s_delay_alu instid0(VALU_DEP_4) | instskip(SKIP_4) | instid1(VALU_DEP_3)
	v_fma_f32 v18, -v63, v59, v18
	s_waitcnt vmcnt(0)
	v_fmac_f32_e32 v8, v64, v66
	v_lshlrev_b64 v[70:71], 3, v[5:6]
	v_add_nc_u32_e32 v5, -2, v3
	v_fma_f32 v8, -v65, v67, v8
	s_delay_alu instid0(VALU_DEP_2)
	v_lshlrev_b64 v[72:73], 3, v[5:6]
	v_add_nc_u32_e32 v5, 6, v20
	global_load_b64 v[20:21], v[68:69], off
	v_add_co_u32 v68, vcc_lo, s8, v70
	v_add_co_ci_u32_e32 v69, vcc_lo, s9, v71, vcc_lo
	v_add_co_u32 v72, vcc_lo, s8, v72
	v_add_co_ci_u32_e32 v73, vcc_lo, s9, v73, vcc_lo
	global_load_b64 v[68:69], v[68:69], off
	v_lshlrev_b64 v[70:71], 3, v[5:6]
	global_load_b64 v[72:73], v[72:73], off
	v_add_nc_u32_e32 v5, -1, v3
	v_add_co_u32 v70, vcc_lo, s10, v70
	v_add_co_ci_u32_e32 v71, vcc_lo, s11, v71, vcc_lo
	s_waitcnt vmcnt(2)
	v_fmac_f32_e32 v15, v21, v66
	s_waitcnt vmcnt(1)
	s_delay_alu instid0(VALU_DEP_1) | instskip(SKIP_2) | instid1(VALU_DEP_3)
	v_dual_fmac_f32 v15, v20, v67 :: v_dual_fmac_f32 v14, v69, v66
	v_lshlrev_b64 v[4:5], 3, v[5:6]
	v_fmac_f32_e32 v18, v68, v66
	v_fmac_f32_e32 v14, v68, v67
	s_delay_alu instid0(VALU_DEP_3) | instskip(NEXT) | instid1(VALU_DEP_4)
	v_add_co_u32 v4, vcc_lo, s8, v4
	v_add_co_ci_u32_e32 v5, vcc_lo, s9, v5, vcc_lo
	global_load_b64 v[70:71], v[70:71], off
	s_clause 0x1
	global_load_b64 v[4:5], v[4:5], off
	global_load_b64 v[24:25], v[24:25], off
	v_fmac_f32_e32 v13, v23, v32
	v_fma_f32 v18, -v69, v67, v18
	v_add_nc_u32_e32 v7, 16, v7
	s_waitcnt vmcnt(2)
	v_dual_fmac_f32 v8, v72, v70 :: v_dual_add_nc_u32 v3, 0x150, v3
	s_waitcnt vmcnt(1)
	v_fmac_f32_e32 v15, v5, v70
	s_waitcnt vmcnt(0)
	v_fmac_f32_e32 v18, v24, v70
	v_dual_fmac_f32 v14, v25, v70 :: v_dual_fmac_f32 v19, v26, v32
	v_fmac_f32_e32 v13, v22, v33
	v_cmp_ge_i32_e32 vcc_lo, v7, v16
	v_fmac_f32_e32 v15, v4, v71
	s_delay_alu instid0(VALU_DEP_4) | instskip(SKIP_4) | instid1(VALU_DEP_3)
	v_fmac_f32_e32 v14, v24, v71
	v_fma_f32 v17, -v27, v33, v19
	v_fmac_f32_e32 v13, v31, v34
	v_fma_f32 v18, -v25, v71, v18
	s_or_b32 s5, vcc_lo, s5
	v_fmac_f32_e32 v17, v36, v34
	s_delay_alu instid0(VALU_DEP_3) | instskip(NEXT) | instid1(VALU_DEP_2)
	v_fmac_f32_e32 v13, v30, v35
	v_fma_f32 v17, -v37, v35, v17
	s_delay_alu instid0(VALU_DEP_2) | instskip(NEXT) | instid1(VALU_DEP_2)
	v_fmac_f32_e32 v13, v41, v42
	v_fmac_f32_e32 v17, v44, v42
	s_delay_alu instid0(VALU_DEP_2) | instskip(NEXT) | instid1(VALU_DEP_2)
	v_fmac_f32_e32 v13, v40, v43
	v_fma_f32 v17, -v45, v43, v17
	s_delay_alu instid0(VALU_DEP_2) | instskip(NEXT) | instid1(VALU_DEP_2)
	v_fmac_f32_e32 v13, v49, v50
	v_fmac_f32_e32 v17, v52, v50
	s_delay_alu instid0(VALU_DEP_2) | instskip(NEXT) | instid1(VALU_DEP_2)
	;; [unrolled: 6-line block ×4, first 2 shown]
	v_fmac_f32_e32 v13, v64, v67
	v_fma_f32 v19, -v21, v67, v17
	s_delay_alu instid0(VALU_DEP_2) | instskip(SKIP_1) | instid1(VALU_DEP_3)
	v_fmac_f32_e32 v13, v73, v70
	v_fma_f32 v17, -v73, v71, v8
	v_fmac_f32_e32 v19, v4, v70
	s_delay_alu instid0(VALU_DEP_3) | instskip(NEXT) | instid1(VALU_DEP_2)
	v_fmac_f32_e32 v13, v72, v71
	v_fma_f32 v19, -v5, v71, v19
	s_and_not1_b32 exec_lo, exec_lo, s5
	s_cbranch_execnz .LBB101_12
; %bb.13:
	s_or_b32 exec_lo, exec_lo, s5
.LBB101_14:
	s_delay_alu instid0(SALU_CYCLE_1) | instskip(NEXT) | instid1(SALU_CYCLE_1)
	s_or_b32 exec_lo, exec_lo, s4
	s_and_not1_b32 vcc_lo, exec_lo, s3
	s_cbranch_vccz .LBB101_19
	s_branch .LBB101_24
.LBB101_15:
	v_dual_mov_b32 v1, s4 :: v_dual_mov_b32 v2, s5
	flat_load_b32 v9, v[1:2]
	v_cndmask_b32_e64 v1, 0, 1, s6
	v_mov_b32_e32 v10, s5
	s_and_not1_b32 vcc_lo, exec_lo, s6
	s_cbranch_vccnz .LBB101_2
.LBB101_16:
	v_dual_mov_b32 v2, s4 :: v_dual_mov_b32 v3, s5
	flat_load_b32 v10, v[2:3] offset:4
	v_cmp_ne_u32_e32 vcc_lo, 1, v1
	v_mov_b32_e32 v11, s2
	s_cbranch_vccnz .LBB101_3
.LBB101_17:
	v_dual_mov_b32 v2, s2 :: v_dual_mov_b32 v3, s3
	flat_load_b32 v11, v[2:3]
	v_cmp_ne_u32_e32 vcc_lo, 1, v1
	v_mov_b32_e32 v12, s3
	s_cbranch_vccz .LBB101_4
	s_branch .LBB101_5
.LBB101_18:
                                        ; implicit-def: $vgpr13
                                        ; implicit-def: $vgpr17
                                        ; implicit-def: $vgpr18
                                        ; implicit-def: $vgpr14
                                        ; implicit-def: $vgpr19
                                        ; implicit-def: $vgpr15
.LBB101_19:
	v_dual_mov_b32 v13, 0 :: v_dual_mov_b32 v18, 0
	v_dual_mov_b32 v17, 0 :: v_dual_mov_b32 v14, 0
	v_mov_b32_e32 v19, 0
	v_mov_b32_e32 v15, 0
	s_and_saveexec_b32 s3, s2
	s_cbranch_execz .LBB101_23
; %bb.20:
	v_mad_u64_u32 v[4:5], null, v2, 21, 20
	v_dual_mov_b32 v7, 0 :: v_dual_mov_b32 v18, 0
	v_dual_mov_b32 v13, 0 :: v_dual_mov_b32 v14, 0
	v_mov_b32_e32 v17, 0
	v_mov_b32_e32 v19, 0
	;; [unrolled: 1-line block ×3, first 2 shown]
	s_mov_b32 s2, 0
.LBB101_21:                             ; =>This Inner Loop Header: Depth=1
	v_ashrrev_i32_e32 v3, 31, v2
	v_dual_mov_b32 v21, v7 :: v_dual_add_nc_u32 v20, -13, v4
	v_dual_mov_b32 v23, v7 :: v_dual_add_nc_u32 v22, -6, v4
	s_delay_alu instid0(VALU_DEP_3) | instskip(NEXT) | instid1(VALU_DEP_3)
	v_lshlrev_b64 v[5:6], 2, v[2:3]
	v_lshlrev_b64 v[20:21], 3, v[20:21]
	s_delay_alu instid0(VALU_DEP_3) | instskip(NEXT) | instid1(VALU_DEP_3)
	v_lshlrev_b64 v[22:23], 3, v[22:23]
	v_add_co_u32 v5, vcc_lo, s6, v5
	s_delay_alu instid0(VALU_DEP_4) | instskip(SKIP_3) | instid1(VALU_DEP_2)
	v_add_co_ci_u32_e32 v6, vcc_lo, s7, v6, vcc_lo
	global_load_b32 v3, v[5:6], off
	v_subrev_nc_u32_e32 v6, 20, v4
	v_mov_b32_e32 v5, v7
	v_lshlrev_b64 v[25:26], 3, v[6:7]
	v_subrev_nc_u32_e32 v6, 19, v4
	s_delay_alu instid0(VALU_DEP_3) | instskip(NEXT) | instid1(VALU_DEP_2)
	v_lshlrev_b64 v[27:28], 3, v[4:5]
	v_lshlrev_b64 v[5:6], 3, v[6:7]
	s_delay_alu instid0(VALU_DEP_4)
	v_add_co_u32 v25, vcc_lo, s8, v25
	v_add_co_ci_u32_e32 v26, vcc_lo, s9, v26, vcc_lo
	v_add_co_u32 v20, vcc_lo, s8, v20
	v_add_co_ci_u32_e32 v21, vcc_lo, s9, v21, vcc_lo
	;; [unrolled: 2-line block ×5, first 2 shown]
	s_clause 0x3
	global_load_b64 v[25:26], v[25:26], off
	global_load_b64 v[20:21], v[20:21], off
	;; [unrolled: 1-line block ×4, first 2 shown]
	v_mov_b32_e32 v24, v7
	s_waitcnt vmcnt(4)
	v_subrev_nc_u32_e32 v3, s12, v3
	s_delay_alu instid0(VALU_DEP_1) | instskip(NEXT) | instid1(VALU_DEP_1)
	v_mul_lo_u32 v23, v3, 7
	v_lshlrev_b64 v[33:34], 3, v[23:24]
	v_add_nc_u32_e32 v6, 1, v23
	s_delay_alu instid0(VALU_DEP_1) | instskip(NEXT) | instid1(VALU_DEP_3)
	v_lshlrev_b64 v[35:36], 3, v[6:7]
	v_add_co_u32 v33, vcc_lo, s10, v33
	s_delay_alu instid0(VALU_DEP_4) | instskip(NEXT) | instid1(VALU_DEP_3)
	v_add_co_ci_u32_e32 v34, vcc_lo, s11, v34, vcc_lo
	v_add_co_u32 v35, vcc_lo, s10, v35
	global_load_b64 v[33:34], v[33:34], off
	v_add_co_ci_u32_e32 v36, vcc_lo, s11, v36, vcc_lo
	global_load_b64 v[35:36], v[35:36], off
	s_waitcnt vmcnt(1)
	v_dual_fmac_f32 v13, v26, v33 :: v_dual_add_nc_u32 v6, -12, v4
	s_delay_alu instid0(VALU_DEP_1) | instskip(SKIP_4) | instid1(VALU_DEP_4)
	v_lshlrev_b64 v[37:38], 3, v[6:7]
	v_dual_fmac_f32 v19, v20, v33 :: v_dual_add_nc_u32 v6, -5, v4
	v_fmac_f32_e32 v17, v25, v33
	v_fmac_f32_e32 v18, v29, v33
	;; [unrolled: 1-line block ×3, first 2 shown]
	v_lshlrev_b64 v[39:40], 3, v[6:7]
	v_subrev_nc_u32_e32 v6, 18, v4
	v_add_co_u32 v37, vcc_lo, s8, v37
	v_add_co_ci_u32_e32 v38, vcc_lo, s9, v38, vcc_lo
	s_delay_alu instid0(VALU_DEP_3)
	v_lshlrev_b64 v[41:42], 3, v[6:7]
	v_add_nc_u32_e32 v6, 2, v23
	v_add_co_u32 v39, vcc_lo, s8, v39
	global_load_b64 v[37:38], v[37:38], off
	v_add_co_ci_u32_e32 v40, vcc_lo, s9, v40, vcc_lo
	v_lshlrev_b64 v[43:44], 3, v[6:7]
	v_add_co_u32 v41, vcc_lo, s8, v41
	global_load_b64 v[39:40], v[39:40], off
	v_dual_fmac_f32 v13, v25, v34 :: v_dual_add_nc_u32 v6, -11, v4
	v_add_co_ci_u32_e32 v42, vcc_lo, s9, v42, vcc_lo
	v_add_co_u32 v43, vcc_lo, s10, v43
	v_add_co_ci_u32_e32 v44, vcc_lo, s11, v44, vcc_lo
	s_delay_alu instid0(VALU_DEP_4)
	v_lshlrev_b64 v[45:46], 3, v[6:7]
	v_dual_fmac_f32 v15, v20, v34 :: v_dual_add_nc_u32 v6, -4, v4
	global_load_b64 v[41:42], v[41:42], off
	global_load_b64 v[43:44], v[43:44], off
	s_waitcnt vmcnt(4)
	v_dual_fmac_f32 v13, v32, v35 :: v_dual_add_nc_u32 v2, 16, v2
	v_add_co_u32 v45, vcc_lo, s8, v45
	v_lshlrev_b64 v[47:48], 3, v[6:7]
	v_subrev_nc_u32_e32 v6, 17, v4
	v_add_co_ci_u32_e32 v46, vcc_lo, s9, v46, vcc_lo
	v_fmac_f32_e32 v13, v31, v36
	v_fma_f32 v3, -v26, v34, v17
	s_delay_alu instid0(VALU_DEP_4)
	v_lshlrev_b64 v[49:50], 3, v[6:7]
	v_add_nc_u32_e32 v6, 3, v23
	global_load_b64 v[45:46], v[45:46], off
	v_add_co_u32 v47, vcc_lo, s8, v47
	v_add_co_ci_u32_e32 v48, vcc_lo, s9, v48, vcc_lo
	v_lshlrev_b64 v[51:52], 3, v[6:7]
	v_add_co_u32 v49, vcc_lo, s8, v49
	global_load_b64 v[47:48], v[47:48], off
	v_add_co_ci_u32_e32 v50, vcc_lo, s9, v50, vcc_lo
	v_add_co_u32 v51, vcc_lo, s10, v51
	v_add_co_ci_u32_e32 v52, vcc_lo, s11, v52, vcc_lo
	global_load_b64 v[49:50], v[49:50], off
	v_dual_fmac_f32 v3, v31, v35 :: v_dual_add_nc_u32 v6, -10, v4
	global_load_b64 v[51:52], v[51:52], off
	v_fma_f32 v17, -v30, v34, v18
	v_fma_f32 v8, -v21, v34, v19
	v_lshlrev_b64 v[53:54], 3, v[6:7]
	v_add_nc_u32_e32 v6, -3, v4
	v_fma_f32 v3, -v32, v36, v3
	s_delay_alu instid0(VALU_DEP_3) | instskip(NEXT) | instid1(VALU_DEP_4)
	v_add_co_u32 v53, vcc_lo, s8, v53
	v_add_co_ci_u32_e32 v54, vcc_lo, s9, v54, vcc_lo
	global_load_b64 v[53:54], v[53:54], off
	s_waitcnt vmcnt(8)
	v_fmac_f32_e32 v15, v38, v35
	v_lshlrev_b64 v[55:56], 3, v[6:7]
	v_add_nc_u32_e32 v6, -16, v4
	s_delay_alu instid0(VALU_DEP_3) | instskip(SKIP_2) | instid1(VALU_DEP_3)
	v_fmac_f32_e32 v15, v37, v36
	s_waitcnt vmcnt(7)
	v_fmac_f32_e32 v17, v39, v35
	v_lshlrev_b64 v[57:58], 3, v[6:7]
	v_add_nc_u32_e32 v6, 4, v23
	v_add_co_u32 v55, vcc_lo, s8, v55
	v_add_co_ci_u32_e32 v56, vcc_lo, s9, v56, vcc_lo
	s_delay_alu instid0(VALU_DEP_3)
	v_lshlrev_b64 v[59:60], 3, v[6:7]
	v_add_nc_u32_e32 v6, -9, v4
	v_add_co_u32 v57, vcc_lo, s8, v57
	v_add_co_ci_u32_e32 v58, vcc_lo, s9, v58, vcc_lo
	s_waitcnt vmcnt(5)
	v_fmac_f32_e32 v3, v41, v43
	v_lshlrev_b64 v[61:62], 3, v[6:7]
	v_dual_fmac_f32 v13, v42, v43 :: v_dual_add_nc_u32 v6, -2, v4
	v_add_co_u32 v59, vcc_lo, s10, v59
	v_add_co_ci_u32_e32 v60, vcc_lo, s11, v60, vcc_lo
	s_delay_alu instid0(VALU_DEP_3)
	v_lshlrev_b64 v[63:64], 3, v[6:7]
	v_add_nc_u32_e32 v6, -15, v4
	v_add_co_u32 v61, vcc_lo, s8, v61
	v_add_co_ci_u32_e32 v62, vcc_lo, s9, v62, vcc_lo
	s_waitcnt vmcnt(4)
	v_fmac_f32_e32 v15, v46, v43
	v_lshlrev_b64 v[65:66], 3, v[6:7]
	v_dual_fmac_f32 v13, v41, v44 :: v_dual_add_nc_u32 v6, 5, v23
	v_fma_f32 v17, -v40, v36, v17
	v_add_co_u32 v63, vcc_lo, s8, v63
	s_delay_alu instid0(VALU_DEP_3) | instskip(SKIP_1) | instid1(VALU_DEP_3)
	v_lshlrev_b64 v[67:68], 3, v[6:7]
	s_waitcnt vmcnt(3)
	v_dual_fmac_f32 v17, v47, v43 :: v_dual_add_nc_u32 v6, -8, v4
	s_clause 0x1
	global_load_b64 v[55:56], v[55:56], off
	global_load_b64 v[57:58], v[57:58], off
	;; [unrolled: 1-line block ×4, first 2 shown]
	v_add_co_ci_u32_e32 v64, vcc_lo, s9, v64, vcc_lo
	v_add_co_u32 v65, vcc_lo, s8, v65
	v_lshlrev_b64 v[69:70], 3, v[6:7]
	global_load_b64 v[63:64], v[63:64], off
	v_add_co_ci_u32_e32 v66, vcc_lo, s9, v66, vcc_lo
	v_add_co_u32 v67, vcc_lo, s10, v67
	v_fma_f32 v3, -v42, v44, v3
	global_load_b64 v[65:66], v[65:66], off
	v_add_nc_u32_e32 v6, -1, v4
	v_add_co_ci_u32_e32 v68, vcc_lo, s11, v68, vcc_lo
	s_waitcnt vmcnt(7)
	v_fmac_f32_e32 v3, v49, v51
	v_add_co_u32 v69, vcc_lo, s8, v69
	v_lshlrev_b64 v[71:72], 3, v[6:7]
	v_dual_fmac_f32 v13, v50, v51 :: v_dual_add_nc_u32 v6, -14, v4
	v_add_co_ci_u32_e32 v70, vcc_lo, s9, v70, vcc_lo
	global_load_b64 v[67:68], v[67:68], off
	v_lshlrev_b64 v[73:74], 3, v[6:7]
	v_dual_fmac_f32 v15, v45, v44 :: v_dual_add_nc_u32 v6, 6, v23
	global_load_b64 v[22:23], v[69:70], off
	v_add_co_u32 v69, vcc_lo, s8, v71
	v_add_co_ci_u32_e32 v70, vcc_lo, s9, v72, vcc_lo
	v_lshlrev_b64 v[71:72], 3, v[6:7]
	s_waitcnt vmcnt(8)
	v_dual_fmac_f32 v15, v54, v51 :: v_dual_add_nc_u32 v6, -7, v4
	v_add_co_u32 v73, vcc_lo, s8, v73
	global_load_b64 v[69:70], v[69:70], off
	v_lshlrev_b64 v[5:6], 3, v[6:7]
	v_add_co_ci_u32_e32 v74, vcc_lo, s9, v74, vcc_lo
	v_add_co_u32 v71, vcc_lo, s10, v71
	v_add_co_ci_u32_e32 v72, vcc_lo, s11, v72, vcc_lo
	global_load_b64 v[73:74], v[73:74], off
	v_add_co_u32 v5, vcc_lo, s8, v5
	v_add_co_ci_u32_e32 v6, vcc_lo, s9, v6, vcc_lo
	global_load_b64 v[71:72], v[71:72], off
	s_clause 0x1
	global_load_b64 v[5:6], v[5:6], off
	global_load_b64 v[27:28], v[27:28], off
	v_dual_fmac_f32 v14, v30, v33 :: v_dual_fmac_f32 v13, v49, v52
	v_fmac_f32_e32 v15, v53, v52
	v_fma_f32 v3, -v50, v52, v3
	v_fma_f32 v17, -v48, v44, v17
	s_delay_alu instid0(VALU_DEP_4)
	v_fmac_f32_e32 v14, v29, v34
	v_add_nc_u32_e32 v4, 0x150, v4
	v_cmp_ge_i32_e32 vcc_lo, v2, v16
	s_or_b32 s2, vcc_lo, s2
	s_waitcnt vmcnt(12)
	v_fmac_f32_e32 v17, v55, v51
	s_waitcnt vmcnt(10)
	v_fmac_f32_e32 v13, v58, v59
	;; [unrolled: 2-line block ×3, first 2 shown]
	v_fmac_f32_e32 v14, v40, v35
	v_fmac_f32_e32 v3, v57, v59
	v_fma_f32 v17, -v56, v52, v17
	v_fmac_f32_e32 v13, v57, v60
	v_fmac_f32_e32 v15, v61, v60
	;; [unrolled: 1-line block ×3, first 2 shown]
	v_fma_f32 v3, -v58, v60, v3
	s_waitcnt vmcnt(8)
	v_fmac_f32_e32 v17, v63, v59
	s_delay_alu instid0(VALU_DEP_3) | instskip(NEXT) | instid1(VALU_DEP_2)
	v_fmac_f32_e32 v14, v48, v43
	v_fma_f32 v17, -v64, v60, v17
	s_waitcnt vmcnt(6)
	s_delay_alu instid0(VALU_DEP_2) | instskip(SKIP_1) | instid1(VALU_DEP_2)
	v_dual_fmac_f32 v14, v47, v44 :: v_dual_fmac_f32 v3, v65, v67
	v_fmac_f32_e32 v13, v66, v67
	v_fmac_f32_e32 v14, v56, v51
	s_waitcnt vmcnt(5)
	v_fmac_f32_e32 v15, v23, v67
	v_fmac_f32_e32 v8, v37, v35
	;; [unrolled: 1-line block ×4, first 2 shown]
	v_fma_f32 v3, -v66, v68, v3
	v_fmac_f32_e32 v15, v22, v68
	v_fma_f32 v8, -v38, v36, v8
	s_waitcnt vmcnt(4)
	v_fmac_f32_e32 v17, v69, v67
	s_delay_alu instid0(VALU_DEP_2) | instskip(SKIP_1) | instid1(VALU_DEP_3)
	v_fmac_f32_e32 v8, v45, v43
	v_fmac_f32_e32 v14, v64, v59
	v_fma_f32 v18, -v70, v68, v17
	s_delay_alu instid0(VALU_DEP_3) | instskip(NEXT) | instid1(VALU_DEP_3)
	v_fma_f32 v8, -v46, v44, v8
	v_fmac_f32_e32 v14, v63, v60
	s_delay_alu instid0(VALU_DEP_2)
	v_fmac_f32_e32 v8, v53, v51
	s_waitcnt vmcnt(2)
	v_fmac_f32_e32 v3, v73, v71
	v_fmac_f32_e32 v13, v74, v71
	s_waitcnt vmcnt(1)
	v_fmac_f32_e32 v15, v6, v71
	v_fma_f32 v8, -v54, v52, v8
	v_fmac_f32_e32 v14, v70, v67
	s_waitcnt vmcnt(0)
	v_dual_fmac_f32 v18, v27, v71 :: v_dual_fmac_f32 v13, v73, v72
	v_fmac_f32_e32 v15, v5, v72
	v_fmac_f32_e32 v8, v61, v59
	;; [unrolled: 1-line block ×3, first 2 shown]
	v_fma_f32 v17, -v74, v72, v3
	v_fma_f32 v18, -v28, v72, v18
	s_delay_alu instid0(VALU_DEP_4) | instskip(NEXT) | instid1(VALU_DEP_4)
	v_fma_f32 v8, -v62, v60, v8
	v_fmac_f32_e32 v14, v28, v71
	s_delay_alu instid0(VALU_DEP_2) | instskip(NEXT) | instid1(VALU_DEP_2)
	v_fmac_f32_e32 v8, v22, v67
	v_fmac_f32_e32 v14, v27, v72
	s_delay_alu instid0(VALU_DEP_2) | instskip(NEXT) | instid1(VALU_DEP_1)
	v_fma_f32 v8, -v23, v68, v8
	v_fmac_f32_e32 v8, v5, v71
	s_delay_alu instid0(VALU_DEP_1)
	v_fma_f32 v19, -v6, v72, v8
	s_and_not1_b32 exec_lo, exec_lo, s2
	s_cbranch_execnz .LBB101_21
; %bb.22:
	s_or_b32 exec_lo, exec_lo, s2
.LBB101_23:
	s_delay_alu instid0(SALU_CYCLE_1)
	s_or_b32 exec_lo, exec_lo, s3
.LBB101_24:
	v_mbcnt_lo_u32_b32 v2, -1, 0
	s_delay_alu instid0(VALU_DEP_1) | instskip(SKIP_1) | instid1(VALU_DEP_2)
	v_xor_b32_e32 v3, 8, v2
	v_xor_b32_e32 v16, 4, v2
	v_cmp_gt_i32_e32 vcc_lo, 32, v3
	v_cndmask_b32_e32 v3, v2, v3, vcc_lo
	s_delay_alu instid0(VALU_DEP_3) | instskip(SKIP_1) | instid1(VALU_DEP_1)
	v_cmp_gt_i32_e32 vcc_lo, 32, v16
	v_cndmask_b32_e32 v16, v2, v16, vcc_lo
	v_lshlrev_b32_e32 v16, 2, v16
	s_delay_alu instid0(VALU_DEP_4)
	v_lshlrev_b32_e32 v3, 2, v3
	ds_bpermute_b32 v4, v3, v17
	s_waitcnt lgkmcnt(0)
	v_add_f32_e32 v4, v17, v4
	ds_bpermute_b32 v5, v3, v13
	ds_bpermute_b32 v6, v3, v19
	;; [unrolled: 1-line block ×5, first 2 shown]
	s_waitcnt lgkmcnt(3)
	v_dual_add_f32 v5, v13, v5 :: v_dual_add_f32 v6, v19, v6
	s_waitcnt lgkmcnt(1)
	v_dual_add_f32 v7, v15, v7 :: v_dual_add_f32 v8, v18, v8
	s_waitcnt lgkmcnt(0)
	v_add_f32_e32 v3, v14, v3
	ds_bpermute_b32 v13, v16, v4
	ds_bpermute_b32 v14, v16, v5
	;; [unrolled: 1-line block ×6, first 2 shown]
	v_xor_b32_e32 v19, 2, v2
	s_delay_alu instid0(VALU_DEP_1) | instskip(SKIP_2) | instid1(VALU_DEP_1)
	v_cmp_gt_i32_e32 vcc_lo, 32, v19
	s_waitcnt lgkmcnt(5)
	v_dual_cndmask_b32 v19, v2, v19 :: v_dual_add_f32 v4, v4, v13
	v_lshlrev_b32_e32 v19, 2, v19
	s_waitcnt lgkmcnt(3)
	v_dual_add_f32 v5, v5, v14 :: v_dual_add_f32 v6, v6, v15
	s_waitcnt lgkmcnt(1)
	v_dual_add_f32 v13, v7, v17 :: v_dual_add_f32 v14, v8, v18
	s_waitcnt lgkmcnt(0)
	v_add_f32_e32 v15, v3, v16
	ds_bpermute_b32 v3, v19, v4
	ds_bpermute_b32 v7, v19, v5
	;; [unrolled: 1-line block ×6, first 2 shown]
	v_xor_b32_e32 v19, 1, v2
	s_delay_alu instid0(VALU_DEP_1) | instskip(SKIP_3) | instid1(VALU_DEP_2)
	v_cmp_gt_i32_e32 vcc_lo, 32, v19
	v_cndmask_b32_e32 v2, v2, v19, vcc_lo
	v_cmp_eq_u32_e32 vcc_lo, 15, v0
	s_waitcnt lgkmcnt(5)
	v_dual_add_f32 v2, v4, v3 :: v_dual_lshlrev_b32 v19, 2, v2
	s_waitcnt lgkmcnt(4)
	v_add_f32_e32 v5, v5, v7
	s_waitcnt lgkmcnt(0)
	v_dual_add_f32 v7, v6, v8 :: v_dual_add_f32 v4, v15, v18
	v_dual_add_f32 v8, v13, v16 :: v_dual_add_f32 v3, v14, v17
	ds_bpermute_b32 v6, v19, v2
	ds_bpermute_b32 v15, v19, v5
	ds_bpermute_b32 v16, v19, v7
	ds_bpermute_b32 v17, v19, v8
	ds_bpermute_b32 v13, v19, v3
	ds_bpermute_b32 v14, v19, v4
	s_and_b32 exec_lo, exec_lo, vcc_lo
	s_cbranch_execz .LBB101_29
; %bb.25:
	s_load_b64 s[2:3], s[0:1], 0x38
	v_cmp_eq_f32_e32 vcc_lo, 0, v11
	v_cmp_eq_f32_e64 s0, 0, v12
	s_waitcnt lgkmcnt(0)
	v_add_f32_e32 v0, v2, v6
	v_dual_add_f32 v6, v5, v15 :: v_dual_add_f32 v3, v3, v13
	v_dual_add_f32 v2, v7, v16 :: v_dual_add_f32 v5, v8, v17
	v_add_f32_e32 v4, v4, v14
	s_and_b32 s0, vcc_lo, s0
	s_delay_alu instid0(SALU_CYCLE_1) | instskip(NEXT) | instid1(SALU_CYCLE_1)
	s_and_saveexec_b32 s1, s0
	s_xor_b32 s0, exec_lo, s1
	s_cbranch_execz .LBB101_27
; %bb.26:
	v_lshl_add_u32 v7, v1, 1, v1
	v_mul_f32_e64 v11, v6, -v10
	v_mul_f32_e32 v12, v6, v9
	v_mul_f32_e64 v13, v5, -v10
	v_mul_f32_e32 v14, v5, v9
	v_ashrrev_i32_e32 v8, 31, v7
	v_fmac_f32_e32 v11, v9, v0
	v_mul_f32_e64 v5, v4, -v10
	v_dual_mul_f32 v6, v4, v9 :: v_dual_fmac_f32 v13, v9, v2
	s_delay_alu instid0(VALU_DEP_4) | instskip(NEXT) | instid1(VALU_DEP_3)
	v_lshlrev_b64 v[7:8], 3, v[7:8]
	v_dual_fmac_f32 v12, v10, v0 :: v_dual_fmac_f32 v5, v9, v3
	v_fmac_f32_e32 v14, v10, v2
	s_delay_alu instid0(VALU_DEP_4) | instskip(NEXT) | instid1(VALU_DEP_4)
	v_fmac_f32_e32 v6, v10, v3
                                        ; implicit-def: $vgpr9
                                        ; implicit-def: $vgpr10
                                        ; implicit-def: $vgpr2
                                        ; implicit-def: $vgpr3
                                        ; implicit-def: $vgpr4
	v_add_co_u32 v0, vcc_lo, s2, v7
	v_add_co_ci_u32_e32 v1, vcc_lo, s3, v8, vcc_lo
	s_clause 0x1
	global_store_b128 v[0:1], v[11:14], off
	global_store_b64 v[0:1], v[5:6], off offset:16
                                        ; implicit-def: $vgpr11
                                        ; implicit-def: $vgpr12
                                        ; implicit-def: $vgpr1
                                        ; implicit-def: $vgpr0
                                        ; implicit-def: $vgpr6
                                        ; implicit-def: $vgpr5
.LBB101_27:
	s_and_not1_saveexec_b32 s0, s0
	s_cbranch_execz .LBB101_29
; %bb.28:
	v_lshl_add_u32 v7, v1, 1, v1
	v_mul_f32_e64 v21, v5, -v10
	v_mul_f32_e64 v22, v4, -v10
	s_delay_alu instid0(VALU_DEP_3) | instskip(NEXT) | instid1(VALU_DEP_1)
	v_ashrrev_i32_e32 v8, 31, v7
	v_lshlrev_b64 v[7:8], 3, v[7:8]
	s_delay_alu instid0(VALU_DEP_1) | instskip(NEXT) | instid1(VALU_DEP_2)
	v_add_co_u32 v17, vcc_lo, s2, v7
	v_add_co_ci_u32_e32 v18, vcc_lo, s3, v8, vcc_lo
	v_mul_f32_e64 v7, v6, -v10
	v_mul_f32_e32 v6, v6, v9
	s_clause 0x1
	global_load_b128 v[13:16], v[17:18], off
	global_load_b64 v[19:20], v[17:18], off offset:16
	v_fmac_f32_e32 v7, v9, v0
	v_dual_mul_f32 v1, v4, v9 :: v_dual_fmac_f32 v6, v10, v0
	v_mul_f32_e32 v8, v5, v9
	v_fmac_f32_e32 v21, v9, v2
	s_delay_alu instid0(VALU_DEP_3) | instskip(SKIP_1) | instid1(VALU_DEP_3)
	v_fmac_f32_e32 v1, v10, v3
	s_waitcnt vmcnt(1)
	v_dual_fmac_f32 v8, v10, v2 :: v_dual_fmac_f32 v7, v11, v13
	v_fmac_f32_e32 v6, v12, v13
	s_waitcnt vmcnt(0)
	v_fmac_f32_e32 v1, v12, v19
	v_fmac_f32_e32 v21, v11, v15
	;; [unrolled: 1-line block ×3, first 2 shown]
	v_fma_f32 v5, -v12, v14, v7
	v_fmac_f32_e32 v6, v11, v14
	v_dual_fmac_f32 v22, v9, v3 :: v_dual_fmac_f32 v1, v11, v20
	v_fma_f32 v7, -v12, v16, v21
	v_fmac_f32_e32 v8, v11, v16
	s_delay_alu instid0(VALU_DEP_3) | instskip(NEXT) | instid1(VALU_DEP_1)
	v_fmac_f32_e32 v22, v11, v19
	v_fma_f32 v0, -v12, v20, v22
	s_clause 0x1
	global_store_b128 v[17:18], v[5:8], off
	global_store_b64 v[17:18], v[0:1], off offset:16
.LBB101_29:
	s_nop 0
	s_sendmsg sendmsg(MSG_DEALLOC_VGPRS)
	s_endpgm
	.section	.rodata,"a",@progbits
	.p2align	6, 0x0
	.amdhsa_kernel _ZN9rocsparseL19gebsrmvn_3xn_kernelILj128ELj7ELj16E21rocsparse_complex_numIfEEEvi20rocsparse_direction_NS_24const_host_device_scalarIT2_EEPKiS8_PKS5_SA_S6_PS5_21rocsparse_index_base_b
		.amdhsa_group_segment_fixed_size 0
		.amdhsa_private_segment_fixed_size 0
		.amdhsa_kernarg_size 72
		.amdhsa_user_sgpr_count 15
		.amdhsa_user_sgpr_dispatch_ptr 0
		.amdhsa_user_sgpr_queue_ptr 0
		.amdhsa_user_sgpr_kernarg_segment_ptr 1
		.amdhsa_user_sgpr_dispatch_id 0
		.amdhsa_user_sgpr_private_segment_size 0
		.amdhsa_wavefront_size32 1
		.amdhsa_uses_dynamic_stack 0
		.amdhsa_enable_private_segment 0
		.amdhsa_system_sgpr_workgroup_id_x 1
		.amdhsa_system_sgpr_workgroup_id_y 0
		.amdhsa_system_sgpr_workgroup_id_z 0
		.amdhsa_system_sgpr_workgroup_info 0
		.amdhsa_system_vgpr_workitem_id 0
		.amdhsa_next_free_vgpr 75
		.amdhsa_next_free_sgpr 16
		.amdhsa_reserve_vcc 1
		.amdhsa_float_round_mode_32 0
		.amdhsa_float_round_mode_16_64 0
		.amdhsa_float_denorm_mode_32 3
		.amdhsa_float_denorm_mode_16_64 3
		.amdhsa_dx10_clamp 1
		.amdhsa_ieee_mode 1
		.amdhsa_fp16_overflow 0
		.amdhsa_workgroup_processor_mode 1
		.amdhsa_memory_ordered 1
		.amdhsa_forward_progress 0
		.amdhsa_shared_vgpr_count 0
		.amdhsa_exception_fp_ieee_invalid_op 0
		.amdhsa_exception_fp_denorm_src 0
		.amdhsa_exception_fp_ieee_div_zero 0
		.amdhsa_exception_fp_ieee_overflow 0
		.amdhsa_exception_fp_ieee_underflow 0
		.amdhsa_exception_fp_ieee_inexact 0
		.amdhsa_exception_int_div_zero 0
	.end_amdhsa_kernel
	.section	.text._ZN9rocsparseL19gebsrmvn_3xn_kernelILj128ELj7ELj16E21rocsparse_complex_numIfEEEvi20rocsparse_direction_NS_24const_host_device_scalarIT2_EEPKiS8_PKS5_SA_S6_PS5_21rocsparse_index_base_b,"axG",@progbits,_ZN9rocsparseL19gebsrmvn_3xn_kernelILj128ELj7ELj16E21rocsparse_complex_numIfEEEvi20rocsparse_direction_NS_24const_host_device_scalarIT2_EEPKiS8_PKS5_SA_S6_PS5_21rocsparse_index_base_b,comdat
.Lfunc_end101:
	.size	_ZN9rocsparseL19gebsrmvn_3xn_kernelILj128ELj7ELj16E21rocsparse_complex_numIfEEEvi20rocsparse_direction_NS_24const_host_device_scalarIT2_EEPKiS8_PKS5_SA_S6_PS5_21rocsparse_index_base_b, .Lfunc_end101-_ZN9rocsparseL19gebsrmvn_3xn_kernelILj128ELj7ELj16E21rocsparse_complex_numIfEEEvi20rocsparse_direction_NS_24const_host_device_scalarIT2_EEPKiS8_PKS5_SA_S6_PS5_21rocsparse_index_base_b
                                        ; -- End function
	.section	.AMDGPU.csdata,"",@progbits
; Kernel info:
; codeLenInByte = 4712
; NumSgprs: 18
; NumVgprs: 75
; ScratchSize: 0
; MemoryBound: 0
; FloatMode: 240
; IeeeMode: 1
; LDSByteSize: 0 bytes/workgroup (compile time only)
; SGPRBlocks: 2
; VGPRBlocks: 9
; NumSGPRsForWavesPerEU: 18
; NumVGPRsForWavesPerEU: 75
; Occupancy: 16
; WaveLimiterHint : 1
; COMPUTE_PGM_RSRC2:SCRATCH_EN: 0
; COMPUTE_PGM_RSRC2:USER_SGPR: 15
; COMPUTE_PGM_RSRC2:TRAP_HANDLER: 0
; COMPUTE_PGM_RSRC2:TGID_X_EN: 1
; COMPUTE_PGM_RSRC2:TGID_Y_EN: 0
; COMPUTE_PGM_RSRC2:TGID_Z_EN: 0
; COMPUTE_PGM_RSRC2:TIDIG_COMP_CNT: 0
	.section	.text._ZN9rocsparseL19gebsrmvn_3xn_kernelILj128ELj7ELj32E21rocsparse_complex_numIfEEEvi20rocsparse_direction_NS_24const_host_device_scalarIT2_EEPKiS8_PKS5_SA_S6_PS5_21rocsparse_index_base_b,"axG",@progbits,_ZN9rocsparseL19gebsrmvn_3xn_kernelILj128ELj7ELj32E21rocsparse_complex_numIfEEEvi20rocsparse_direction_NS_24const_host_device_scalarIT2_EEPKiS8_PKS5_SA_S6_PS5_21rocsparse_index_base_b,comdat
	.globl	_ZN9rocsparseL19gebsrmvn_3xn_kernelILj128ELj7ELj32E21rocsparse_complex_numIfEEEvi20rocsparse_direction_NS_24const_host_device_scalarIT2_EEPKiS8_PKS5_SA_S6_PS5_21rocsparse_index_base_b ; -- Begin function _ZN9rocsparseL19gebsrmvn_3xn_kernelILj128ELj7ELj32E21rocsparse_complex_numIfEEEvi20rocsparse_direction_NS_24const_host_device_scalarIT2_EEPKiS8_PKS5_SA_S6_PS5_21rocsparse_index_base_b
	.p2align	8
	.type	_ZN9rocsparseL19gebsrmvn_3xn_kernelILj128ELj7ELj32E21rocsparse_complex_numIfEEEvi20rocsparse_direction_NS_24const_host_device_scalarIT2_EEPKiS8_PKS5_SA_S6_PS5_21rocsparse_index_base_b,@function
_ZN9rocsparseL19gebsrmvn_3xn_kernelILj128ELj7ELj32E21rocsparse_complex_numIfEEEvi20rocsparse_direction_NS_24const_host_device_scalarIT2_EEPKiS8_PKS5_SA_S6_PS5_21rocsparse_index_base_b: ; @_ZN9rocsparseL19gebsrmvn_3xn_kernelILj128ELj7ELj32E21rocsparse_complex_numIfEEEvi20rocsparse_direction_NS_24const_host_device_scalarIT2_EEPKiS8_PKS5_SA_S6_PS5_21rocsparse_index_base_b
; %bb.0:
	s_clause 0x2
	s_load_b64 s[12:13], s[0:1], 0x40
	s_load_b64 s[4:5], s[0:1], 0x8
	;; [unrolled: 1-line block ×3, first 2 shown]
	s_waitcnt lgkmcnt(0)
	s_bitcmp1_b32 s13, 0
	v_mov_b32_e32 v9, s4
	s_cselect_b32 s6, -1, 0
	s_delay_alu instid0(SALU_CYCLE_1)
	s_and_b32 vcc_lo, exec_lo, s6
	s_xor_b32 s6, s6, -1
	s_cbranch_vccz .LBB102_15
; %bb.1:
	v_cndmask_b32_e64 v1, 0, 1, s6
	v_mov_b32_e32 v10, s5
	s_and_not1_b32 vcc_lo, exec_lo, s6
	s_cbranch_vccz .LBB102_16
.LBB102_2:
	s_delay_alu instid0(VALU_DEP_2)
	v_cmp_ne_u32_e32 vcc_lo, 1, v1
	v_mov_b32_e32 v11, s2
	s_cbranch_vccz .LBB102_17
.LBB102_3:
	v_cmp_ne_u32_e32 vcc_lo, 1, v1
	v_mov_b32_e32 v12, s3
	s_cbranch_vccnz .LBB102_5
.LBB102_4:
	v_dual_mov_b32 v1, s2 :: v_dual_mov_b32 v2, s3
	flat_load_b32 v12, v[1:2] offset:4
.LBB102_5:
	s_waitcnt vmcnt(0) lgkmcnt(0)
	v_cmp_eq_f32_e32 vcc_lo, 0, v9
	v_cmp_eq_f32_e64 s2, 0, v10
	s_delay_alu instid0(VALU_DEP_1)
	s_and_b32 s4, vcc_lo, s2
	s_mov_b32 s2, -1
	s_and_saveexec_b32 s3, s4
; %bb.6:
	v_cmp_neq_f32_e32 vcc_lo, 1.0, v11
	v_cmp_neq_f32_e64 s2, 0, v12
	s_delay_alu instid0(VALU_DEP_1) | instskip(NEXT) | instid1(SALU_CYCLE_1)
	s_or_b32 s2, vcc_lo, s2
	s_or_not1_b32 s2, s2, exec_lo
; %bb.7:
	s_or_b32 exec_lo, exec_lo, s3
	s_and_saveexec_b32 s3, s2
	s_cbranch_execz .LBB102_29
; %bb.8:
	s_load_b64 s[2:3], s[0:1], 0x0
	v_lshrrev_b32_e32 v1, 5, v0
	s_delay_alu instid0(VALU_DEP_1) | instskip(SKIP_1) | instid1(VALU_DEP_1)
	v_lshl_or_b32 v1, s15, 2, v1
	s_waitcnt lgkmcnt(0)
	v_cmp_gt_i32_e32 vcc_lo, s2, v1
	s_and_b32 exec_lo, exec_lo, vcc_lo
	s_cbranch_execz .LBB102_29
; %bb.9:
	s_load_b256 s[4:11], s[0:1], 0x10
	v_ashrrev_i32_e32 v2, 31, v1
	v_and_b32_e32 v0, 31, v0
	s_cmp_lg_u32 s3, 0
	s_delay_alu instid0(VALU_DEP_2) | instskip(SKIP_1) | instid1(VALU_DEP_1)
	v_lshlrev_b64 v[2:3], 2, v[1:2]
	s_waitcnt lgkmcnt(0)
	v_add_co_u32 v2, vcc_lo, s4, v2
	s_delay_alu instid0(VALU_DEP_2) | instskip(SKIP_4) | instid1(VALU_DEP_2)
	v_add_co_ci_u32_e32 v3, vcc_lo, s5, v3, vcc_lo
	global_load_b64 v[2:3], v[2:3], off
	s_waitcnt vmcnt(0)
	v_subrev_nc_u32_e32 v2, s12, v2
	v_subrev_nc_u32_e32 v16, s12, v3
	v_add_nc_u32_e32 v2, v2, v0
	s_delay_alu instid0(VALU_DEP_1)
	v_cmp_lt_i32_e64 s2, v2, v16
	s_cbranch_scc0 .LBB102_18
; %bb.10:
	v_dual_mov_b32 v13, 0 :: v_dual_mov_b32 v18, 0
	v_dual_mov_b32 v17, 0 :: v_dual_mov_b32 v14, 0
	v_mov_b32_e32 v19, 0
	v_mov_b32_e32 v15, 0
	s_mov_b32 s3, 0
	s_and_saveexec_b32 s4, s2
	s_cbranch_execz .LBB102_14
; %bb.11:
	v_mad_u64_u32 v[3:4], null, v2, 21, 20
	v_dual_mov_b32 v6, 0 :: v_dual_mov_b32 v7, v2
	v_dual_mov_b32 v13, 0 :: v_dual_mov_b32 v18, 0
	;; [unrolled: 1-line block ×3, first 2 shown]
	v_mov_b32_e32 v19, 0
	v_mov_b32_e32 v15, 0
	s_mov_b32 s5, 0
.LBB102_12:                             ; =>This Inner Loop Header: Depth=1
	v_ashrrev_i32_e32 v8, 31, v7
	s_delay_alu instid0(VALU_DEP_1) | instskip(NEXT) | instid1(VALU_DEP_1)
	v_lshlrev_b64 v[4:5], 2, v[7:8]
	v_add_co_u32 v4, vcc_lo, s6, v4
	s_delay_alu instid0(VALU_DEP_2) | instskip(SKIP_3) | instid1(VALU_DEP_2)
	v_add_co_ci_u32_e32 v5, vcc_lo, s7, v5, vcc_lo
	global_load_b32 v8, v[4:5], off
	v_subrev_nc_u32_e32 v5, 20, v3
	v_mov_b32_e32 v4, v6
	v_lshlrev_b64 v[22:23], 3, v[5:6]
	v_subrev_nc_u32_e32 v5, 19, v3
	s_delay_alu instid0(VALU_DEP_3) | instskip(NEXT) | instid1(VALU_DEP_2)
	v_lshlrev_b64 v[24:25], 3, v[3:4]
	v_lshlrev_b64 v[26:27], 3, v[5:6]
	v_subrev_nc_u32_e32 v5, 18, v3
	v_add_co_u32 v22, vcc_lo, s8, v22
	v_add_co_ci_u32_e32 v23, vcc_lo, s9, v23, vcc_lo
	s_delay_alu instid0(VALU_DEP_3) | instskip(SKIP_4) | instid1(VALU_DEP_4)
	v_lshlrev_b64 v[28:29], 3, v[5:6]
	v_subrev_nc_u32_e32 v5, 17, v3
	v_add_co_u32 v24, vcc_lo, s8, v24
	v_add_co_ci_u32_e32 v25, vcc_lo, s9, v25, vcc_lo
	v_add_co_u32 v26, vcc_lo, s8, v26
	v_lshlrev_b64 v[4:5], 3, v[5:6]
	v_add_co_ci_u32_e32 v27, vcc_lo, s9, v27, vcc_lo
	v_add_co_u32 v28, vcc_lo, s8, v28
	v_add_co_ci_u32_e32 v29, vcc_lo, s9, v29, vcc_lo
	s_delay_alu instid0(VALU_DEP_4)
	v_add_co_u32 v4, vcc_lo, s8, v4
	v_add_co_ci_u32_e32 v5, vcc_lo, s9, v5, vcc_lo
	s_clause 0x3
	global_load_b64 v[22:23], v[22:23], off
	global_load_b64 v[26:27], v[26:27], off
	;; [unrolled: 1-line block ×4, first 2 shown]
	v_mov_b32_e32 v21, v6
	s_waitcnt vmcnt(4)
	v_subrev_nc_u32_e32 v4, s12, v8
	s_delay_alu instid0(VALU_DEP_1) | instskip(NEXT) | instid1(VALU_DEP_1)
	v_mul_lo_u32 v20, v4, 7
	v_lshlrev_b64 v[32:33], 3, v[20:21]
	v_add_nc_u32_e32 v5, 1, v20
	s_delay_alu instid0(VALU_DEP_1) | instskip(NEXT) | instid1(VALU_DEP_3)
	v_lshlrev_b64 v[34:35], 3, v[5:6]
	v_add_co_u32 v32, vcc_lo, s10, v32
	s_delay_alu instid0(VALU_DEP_4) | instskip(NEXT) | instid1(VALU_DEP_3)
	v_add_co_ci_u32_e32 v33, vcc_lo, s11, v33, vcc_lo
	v_add_co_u32 v34, vcc_lo, s10, v34
	global_load_b64 v[32:33], v[32:33], off
	v_add_co_ci_u32_e32 v35, vcc_lo, s11, v35, vcc_lo
	global_load_b64 v[34:35], v[34:35], off
	s_waitcnt vmcnt(1)
	v_dual_fmac_f32 v14, v29, v32 :: v_dual_add_nc_u32 v5, -16, v3
	s_delay_alu instid0(VALU_DEP_1) | instskip(SKIP_4) | instid1(VALU_DEP_4)
	v_lshlrev_b64 v[36:37], 3, v[5:6]
	v_add_nc_u32_e32 v5, -15, v3
	v_fmac_f32_e32 v17, v22, v32
	v_fmac_f32_e32 v18, v28, v32
	v_dual_fmac_f32 v14, v28, v33 :: v_dual_fmac_f32 v15, v27, v32
	v_lshlrev_b64 v[38:39], 3, v[5:6]
	v_add_co_u32 v36, vcc_lo, s8, v36
	v_add_co_ci_u32_e32 v37, vcc_lo, s9, v37, vcc_lo
	v_fma_f32 v8, -v23, v33, v17
	s_delay_alu instid0(VALU_DEP_4)
	v_add_co_u32 v38, vcc_lo, s8, v38
	v_add_co_ci_u32_e32 v39, vcc_lo, s9, v39, vcc_lo
	global_load_b64 v[36:37], v[36:37], off
	s_waitcnt vmcnt(1)
	v_dual_fmac_f32 v8, v30, v34 :: v_dual_add_nc_u32 v5, -14, v3
	global_load_b64 v[38:39], v[38:39], off
	v_fma_f32 v18, -v29, v33, v18
	v_fmac_f32_e32 v15, v26, v33
	v_lshlrev_b64 v[40:41], 3, v[5:6]
	v_fma_f32 v8, -v31, v35, v8
	s_delay_alu instid0(VALU_DEP_2) | instskip(NEXT) | instid1(VALU_DEP_3)
	v_add_co_u32 v40, vcc_lo, s8, v40
	v_add_co_ci_u32_e32 v41, vcc_lo, s9, v41, vcc_lo
	global_load_b64 v[40:41], v[40:41], off
	v_add_nc_u32_e32 v5, 2, v20
	s_waitcnt vmcnt(2)
	v_fmac_f32_e32 v15, v37, v34
	s_waitcnt vmcnt(1)
	v_fmac_f32_e32 v18, v38, v34
	v_lshlrev_b64 v[42:43], 3, v[5:6]
	v_dual_fmac_f32 v14, v39, v34 :: v_dual_add_nc_u32 v5, -13, v3
	v_fmac_f32_e32 v15, v36, v35
	s_delay_alu instid0(VALU_DEP_4) | instskip(NEXT) | instid1(VALU_DEP_4)
	v_fma_f32 v18, -v39, v35, v18
	v_add_co_u32 v42, vcc_lo, s10, v42
	v_add_co_ci_u32_e32 v43, vcc_lo, s11, v43, vcc_lo
	v_lshlrev_b64 v[44:45], 3, v[5:6]
	v_fmac_f32_e32 v14, v38, v35
	global_load_b64 v[42:43], v[42:43], off
	v_add_nc_u32_e32 v5, -12, v3
	v_add_co_u32 v44, vcc_lo, s8, v44
	v_add_co_ci_u32_e32 v45, vcc_lo, s9, v45, vcc_lo
	global_load_b64 v[44:45], v[44:45], off
	s_waitcnt vmcnt(1)
	v_fmac_f32_e32 v8, v40, v42
	v_lshlrev_b64 v[46:47], 3, v[5:6]
	s_delay_alu instid0(VALU_DEP_2) | instskip(NEXT) | instid1(VALU_DEP_2)
	v_fma_f32 v8, -v41, v43, v8
	v_add_co_u32 v46, vcc_lo, s8, v46
	s_delay_alu instid0(VALU_DEP_3) | instskip(SKIP_2) | instid1(VALU_DEP_1)
	v_add_co_ci_u32_e32 v47, vcc_lo, s9, v47, vcc_lo
	global_load_b64 v[46:47], v[46:47], off
	v_add_nc_u32_e32 v5, -11, v3
	v_lshlrev_b64 v[48:49], 3, v[5:6]
	v_add_nc_u32_e32 v5, 3, v20
	s_delay_alu instid0(VALU_DEP_1) | instskip(NEXT) | instid1(VALU_DEP_3)
	v_lshlrev_b64 v[50:51], 3, v[5:6]
	v_add_co_u32 v48, vcc_lo, s8, v48
	s_delay_alu instid0(VALU_DEP_4) | instskip(NEXT) | instid1(VALU_DEP_3)
	v_add_co_ci_u32_e32 v49, vcc_lo, s9, v49, vcc_lo
	v_add_co_u32 v50, vcc_lo, s10, v50
	s_delay_alu instid0(VALU_DEP_4)
	v_add_co_ci_u32_e32 v51, vcc_lo, s11, v51, vcc_lo
	global_load_b64 v[48:49], v[48:49], off
	v_add_nc_u32_e32 v5, -10, v3
	s_waitcnt vmcnt(2)
	v_fmac_f32_e32 v15, v45, v42
	global_load_b64 v[50:51], v[50:51], off
	s_waitcnt vmcnt(2)
	v_dual_fmac_f32 v15, v44, v43 :: v_dual_fmac_f32 v14, v47, v42
	v_lshlrev_b64 v[52:53], 3, v[5:6]
	v_dual_fmac_f32 v18, v46, v42 :: v_dual_add_nc_u32 v5, -9, v3
	s_delay_alu instid0(VALU_DEP_3) | instskip(NEXT) | instid1(VALU_DEP_3)
	v_fmac_f32_e32 v14, v46, v43
	v_add_co_u32 v52, vcc_lo, s8, v52
	s_delay_alu instid0(VALU_DEP_4) | instskip(NEXT) | instid1(VALU_DEP_4)
	v_add_co_ci_u32_e32 v53, vcc_lo, s9, v53, vcc_lo
	v_fma_f32 v18, -v47, v43, v18
	global_load_b64 v[52:53], v[52:53], off
	s_waitcnt vmcnt(1)
	v_fmac_f32_e32 v8, v48, v50
	v_lshlrev_b64 v[54:55], 3, v[5:6]
	s_delay_alu instid0(VALU_DEP_2) | instskip(NEXT) | instid1(VALU_DEP_2)
	v_fma_f32 v8, -v49, v51, v8
	v_add_co_u32 v54, vcc_lo, s8, v54
	s_delay_alu instid0(VALU_DEP_3) | instskip(SKIP_2) | instid1(VALU_DEP_1)
	v_add_co_ci_u32_e32 v55, vcc_lo, s9, v55, vcc_lo
	global_load_b64 v[54:55], v[54:55], off
	v_add_nc_u32_e32 v5, -8, v3
	v_lshlrev_b64 v[56:57], 3, v[5:6]
	v_add_nc_u32_e32 v5, 4, v20
	s_delay_alu instid0(VALU_DEP_1) | instskip(NEXT) | instid1(VALU_DEP_3)
	v_lshlrev_b64 v[58:59], 3, v[5:6]
	v_add_co_u32 v56, vcc_lo, s8, v56
	s_delay_alu instid0(VALU_DEP_4) | instskip(NEXT) | instid1(VALU_DEP_3)
	v_add_co_ci_u32_e32 v57, vcc_lo, s9, v57, vcc_lo
	v_add_co_u32 v58, vcc_lo, s10, v58
	s_delay_alu instid0(VALU_DEP_4)
	v_add_co_ci_u32_e32 v59, vcc_lo, s11, v59, vcc_lo
	global_load_b64 v[56:57], v[56:57], off
	v_add_nc_u32_e32 v5, -7, v3
	global_load_b64 v[58:59], v[58:59], off
	s_waitcnt vmcnt(3)
	v_fmac_f32_e32 v15, v53, v50
	s_waitcnt vmcnt(2)
	s_delay_alu instid0(VALU_DEP_1) | instskip(SKIP_2) | instid1(VALU_DEP_3)
	v_dual_fmac_f32 v15, v52, v51 :: v_dual_fmac_f32 v14, v55, v50
	v_lshlrev_b64 v[60:61], 3, v[5:6]
	v_dual_fmac_f32 v18, v54, v50 :: v_dual_add_nc_u32 v5, -6, v3
	v_fmac_f32_e32 v14, v54, v51
	s_delay_alu instid0(VALU_DEP_3) | instskip(NEXT) | instid1(VALU_DEP_4)
	v_add_co_u32 v60, vcc_lo, s8, v60
	v_add_co_ci_u32_e32 v61, vcc_lo, s9, v61, vcc_lo
	s_delay_alu instid0(VALU_DEP_4) | instskip(SKIP_4) | instid1(VALU_DEP_2)
	v_fma_f32 v18, -v55, v51, v18
	global_load_b64 v[60:61], v[60:61], off
	s_waitcnt vmcnt(1)
	v_fmac_f32_e32 v8, v56, v58
	v_lshlrev_b64 v[62:63], 3, v[5:6]
	v_fma_f32 v8, -v57, v59, v8
	s_delay_alu instid0(VALU_DEP_2) | instskip(NEXT) | instid1(VALU_DEP_3)
	v_add_co_u32 v62, vcc_lo, s8, v62
	v_add_co_ci_u32_e32 v63, vcc_lo, s9, v63, vcc_lo
	global_load_b64 v[62:63], v[62:63], off
	v_add_nc_u32_e32 v5, -5, v3
	s_delay_alu instid0(VALU_DEP_1) | instskip(SKIP_1) | instid1(VALU_DEP_1)
	v_lshlrev_b64 v[64:65], 3, v[5:6]
	v_add_nc_u32_e32 v5, 5, v20
	v_lshlrev_b64 v[66:67], 3, v[5:6]
	s_delay_alu instid0(VALU_DEP_3) | instskip(NEXT) | instid1(VALU_DEP_4)
	v_add_co_u32 v64, vcc_lo, s8, v64
	v_add_co_ci_u32_e32 v65, vcc_lo, s9, v65, vcc_lo
	s_delay_alu instid0(VALU_DEP_3) | instskip(NEXT) | instid1(VALU_DEP_4)
	v_add_co_u32 v66, vcc_lo, s10, v66
	v_add_co_ci_u32_e32 v67, vcc_lo, s11, v67, vcc_lo
	global_load_b64 v[64:65], v[64:65], off
	v_add_nc_u32_e32 v5, -4, v3
	global_load_b64 v[66:67], v[66:67], off
	s_waitcnt vmcnt(3)
	v_fmac_f32_e32 v15, v61, v58
	s_waitcnt vmcnt(2)
	s_delay_alu instid0(VALU_DEP_1) | instskip(SKIP_2) | instid1(VALU_DEP_3)
	v_dual_fmac_f32 v15, v60, v59 :: v_dual_fmac_f32 v14, v63, v58
	v_lshlrev_b64 v[68:69], 3, v[5:6]
	v_dual_fmac_f32 v18, v62, v58 :: v_dual_add_nc_u32 v5, -3, v3
	v_fmac_f32_e32 v14, v62, v59
	s_delay_alu instid0(VALU_DEP_3) | instskip(NEXT) | instid1(VALU_DEP_4)
	v_add_co_u32 v68, vcc_lo, s8, v68
	v_add_co_ci_u32_e32 v69, vcc_lo, s9, v69, vcc_lo
	s_delay_alu instid0(VALU_DEP_4) | instskip(SKIP_4) | instid1(VALU_DEP_3)
	v_fma_f32 v18, -v63, v59, v18
	s_waitcnt vmcnt(0)
	v_fmac_f32_e32 v8, v64, v66
	v_lshlrev_b64 v[70:71], 3, v[5:6]
	v_add_nc_u32_e32 v5, -2, v3
	v_fma_f32 v8, -v65, v67, v8
	s_delay_alu instid0(VALU_DEP_2)
	v_lshlrev_b64 v[72:73], 3, v[5:6]
	v_add_nc_u32_e32 v5, 6, v20
	global_load_b64 v[20:21], v[68:69], off
	v_add_co_u32 v68, vcc_lo, s8, v70
	v_add_co_ci_u32_e32 v69, vcc_lo, s9, v71, vcc_lo
	v_add_co_u32 v72, vcc_lo, s8, v72
	v_add_co_ci_u32_e32 v73, vcc_lo, s9, v73, vcc_lo
	global_load_b64 v[68:69], v[68:69], off
	v_lshlrev_b64 v[70:71], 3, v[5:6]
	global_load_b64 v[72:73], v[72:73], off
	v_add_nc_u32_e32 v5, -1, v3
	v_add_co_u32 v70, vcc_lo, s10, v70
	v_add_co_ci_u32_e32 v71, vcc_lo, s11, v71, vcc_lo
	s_waitcnt vmcnt(2)
	v_fmac_f32_e32 v15, v21, v66
	s_waitcnt vmcnt(1)
	s_delay_alu instid0(VALU_DEP_1) | instskip(SKIP_2) | instid1(VALU_DEP_3)
	v_dual_fmac_f32 v15, v20, v67 :: v_dual_fmac_f32 v14, v69, v66
	v_lshlrev_b64 v[4:5], 3, v[5:6]
	v_fmac_f32_e32 v18, v68, v66
	v_fmac_f32_e32 v14, v68, v67
	s_delay_alu instid0(VALU_DEP_3) | instskip(NEXT) | instid1(VALU_DEP_4)
	v_add_co_u32 v4, vcc_lo, s8, v4
	v_add_co_ci_u32_e32 v5, vcc_lo, s9, v5, vcc_lo
	global_load_b64 v[70:71], v[70:71], off
	s_clause 0x1
	global_load_b64 v[4:5], v[4:5], off
	global_load_b64 v[24:25], v[24:25], off
	v_fmac_f32_e32 v13, v23, v32
	v_fma_f32 v18, -v69, v67, v18
	v_add_nc_u32_e32 v7, 32, v7
	s_waitcnt vmcnt(2)
	v_dual_fmac_f32 v8, v72, v70 :: v_dual_add_nc_u32 v3, 0x2a0, v3
	s_waitcnt vmcnt(1)
	v_fmac_f32_e32 v15, v5, v70
	s_waitcnt vmcnt(0)
	v_fmac_f32_e32 v18, v24, v70
	v_dual_fmac_f32 v14, v25, v70 :: v_dual_fmac_f32 v19, v26, v32
	v_fmac_f32_e32 v13, v22, v33
	v_cmp_ge_i32_e32 vcc_lo, v7, v16
	v_fmac_f32_e32 v15, v4, v71
	s_delay_alu instid0(VALU_DEP_4) | instskip(SKIP_4) | instid1(VALU_DEP_3)
	v_fmac_f32_e32 v14, v24, v71
	v_fma_f32 v17, -v27, v33, v19
	v_fmac_f32_e32 v13, v31, v34
	v_fma_f32 v18, -v25, v71, v18
	s_or_b32 s5, vcc_lo, s5
	v_fmac_f32_e32 v17, v36, v34
	s_delay_alu instid0(VALU_DEP_3) | instskip(NEXT) | instid1(VALU_DEP_2)
	v_fmac_f32_e32 v13, v30, v35
	v_fma_f32 v17, -v37, v35, v17
	s_delay_alu instid0(VALU_DEP_2) | instskip(NEXT) | instid1(VALU_DEP_2)
	v_fmac_f32_e32 v13, v41, v42
	v_fmac_f32_e32 v17, v44, v42
	s_delay_alu instid0(VALU_DEP_2) | instskip(NEXT) | instid1(VALU_DEP_2)
	v_fmac_f32_e32 v13, v40, v43
	v_fma_f32 v17, -v45, v43, v17
	s_delay_alu instid0(VALU_DEP_2) | instskip(NEXT) | instid1(VALU_DEP_2)
	v_fmac_f32_e32 v13, v49, v50
	v_fmac_f32_e32 v17, v52, v50
	s_delay_alu instid0(VALU_DEP_2) | instskip(NEXT) | instid1(VALU_DEP_2)
	;; [unrolled: 6-line block ×4, first 2 shown]
	v_fmac_f32_e32 v13, v64, v67
	v_fma_f32 v19, -v21, v67, v17
	s_delay_alu instid0(VALU_DEP_2) | instskip(SKIP_1) | instid1(VALU_DEP_3)
	v_fmac_f32_e32 v13, v73, v70
	v_fma_f32 v17, -v73, v71, v8
	v_fmac_f32_e32 v19, v4, v70
	s_delay_alu instid0(VALU_DEP_3) | instskip(NEXT) | instid1(VALU_DEP_2)
	v_fmac_f32_e32 v13, v72, v71
	v_fma_f32 v19, -v5, v71, v19
	s_and_not1_b32 exec_lo, exec_lo, s5
	s_cbranch_execnz .LBB102_12
; %bb.13:
	s_or_b32 exec_lo, exec_lo, s5
.LBB102_14:
	s_delay_alu instid0(SALU_CYCLE_1) | instskip(NEXT) | instid1(SALU_CYCLE_1)
	s_or_b32 exec_lo, exec_lo, s4
	s_and_not1_b32 vcc_lo, exec_lo, s3
	s_cbranch_vccz .LBB102_19
	s_branch .LBB102_24
.LBB102_15:
	v_dual_mov_b32 v1, s4 :: v_dual_mov_b32 v2, s5
	flat_load_b32 v9, v[1:2]
	v_cndmask_b32_e64 v1, 0, 1, s6
	v_mov_b32_e32 v10, s5
	s_and_not1_b32 vcc_lo, exec_lo, s6
	s_cbranch_vccnz .LBB102_2
.LBB102_16:
	v_dual_mov_b32 v2, s4 :: v_dual_mov_b32 v3, s5
	flat_load_b32 v10, v[2:3] offset:4
	v_cmp_ne_u32_e32 vcc_lo, 1, v1
	v_mov_b32_e32 v11, s2
	s_cbranch_vccnz .LBB102_3
.LBB102_17:
	v_dual_mov_b32 v2, s2 :: v_dual_mov_b32 v3, s3
	flat_load_b32 v11, v[2:3]
	v_cmp_ne_u32_e32 vcc_lo, 1, v1
	v_mov_b32_e32 v12, s3
	s_cbranch_vccz .LBB102_4
	s_branch .LBB102_5
.LBB102_18:
                                        ; implicit-def: $vgpr13
                                        ; implicit-def: $vgpr17
                                        ; implicit-def: $vgpr18
                                        ; implicit-def: $vgpr14
                                        ; implicit-def: $vgpr19
                                        ; implicit-def: $vgpr15
.LBB102_19:
	v_dual_mov_b32 v13, 0 :: v_dual_mov_b32 v18, 0
	v_dual_mov_b32 v17, 0 :: v_dual_mov_b32 v14, 0
	v_mov_b32_e32 v19, 0
	v_mov_b32_e32 v15, 0
	s_and_saveexec_b32 s3, s2
	s_cbranch_execz .LBB102_23
; %bb.20:
	v_mad_u64_u32 v[4:5], null, v2, 21, 20
	v_dual_mov_b32 v7, 0 :: v_dual_mov_b32 v18, 0
	v_dual_mov_b32 v13, 0 :: v_dual_mov_b32 v14, 0
	v_mov_b32_e32 v17, 0
	v_mov_b32_e32 v19, 0
	;; [unrolled: 1-line block ×3, first 2 shown]
	s_mov_b32 s2, 0
.LBB102_21:                             ; =>This Inner Loop Header: Depth=1
	v_ashrrev_i32_e32 v3, 31, v2
	v_dual_mov_b32 v21, v7 :: v_dual_add_nc_u32 v20, -13, v4
	v_dual_mov_b32 v23, v7 :: v_dual_add_nc_u32 v22, -6, v4
	s_delay_alu instid0(VALU_DEP_3) | instskip(NEXT) | instid1(VALU_DEP_3)
	v_lshlrev_b64 v[5:6], 2, v[2:3]
	v_lshlrev_b64 v[20:21], 3, v[20:21]
	s_delay_alu instid0(VALU_DEP_3) | instskip(NEXT) | instid1(VALU_DEP_3)
	v_lshlrev_b64 v[22:23], 3, v[22:23]
	v_add_co_u32 v5, vcc_lo, s6, v5
	s_delay_alu instid0(VALU_DEP_4) | instskip(SKIP_3) | instid1(VALU_DEP_2)
	v_add_co_ci_u32_e32 v6, vcc_lo, s7, v6, vcc_lo
	global_load_b32 v3, v[5:6], off
	v_subrev_nc_u32_e32 v6, 20, v4
	v_mov_b32_e32 v5, v7
	v_lshlrev_b64 v[25:26], 3, v[6:7]
	v_subrev_nc_u32_e32 v6, 19, v4
	s_delay_alu instid0(VALU_DEP_3) | instskip(NEXT) | instid1(VALU_DEP_2)
	v_lshlrev_b64 v[27:28], 3, v[4:5]
	v_lshlrev_b64 v[5:6], 3, v[6:7]
	s_delay_alu instid0(VALU_DEP_4)
	v_add_co_u32 v25, vcc_lo, s8, v25
	v_add_co_ci_u32_e32 v26, vcc_lo, s9, v26, vcc_lo
	v_add_co_u32 v20, vcc_lo, s8, v20
	v_add_co_ci_u32_e32 v21, vcc_lo, s9, v21, vcc_lo
	;; [unrolled: 2-line block ×5, first 2 shown]
	s_clause 0x3
	global_load_b64 v[25:26], v[25:26], off
	global_load_b64 v[20:21], v[20:21], off
	;; [unrolled: 1-line block ×4, first 2 shown]
	v_mov_b32_e32 v24, v7
	s_waitcnt vmcnt(4)
	v_subrev_nc_u32_e32 v3, s12, v3
	s_delay_alu instid0(VALU_DEP_1) | instskip(NEXT) | instid1(VALU_DEP_1)
	v_mul_lo_u32 v23, v3, 7
	v_lshlrev_b64 v[33:34], 3, v[23:24]
	v_add_nc_u32_e32 v6, 1, v23
	s_delay_alu instid0(VALU_DEP_1) | instskip(NEXT) | instid1(VALU_DEP_3)
	v_lshlrev_b64 v[35:36], 3, v[6:7]
	v_add_co_u32 v33, vcc_lo, s10, v33
	s_delay_alu instid0(VALU_DEP_4) | instskip(NEXT) | instid1(VALU_DEP_3)
	v_add_co_ci_u32_e32 v34, vcc_lo, s11, v34, vcc_lo
	v_add_co_u32 v35, vcc_lo, s10, v35
	global_load_b64 v[33:34], v[33:34], off
	v_add_co_ci_u32_e32 v36, vcc_lo, s11, v36, vcc_lo
	global_load_b64 v[35:36], v[35:36], off
	s_waitcnt vmcnt(1)
	v_dual_fmac_f32 v13, v26, v33 :: v_dual_add_nc_u32 v6, -12, v4
	s_delay_alu instid0(VALU_DEP_1) | instskip(SKIP_4) | instid1(VALU_DEP_4)
	v_lshlrev_b64 v[37:38], 3, v[6:7]
	v_dual_fmac_f32 v19, v20, v33 :: v_dual_add_nc_u32 v6, -5, v4
	v_fmac_f32_e32 v17, v25, v33
	v_fmac_f32_e32 v18, v29, v33
	;; [unrolled: 1-line block ×3, first 2 shown]
	v_lshlrev_b64 v[39:40], 3, v[6:7]
	v_subrev_nc_u32_e32 v6, 18, v4
	v_add_co_u32 v37, vcc_lo, s8, v37
	v_add_co_ci_u32_e32 v38, vcc_lo, s9, v38, vcc_lo
	s_delay_alu instid0(VALU_DEP_3)
	v_lshlrev_b64 v[41:42], 3, v[6:7]
	v_add_nc_u32_e32 v6, 2, v23
	v_add_co_u32 v39, vcc_lo, s8, v39
	global_load_b64 v[37:38], v[37:38], off
	v_add_co_ci_u32_e32 v40, vcc_lo, s9, v40, vcc_lo
	v_lshlrev_b64 v[43:44], 3, v[6:7]
	v_add_co_u32 v41, vcc_lo, s8, v41
	global_load_b64 v[39:40], v[39:40], off
	v_dual_fmac_f32 v13, v25, v34 :: v_dual_add_nc_u32 v6, -11, v4
	v_add_co_ci_u32_e32 v42, vcc_lo, s9, v42, vcc_lo
	v_add_co_u32 v43, vcc_lo, s10, v43
	v_add_co_ci_u32_e32 v44, vcc_lo, s11, v44, vcc_lo
	s_delay_alu instid0(VALU_DEP_4)
	v_lshlrev_b64 v[45:46], 3, v[6:7]
	v_dual_fmac_f32 v15, v20, v34 :: v_dual_add_nc_u32 v6, -4, v4
	global_load_b64 v[41:42], v[41:42], off
	global_load_b64 v[43:44], v[43:44], off
	s_waitcnt vmcnt(4)
	v_dual_fmac_f32 v13, v32, v35 :: v_dual_add_nc_u32 v2, 32, v2
	v_add_co_u32 v45, vcc_lo, s8, v45
	v_lshlrev_b64 v[47:48], 3, v[6:7]
	v_subrev_nc_u32_e32 v6, 17, v4
	v_add_co_ci_u32_e32 v46, vcc_lo, s9, v46, vcc_lo
	v_fmac_f32_e32 v13, v31, v36
	v_fma_f32 v3, -v26, v34, v17
	s_delay_alu instid0(VALU_DEP_4)
	v_lshlrev_b64 v[49:50], 3, v[6:7]
	v_add_nc_u32_e32 v6, 3, v23
	global_load_b64 v[45:46], v[45:46], off
	v_add_co_u32 v47, vcc_lo, s8, v47
	v_add_co_ci_u32_e32 v48, vcc_lo, s9, v48, vcc_lo
	v_lshlrev_b64 v[51:52], 3, v[6:7]
	v_add_co_u32 v49, vcc_lo, s8, v49
	global_load_b64 v[47:48], v[47:48], off
	v_add_co_ci_u32_e32 v50, vcc_lo, s9, v50, vcc_lo
	v_add_co_u32 v51, vcc_lo, s10, v51
	v_add_co_ci_u32_e32 v52, vcc_lo, s11, v52, vcc_lo
	global_load_b64 v[49:50], v[49:50], off
	v_dual_fmac_f32 v3, v31, v35 :: v_dual_add_nc_u32 v6, -10, v4
	global_load_b64 v[51:52], v[51:52], off
	v_fma_f32 v17, -v30, v34, v18
	v_fma_f32 v8, -v21, v34, v19
	v_lshlrev_b64 v[53:54], 3, v[6:7]
	v_add_nc_u32_e32 v6, -3, v4
	v_fma_f32 v3, -v32, v36, v3
	s_delay_alu instid0(VALU_DEP_3) | instskip(NEXT) | instid1(VALU_DEP_4)
	v_add_co_u32 v53, vcc_lo, s8, v53
	v_add_co_ci_u32_e32 v54, vcc_lo, s9, v54, vcc_lo
	global_load_b64 v[53:54], v[53:54], off
	s_waitcnt vmcnt(8)
	v_fmac_f32_e32 v15, v38, v35
	v_lshlrev_b64 v[55:56], 3, v[6:7]
	v_add_nc_u32_e32 v6, -16, v4
	s_delay_alu instid0(VALU_DEP_3) | instskip(SKIP_2) | instid1(VALU_DEP_3)
	v_fmac_f32_e32 v15, v37, v36
	s_waitcnt vmcnt(7)
	v_fmac_f32_e32 v17, v39, v35
	v_lshlrev_b64 v[57:58], 3, v[6:7]
	v_add_nc_u32_e32 v6, 4, v23
	v_add_co_u32 v55, vcc_lo, s8, v55
	v_add_co_ci_u32_e32 v56, vcc_lo, s9, v56, vcc_lo
	s_delay_alu instid0(VALU_DEP_3)
	v_lshlrev_b64 v[59:60], 3, v[6:7]
	v_add_nc_u32_e32 v6, -9, v4
	v_add_co_u32 v57, vcc_lo, s8, v57
	v_add_co_ci_u32_e32 v58, vcc_lo, s9, v58, vcc_lo
	s_waitcnt vmcnt(5)
	v_fmac_f32_e32 v3, v41, v43
	v_lshlrev_b64 v[61:62], 3, v[6:7]
	v_dual_fmac_f32 v13, v42, v43 :: v_dual_add_nc_u32 v6, -2, v4
	v_add_co_u32 v59, vcc_lo, s10, v59
	v_add_co_ci_u32_e32 v60, vcc_lo, s11, v60, vcc_lo
	s_delay_alu instid0(VALU_DEP_3)
	v_lshlrev_b64 v[63:64], 3, v[6:7]
	v_add_nc_u32_e32 v6, -15, v4
	v_add_co_u32 v61, vcc_lo, s8, v61
	v_add_co_ci_u32_e32 v62, vcc_lo, s9, v62, vcc_lo
	s_waitcnt vmcnt(4)
	v_fmac_f32_e32 v15, v46, v43
	v_lshlrev_b64 v[65:66], 3, v[6:7]
	v_dual_fmac_f32 v13, v41, v44 :: v_dual_add_nc_u32 v6, 5, v23
	v_fma_f32 v17, -v40, v36, v17
	v_add_co_u32 v63, vcc_lo, s8, v63
	s_delay_alu instid0(VALU_DEP_3) | instskip(SKIP_1) | instid1(VALU_DEP_3)
	v_lshlrev_b64 v[67:68], 3, v[6:7]
	s_waitcnt vmcnt(3)
	v_dual_fmac_f32 v17, v47, v43 :: v_dual_add_nc_u32 v6, -8, v4
	s_clause 0x1
	global_load_b64 v[55:56], v[55:56], off
	global_load_b64 v[57:58], v[57:58], off
	;; [unrolled: 1-line block ×4, first 2 shown]
	v_add_co_ci_u32_e32 v64, vcc_lo, s9, v64, vcc_lo
	v_add_co_u32 v65, vcc_lo, s8, v65
	v_lshlrev_b64 v[69:70], 3, v[6:7]
	global_load_b64 v[63:64], v[63:64], off
	v_add_co_ci_u32_e32 v66, vcc_lo, s9, v66, vcc_lo
	v_add_co_u32 v67, vcc_lo, s10, v67
	v_fma_f32 v3, -v42, v44, v3
	global_load_b64 v[65:66], v[65:66], off
	v_add_nc_u32_e32 v6, -1, v4
	v_add_co_ci_u32_e32 v68, vcc_lo, s11, v68, vcc_lo
	s_waitcnt vmcnt(7)
	v_fmac_f32_e32 v3, v49, v51
	v_add_co_u32 v69, vcc_lo, s8, v69
	v_lshlrev_b64 v[71:72], 3, v[6:7]
	v_dual_fmac_f32 v13, v50, v51 :: v_dual_add_nc_u32 v6, -14, v4
	v_add_co_ci_u32_e32 v70, vcc_lo, s9, v70, vcc_lo
	global_load_b64 v[67:68], v[67:68], off
	v_lshlrev_b64 v[73:74], 3, v[6:7]
	v_dual_fmac_f32 v15, v45, v44 :: v_dual_add_nc_u32 v6, 6, v23
	global_load_b64 v[22:23], v[69:70], off
	v_add_co_u32 v69, vcc_lo, s8, v71
	v_add_co_ci_u32_e32 v70, vcc_lo, s9, v72, vcc_lo
	v_lshlrev_b64 v[71:72], 3, v[6:7]
	s_waitcnt vmcnt(8)
	v_dual_fmac_f32 v15, v54, v51 :: v_dual_add_nc_u32 v6, -7, v4
	v_add_co_u32 v73, vcc_lo, s8, v73
	global_load_b64 v[69:70], v[69:70], off
	v_lshlrev_b64 v[5:6], 3, v[6:7]
	v_add_co_ci_u32_e32 v74, vcc_lo, s9, v74, vcc_lo
	v_add_co_u32 v71, vcc_lo, s10, v71
	v_add_co_ci_u32_e32 v72, vcc_lo, s11, v72, vcc_lo
	global_load_b64 v[73:74], v[73:74], off
	v_add_co_u32 v5, vcc_lo, s8, v5
	v_add_co_ci_u32_e32 v6, vcc_lo, s9, v6, vcc_lo
	global_load_b64 v[71:72], v[71:72], off
	s_clause 0x1
	global_load_b64 v[5:6], v[5:6], off
	global_load_b64 v[27:28], v[27:28], off
	v_dual_fmac_f32 v14, v30, v33 :: v_dual_fmac_f32 v13, v49, v52
	v_fmac_f32_e32 v15, v53, v52
	v_fma_f32 v3, -v50, v52, v3
	v_fma_f32 v17, -v48, v44, v17
	s_delay_alu instid0(VALU_DEP_4)
	v_fmac_f32_e32 v14, v29, v34
	v_add_nc_u32_e32 v4, 0x2a0, v4
	v_cmp_ge_i32_e32 vcc_lo, v2, v16
	s_or_b32 s2, vcc_lo, s2
	s_waitcnt vmcnt(12)
	v_fmac_f32_e32 v17, v55, v51
	s_waitcnt vmcnt(10)
	v_fmac_f32_e32 v13, v58, v59
	;; [unrolled: 2-line block ×3, first 2 shown]
	v_fmac_f32_e32 v14, v40, v35
	v_fmac_f32_e32 v3, v57, v59
	v_fma_f32 v17, -v56, v52, v17
	v_fmac_f32_e32 v13, v57, v60
	v_fmac_f32_e32 v15, v61, v60
	v_fmac_f32_e32 v14, v39, v36
	v_fma_f32 v3, -v58, v60, v3
	s_waitcnt vmcnt(8)
	v_fmac_f32_e32 v17, v63, v59
	s_delay_alu instid0(VALU_DEP_3) | instskip(NEXT) | instid1(VALU_DEP_2)
	v_fmac_f32_e32 v14, v48, v43
	v_fma_f32 v17, -v64, v60, v17
	s_waitcnt vmcnt(6)
	s_delay_alu instid0(VALU_DEP_2) | instskip(SKIP_1) | instid1(VALU_DEP_2)
	v_dual_fmac_f32 v14, v47, v44 :: v_dual_fmac_f32 v3, v65, v67
	v_fmac_f32_e32 v13, v66, v67
	v_fmac_f32_e32 v14, v56, v51
	s_waitcnt vmcnt(5)
	v_fmac_f32_e32 v15, v23, v67
	v_fmac_f32_e32 v8, v37, v35
	;; [unrolled: 1-line block ×4, first 2 shown]
	v_fma_f32 v3, -v66, v68, v3
	v_fmac_f32_e32 v15, v22, v68
	v_fma_f32 v8, -v38, v36, v8
	s_waitcnt vmcnt(4)
	v_fmac_f32_e32 v17, v69, v67
	s_delay_alu instid0(VALU_DEP_2) | instskip(SKIP_1) | instid1(VALU_DEP_3)
	v_fmac_f32_e32 v8, v45, v43
	v_fmac_f32_e32 v14, v64, v59
	v_fma_f32 v18, -v70, v68, v17
	s_delay_alu instid0(VALU_DEP_3) | instskip(NEXT) | instid1(VALU_DEP_3)
	v_fma_f32 v8, -v46, v44, v8
	v_fmac_f32_e32 v14, v63, v60
	s_delay_alu instid0(VALU_DEP_2)
	v_fmac_f32_e32 v8, v53, v51
	s_waitcnt vmcnt(2)
	v_fmac_f32_e32 v3, v73, v71
	v_fmac_f32_e32 v13, v74, v71
	s_waitcnt vmcnt(1)
	v_fmac_f32_e32 v15, v6, v71
	v_fma_f32 v8, -v54, v52, v8
	v_fmac_f32_e32 v14, v70, v67
	s_waitcnt vmcnt(0)
	v_dual_fmac_f32 v18, v27, v71 :: v_dual_fmac_f32 v13, v73, v72
	v_fmac_f32_e32 v15, v5, v72
	v_fmac_f32_e32 v8, v61, v59
	;; [unrolled: 1-line block ×3, first 2 shown]
	v_fma_f32 v17, -v74, v72, v3
	v_fma_f32 v18, -v28, v72, v18
	s_delay_alu instid0(VALU_DEP_4) | instskip(NEXT) | instid1(VALU_DEP_4)
	v_fma_f32 v8, -v62, v60, v8
	v_fmac_f32_e32 v14, v28, v71
	s_delay_alu instid0(VALU_DEP_2) | instskip(NEXT) | instid1(VALU_DEP_2)
	v_fmac_f32_e32 v8, v22, v67
	v_fmac_f32_e32 v14, v27, v72
	s_delay_alu instid0(VALU_DEP_2) | instskip(NEXT) | instid1(VALU_DEP_1)
	v_fma_f32 v8, -v23, v68, v8
	v_fmac_f32_e32 v8, v5, v71
	s_delay_alu instid0(VALU_DEP_1)
	v_fma_f32 v19, -v6, v72, v8
	s_and_not1_b32 exec_lo, exec_lo, s2
	s_cbranch_execnz .LBB102_21
; %bb.22:
	s_or_b32 exec_lo, exec_lo, s2
.LBB102_23:
	s_delay_alu instid0(SALU_CYCLE_1)
	s_or_b32 exec_lo, exec_lo, s3
.LBB102_24:
	v_mbcnt_lo_u32_b32 v2, -1, 0
	s_delay_alu instid0(VALU_DEP_1) | instskip(SKIP_1) | instid1(VALU_DEP_2)
	v_xor_b32_e32 v3, 16, v2
	v_xor_b32_e32 v16, 8, v2
	v_cmp_gt_i32_e32 vcc_lo, 32, v3
	v_cndmask_b32_e32 v3, v2, v3, vcc_lo
	s_delay_alu instid0(VALU_DEP_3) | instskip(SKIP_1) | instid1(VALU_DEP_1)
	v_cmp_gt_i32_e32 vcc_lo, 32, v16
	v_cndmask_b32_e32 v16, v2, v16, vcc_lo
	v_lshlrev_b32_e32 v16, 2, v16
	s_delay_alu instid0(VALU_DEP_4)
	v_lshlrev_b32_e32 v3, 2, v3
	ds_bpermute_b32 v4, v3, v17
	s_waitcnt lgkmcnt(0)
	v_add_f32_e32 v4, v17, v4
	ds_bpermute_b32 v5, v3, v13
	ds_bpermute_b32 v6, v3, v19
	;; [unrolled: 1-line block ×5, first 2 shown]
	s_waitcnt lgkmcnt(3)
	v_dual_add_f32 v5, v13, v5 :: v_dual_add_f32 v6, v19, v6
	s_waitcnt lgkmcnt(1)
	v_dual_add_f32 v7, v15, v7 :: v_dual_add_f32 v8, v18, v8
	s_waitcnt lgkmcnt(0)
	v_add_f32_e32 v3, v14, v3
	ds_bpermute_b32 v13, v16, v4
	ds_bpermute_b32 v14, v16, v5
	;; [unrolled: 1-line block ×4, first 2 shown]
	v_xor_b32_e32 v19, 4, v2
	ds_bpermute_b32 v17, v16, v7
	ds_bpermute_b32 v16, v16, v3
	v_cmp_gt_i32_e32 vcc_lo, 32, v19
	s_waitcnt lgkmcnt(5)
	v_dual_cndmask_b32 v19, v2, v19 :: v_dual_add_f32 v4, v4, v13
	s_delay_alu instid0(VALU_DEP_1)
	v_lshlrev_b32_e32 v19, 2, v19
	s_waitcnt lgkmcnt(3)
	v_dual_add_f32 v5, v5, v14 :: v_dual_add_f32 v6, v6, v15
	s_waitcnt lgkmcnt(2)
	v_add_f32_e32 v8, v8, v18
	ds_bpermute_b32 v13, v19, v4
	s_waitcnt lgkmcnt(1)
	v_add_f32_e32 v3, v3, v16
	ds_bpermute_b32 v15, v19, v6
	v_add_f32_e32 v7, v7, v17
	ds_bpermute_b32 v14, v19, v5
	ds_bpermute_b32 v17, v19, v8
	s_waitcnt lgkmcnt(3)
	v_add_f32_e32 v4, v4, v13
	ds_bpermute_b32 v18, v19, v3
	s_waitcnt lgkmcnt(3)
	v_add_f32_e32 v6, v6, v15
	ds_bpermute_b32 v16, v19, v7
	v_xor_b32_e32 v19, 2, v2
	s_waitcnt lgkmcnt(2)
	v_dual_add_f32 v5, v5, v14 :: v_dual_add_f32 v14, v8, v17
	s_delay_alu instid0(VALU_DEP_2)
	v_cmp_gt_i32_e32 vcc_lo, 32, v19
	v_cndmask_b32_e32 v19, v2, v19, vcc_lo
	s_waitcnt lgkmcnt(1)
	v_add_f32_e32 v15, v3, v18
	s_waitcnt lgkmcnt(0)
	v_add_f32_e32 v13, v7, v16
	v_lshlrev_b32_e32 v19, 2, v19
	ds_bpermute_b32 v7, v19, v5
	ds_bpermute_b32 v8, v19, v6
	ds_bpermute_b32 v16, v19, v13
	s_waitcnt lgkmcnt(2)
	v_add_f32_e32 v5, v5, v7
	s_waitcnt lgkmcnt(1)
	v_add_f32_e32 v7, v6, v8
	;; [unrolled: 2-line block ×3, first 2 shown]
	ds_bpermute_b32 v3, v19, v4
	ds_bpermute_b32 v17, v19, v14
	;; [unrolled: 1-line block ×3, first 2 shown]
	v_xor_b32_e32 v19, 1, v2
	s_delay_alu instid0(VALU_DEP_1) | instskip(SKIP_3) | instid1(VALU_DEP_2)
	v_cmp_gt_i32_e32 vcc_lo, 32, v19
	v_cndmask_b32_e32 v2, v2, v19, vcc_lo
	v_cmp_eq_u32_e32 vcc_lo, 31, v0
	s_waitcnt lgkmcnt(2)
	v_dual_add_f32 v2, v4, v3 :: v_dual_lshlrev_b32 v19, 2, v2
	s_waitcnt lgkmcnt(0)
	v_dual_add_f32 v3, v14, v17 :: v_dual_add_f32 v4, v15, v18
	ds_bpermute_b32 v15, v19, v5
	ds_bpermute_b32 v16, v19, v7
	;; [unrolled: 1-line block ×6, first 2 shown]
	s_and_b32 exec_lo, exec_lo, vcc_lo
	s_cbranch_execz .LBB102_29
; %bb.25:
	s_load_b64 s[2:3], s[0:1], 0x38
	v_cmp_eq_f32_e32 vcc_lo, 0, v11
	v_cmp_eq_f32_e64 s0, 0, v12
	s_waitcnt lgkmcnt(0)
	v_add_f32_e32 v0, v2, v6
	v_dual_add_f32 v6, v5, v15 :: v_dual_add_f32 v3, v3, v13
	v_dual_add_f32 v2, v7, v16 :: v_dual_add_f32 v5, v8, v17
	v_add_f32_e32 v4, v4, v14
	s_and_b32 s0, vcc_lo, s0
	s_delay_alu instid0(SALU_CYCLE_1) | instskip(NEXT) | instid1(SALU_CYCLE_1)
	s_and_saveexec_b32 s1, s0
	s_xor_b32 s0, exec_lo, s1
	s_cbranch_execz .LBB102_27
; %bb.26:
	v_lshl_add_u32 v7, v1, 1, v1
	v_mul_f32_e64 v11, v6, -v10
	v_mul_f32_e32 v12, v6, v9
	v_mul_f32_e64 v13, v5, -v10
	v_mul_f32_e32 v14, v5, v9
	v_ashrrev_i32_e32 v8, 31, v7
	v_fmac_f32_e32 v11, v9, v0
	v_mul_f32_e64 v5, v4, -v10
	v_dual_mul_f32 v6, v4, v9 :: v_dual_fmac_f32 v13, v9, v2
	s_delay_alu instid0(VALU_DEP_4) | instskip(NEXT) | instid1(VALU_DEP_3)
	v_lshlrev_b64 v[7:8], 3, v[7:8]
	v_dual_fmac_f32 v12, v10, v0 :: v_dual_fmac_f32 v5, v9, v3
	v_fmac_f32_e32 v14, v10, v2
	s_delay_alu instid0(VALU_DEP_4) | instskip(NEXT) | instid1(VALU_DEP_4)
	v_fmac_f32_e32 v6, v10, v3
                                        ; implicit-def: $vgpr9
                                        ; implicit-def: $vgpr10
                                        ; implicit-def: $vgpr2
                                        ; implicit-def: $vgpr3
                                        ; implicit-def: $vgpr4
	v_add_co_u32 v0, vcc_lo, s2, v7
	v_add_co_ci_u32_e32 v1, vcc_lo, s3, v8, vcc_lo
	s_clause 0x1
	global_store_b128 v[0:1], v[11:14], off
	global_store_b64 v[0:1], v[5:6], off offset:16
                                        ; implicit-def: $vgpr11
                                        ; implicit-def: $vgpr12
                                        ; implicit-def: $vgpr1
                                        ; implicit-def: $vgpr0
                                        ; implicit-def: $vgpr6
                                        ; implicit-def: $vgpr5
.LBB102_27:
	s_and_not1_saveexec_b32 s0, s0
	s_cbranch_execz .LBB102_29
; %bb.28:
	v_lshl_add_u32 v7, v1, 1, v1
	v_mul_f32_e64 v21, v5, -v10
	v_mul_f32_e64 v22, v4, -v10
	s_delay_alu instid0(VALU_DEP_3) | instskip(NEXT) | instid1(VALU_DEP_1)
	v_ashrrev_i32_e32 v8, 31, v7
	v_lshlrev_b64 v[7:8], 3, v[7:8]
	s_delay_alu instid0(VALU_DEP_1) | instskip(NEXT) | instid1(VALU_DEP_2)
	v_add_co_u32 v17, vcc_lo, s2, v7
	v_add_co_ci_u32_e32 v18, vcc_lo, s3, v8, vcc_lo
	v_mul_f32_e64 v7, v6, -v10
	v_mul_f32_e32 v6, v6, v9
	s_clause 0x1
	global_load_b128 v[13:16], v[17:18], off
	global_load_b64 v[19:20], v[17:18], off offset:16
	v_fmac_f32_e32 v7, v9, v0
	v_dual_mul_f32 v1, v4, v9 :: v_dual_fmac_f32 v6, v10, v0
	v_mul_f32_e32 v8, v5, v9
	v_fmac_f32_e32 v21, v9, v2
	s_delay_alu instid0(VALU_DEP_3) | instskip(SKIP_1) | instid1(VALU_DEP_3)
	v_fmac_f32_e32 v1, v10, v3
	s_waitcnt vmcnt(1)
	v_dual_fmac_f32 v8, v10, v2 :: v_dual_fmac_f32 v7, v11, v13
	v_fmac_f32_e32 v6, v12, v13
	s_waitcnt vmcnt(0)
	v_fmac_f32_e32 v1, v12, v19
	v_fmac_f32_e32 v21, v11, v15
	;; [unrolled: 1-line block ×3, first 2 shown]
	v_fma_f32 v5, -v12, v14, v7
	v_fmac_f32_e32 v6, v11, v14
	v_dual_fmac_f32 v22, v9, v3 :: v_dual_fmac_f32 v1, v11, v20
	v_fma_f32 v7, -v12, v16, v21
	v_fmac_f32_e32 v8, v11, v16
	s_delay_alu instid0(VALU_DEP_3) | instskip(NEXT) | instid1(VALU_DEP_1)
	v_fmac_f32_e32 v22, v11, v19
	v_fma_f32 v0, -v12, v20, v22
	s_clause 0x1
	global_store_b128 v[17:18], v[5:8], off
	global_store_b64 v[17:18], v[0:1], off offset:16
.LBB102_29:
	s_nop 0
	s_sendmsg sendmsg(MSG_DEALLOC_VGPRS)
	s_endpgm
	.section	.rodata,"a",@progbits
	.p2align	6, 0x0
	.amdhsa_kernel _ZN9rocsparseL19gebsrmvn_3xn_kernelILj128ELj7ELj32E21rocsparse_complex_numIfEEEvi20rocsparse_direction_NS_24const_host_device_scalarIT2_EEPKiS8_PKS5_SA_S6_PS5_21rocsparse_index_base_b
		.amdhsa_group_segment_fixed_size 0
		.amdhsa_private_segment_fixed_size 0
		.amdhsa_kernarg_size 72
		.amdhsa_user_sgpr_count 15
		.amdhsa_user_sgpr_dispatch_ptr 0
		.amdhsa_user_sgpr_queue_ptr 0
		.amdhsa_user_sgpr_kernarg_segment_ptr 1
		.amdhsa_user_sgpr_dispatch_id 0
		.amdhsa_user_sgpr_private_segment_size 0
		.amdhsa_wavefront_size32 1
		.amdhsa_uses_dynamic_stack 0
		.amdhsa_enable_private_segment 0
		.amdhsa_system_sgpr_workgroup_id_x 1
		.amdhsa_system_sgpr_workgroup_id_y 0
		.amdhsa_system_sgpr_workgroup_id_z 0
		.amdhsa_system_sgpr_workgroup_info 0
		.amdhsa_system_vgpr_workitem_id 0
		.amdhsa_next_free_vgpr 75
		.amdhsa_next_free_sgpr 16
		.amdhsa_reserve_vcc 1
		.amdhsa_float_round_mode_32 0
		.amdhsa_float_round_mode_16_64 0
		.amdhsa_float_denorm_mode_32 3
		.amdhsa_float_denorm_mode_16_64 3
		.amdhsa_dx10_clamp 1
		.amdhsa_ieee_mode 1
		.amdhsa_fp16_overflow 0
		.amdhsa_workgroup_processor_mode 1
		.amdhsa_memory_ordered 1
		.amdhsa_forward_progress 0
		.amdhsa_shared_vgpr_count 0
		.amdhsa_exception_fp_ieee_invalid_op 0
		.amdhsa_exception_fp_denorm_src 0
		.amdhsa_exception_fp_ieee_div_zero 0
		.amdhsa_exception_fp_ieee_overflow 0
		.amdhsa_exception_fp_ieee_underflow 0
		.amdhsa_exception_fp_ieee_inexact 0
		.amdhsa_exception_int_div_zero 0
	.end_amdhsa_kernel
	.section	.text._ZN9rocsparseL19gebsrmvn_3xn_kernelILj128ELj7ELj32E21rocsparse_complex_numIfEEEvi20rocsparse_direction_NS_24const_host_device_scalarIT2_EEPKiS8_PKS5_SA_S6_PS5_21rocsparse_index_base_b,"axG",@progbits,_ZN9rocsparseL19gebsrmvn_3xn_kernelILj128ELj7ELj32E21rocsparse_complex_numIfEEEvi20rocsparse_direction_NS_24const_host_device_scalarIT2_EEPKiS8_PKS5_SA_S6_PS5_21rocsparse_index_base_b,comdat
.Lfunc_end102:
	.size	_ZN9rocsparseL19gebsrmvn_3xn_kernelILj128ELj7ELj32E21rocsparse_complex_numIfEEEvi20rocsparse_direction_NS_24const_host_device_scalarIT2_EEPKiS8_PKS5_SA_S6_PS5_21rocsparse_index_base_b, .Lfunc_end102-_ZN9rocsparseL19gebsrmvn_3xn_kernelILj128ELj7ELj32E21rocsparse_complex_numIfEEEvi20rocsparse_direction_NS_24const_host_device_scalarIT2_EEPKiS8_PKS5_SA_S6_PS5_21rocsparse_index_base_b
                                        ; -- End function
	.section	.AMDGPU.csdata,"",@progbits
; Kernel info:
; codeLenInByte = 4832
; NumSgprs: 18
; NumVgprs: 75
; ScratchSize: 0
; MemoryBound: 0
; FloatMode: 240
; IeeeMode: 1
; LDSByteSize: 0 bytes/workgroup (compile time only)
; SGPRBlocks: 2
; VGPRBlocks: 9
; NumSGPRsForWavesPerEU: 18
; NumVGPRsForWavesPerEU: 75
; Occupancy: 16
; WaveLimiterHint : 1
; COMPUTE_PGM_RSRC2:SCRATCH_EN: 0
; COMPUTE_PGM_RSRC2:USER_SGPR: 15
; COMPUTE_PGM_RSRC2:TRAP_HANDLER: 0
; COMPUTE_PGM_RSRC2:TGID_X_EN: 1
; COMPUTE_PGM_RSRC2:TGID_Y_EN: 0
; COMPUTE_PGM_RSRC2:TGID_Z_EN: 0
; COMPUTE_PGM_RSRC2:TIDIG_COMP_CNT: 0
	.section	.text._ZN9rocsparseL19gebsrmvn_3xn_kernelILj128ELj7ELj64E21rocsparse_complex_numIfEEEvi20rocsparse_direction_NS_24const_host_device_scalarIT2_EEPKiS8_PKS5_SA_S6_PS5_21rocsparse_index_base_b,"axG",@progbits,_ZN9rocsparseL19gebsrmvn_3xn_kernelILj128ELj7ELj64E21rocsparse_complex_numIfEEEvi20rocsparse_direction_NS_24const_host_device_scalarIT2_EEPKiS8_PKS5_SA_S6_PS5_21rocsparse_index_base_b,comdat
	.globl	_ZN9rocsparseL19gebsrmvn_3xn_kernelILj128ELj7ELj64E21rocsparse_complex_numIfEEEvi20rocsparse_direction_NS_24const_host_device_scalarIT2_EEPKiS8_PKS5_SA_S6_PS5_21rocsparse_index_base_b ; -- Begin function _ZN9rocsparseL19gebsrmvn_3xn_kernelILj128ELj7ELj64E21rocsparse_complex_numIfEEEvi20rocsparse_direction_NS_24const_host_device_scalarIT2_EEPKiS8_PKS5_SA_S6_PS5_21rocsparse_index_base_b
	.p2align	8
	.type	_ZN9rocsparseL19gebsrmvn_3xn_kernelILj128ELj7ELj64E21rocsparse_complex_numIfEEEvi20rocsparse_direction_NS_24const_host_device_scalarIT2_EEPKiS8_PKS5_SA_S6_PS5_21rocsparse_index_base_b,@function
_ZN9rocsparseL19gebsrmvn_3xn_kernelILj128ELj7ELj64E21rocsparse_complex_numIfEEEvi20rocsparse_direction_NS_24const_host_device_scalarIT2_EEPKiS8_PKS5_SA_S6_PS5_21rocsparse_index_base_b: ; @_ZN9rocsparseL19gebsrmvn_3xn_kernelILj128ELj7ELj64E21rocsparse_complex_numIfEEEvi20rocsparse_direction_NS_24const_host_device_scalarIT2_EEPKiS8_PKS5_SA_S6_PS5_21rocsparse_index_base_b
; %bb.0:
	s_clause 0x2
	s_load_b64 s[12:13], s[0:1], 0x40
	s_load_b64 s[4:5], s[0:1], 0x8
	;; [unrolled: 1-line block ×3, first 2 shown]
	s_waitcnt lgkmcnt(0)
	s_bitcmp1_b32 s13, 0
	v_mov_b32_e32 v9, s4
	s_cselect_b32 s6, -1, 0
	s_delay_alu instid0(SALU_CYCLE_1)
	s_and_b32 vcc_lo, exec_lo, s6
	s_xor_b32 s6, s6, -1
	s_cbranch_vccz .LBB103_15
; %bb.1:
	v_cndmask_b32_e64 v1, 0, 1, s6
	v_mov_b32_e32 v10, s5
	s_and_not1_b32 vcc_lo, exec_lo, s6
	s_cbranch_vccz .LBB103_16
.LBB103_2:
	s_delay_alu instid0(VALU_DEP_2)
	v_cmp_ne_u32_e32 vcc_lo, 1, v1
	v_mov_b32_e32 v11, s2
	s_cbranch_vccz .LBB103_17
.LBB103_3:
	v_cmp_ne_u32_e32 vcc_lo, 1, v1
	v_mov_b32_e32 v12, s3
	s_cbranch_vccnz .LBB103_5
.LBB103_4:
	v_dual_mov_b32 v1, s2 :: v_dual_mov_b32 v2, s3
	flat_load_b32 v12, v[1:2] offset:4
.LBB103_5:
	s_waitcnt vmcnt(0) lgkmcnt(0)
	v_cmp_eq_f32_e32 vcc_lo, 0, v9
	v_cmp_eq_f32_e64 s2, 0, v10
	s_delay_alu instid0(VALU_DEP_1)
	s_and_b32 s4, vcc_lo, s2
	s_mov_b32 s2, -1
	s_and_saveexec_b32 s3, s4
; %bb.6:
	v_cmp_neq_f32_e32 vcc_lo, 1.0, v11
	v_cmp_neq_f32_e64 s2, 0, v12
	s_delay_alu instid0(VALU_DEP_1) | instskip(NEXT) | instid1(SALU_CYCLE_1)
	s_or_b32 s2, vcc_lo, s2
	s_or_not1_b32 s2, s2, exec_lo
; %bb.7:
	s_or_b32 exec_lo, exec_lo, s3
	s_and_saveexec_b32 s3, s2
	s_cbranch_execz .LBB103_29
; %bb.8:
	s_load_b64 s[2:3], s[0:1], 0x0
	v_lshrrev_b32_e32 v1, 6, v0
	s_delay_alu instid0(VALU_DEP_1) | instskip(SKIP_1) | instid1(VALU_DEP_1)
	v_lshl_or_b32 v1, s15, 1, v1
	s_waitcnt lgkmcnt(0)
	v_cmp_gt_i32_e32 vcc_lo, s2, v1
	s_and_b32 exec_lo, exec_lo, vcc_lo
	s_cbranch_execz .LBB103_29
; %bb.9:
	s_load_b256 s[4:11], s[0:1], 0x10
	v_ashrrev_i32_e32 v2, 31, v1
	v_and_b32_e32 v0, 63, v0
	s_cmp_lg_u32 s3, 0
	s_delay_alu instid0(VALU_DEP_2) | instskip(SKIP_1) | instid1(VALU_DEP_1)
	v_lshlrev_b64 v[2:3], 2, v[1:2]
	s_waitcnt lgkmcnt(0)
	v_add_co_u32 v2, vcc_lo, s4, v2
	s_delay_alu instid0(VALU_DEP_2) | instskip(SKIP_4) | instid1(VALU_DEP_2)
	v_add_co_ci_u32_e32 v3, vcc_lo, s5, v3, vcc_lo
	global_load_b64 v[2:3], v[2:3], off
	s_waitcnt vmcnt(0)
	v_subrev_nc_u32_e32 v2, s12, v2
	v_subrev_nc_u32_e32 v16, s12, v3
	v_add_nc_u32_e32 v2, v2, v0
	s_delay_alu instid0(VALU_DEP_1)
	v_cmp_lt_i32_e64 s2, v2, v16
	s_cbranch_scc0 .LBB103_18
; %bb.10:
	v_dual_mov_b32 v13, 0 :: v_dual_mov_b32 v18, 0
	v_dual_mov_b32 v17, 0 :: v_dual_mov_b32 v14, 0
	v_mov_b32_e32 v19, 0
	v_mov_b32_e32 v15, 0
	s_mov_b32 s3, 0
	s_and_saveexec_b32 s4, s2
	s_cbranch_execz .LBB103_14
; %bb.11:
	v_mad_u64_u32 v[3:4], null, v2, 21, 20
	v_dual_mov_b32 v6, 0 :: v_dual_mov_b32 v7, v2
	v_dual_mov_b32 v13, 0 :: v_dual_mov_b32 v18, 0
	;; [unrolled: 1-line block ×3, first 2 shown]
	v_mov_b32_e32 v19, 0
	v_mov_b32_e32 v15, 0
	s_mov_b32 s5, 0
.LBB103_12:                             ; =>This Inner Loop Header: Depth=1
	v_ashrrev_i32_e32 v8, 31, v7
	s_delay_alu instid0(VALU_DEP_1) | instskip(NEXT) | instid1(VALU_DEP_1)
	v_lshlrev_b64 v[4:5], 2, v[7:8]
	v_add_co_u32 v4, vcc_lo, s6, v4
	s_delay_alu instid0(VALU_DEP_2) | instskip(SKIP_3) | instid1(VALU_DEP_2)
	v_add_co_ci_u32_e32 v5, vcc_lo, s7, v5, vcc_lo
	global_load_b32 v8, v[4:5], off
	v_subrev_nc_u32_e32 v5, 20, v3
	v_mov_b32_e32 v4, v6
	v_lshlrev_b64 v[22:23], 3, v[5:6]
	v_subrev_nc_u32_e32 v5, 19, v3
	s_delay_alu instid0(VALU_DEP_3) | instskip(NEXT) | instid1(VALU_DEP_2)
	v_lshlrev_b64 v[24:25], 3, v[3:4]
	v_lshlrev_b64 v[26:27], 3, v[5:6]
	v_subrev_nc_u32_e32 v5, 18, v3
	v_add_co_u32 v22, vcc_lo, s8, v22
	v_add_co_ci_u32_e32 v23, vcc_lo, s9, v23, vcc_lo
	s_delay_alu instid0(VALU_DEP_3) | instskip(SKIP_4) | instid1(VALU_DEP_4)
	v_lshlrev_b64 v[28:29], 3, v[5:6]
	v_subrev_nc_u32_e32 v5, 17, v3
	v_add_co_u32 v24, vcc_lo, s8, v24
	v_add_co_ci_u32_e32 v25, vcc_lo, s9, v25, vcc_lo
	v_add_co_u32 v26, vcc_lo, s8, v26
	v_lshlrev_b64 v[4:5], 3, v[5:6]
	v_add_co_ci_u32_e32 v27, vcc_lo, s9, v27, vcc_lo
	v_add_co_u32 v28, vcc_lo, s8, v28
	v_add_co_ci_u32_e32 v29, vcc_lo, s9, v29, vcc_lo
	s_delay_alu instid0(VALU_DEP_4)
	v_add_co_u32 v4, vcc_lo, s8, v4
	v_add_co_ci_u32_e32 v5, vcc_lo, s9, v5, vcc_lo
	s_clause 0x3
	global_load_b64 v[22:23], v[22:23], off
	global_load_b64 v[26:27], v[26:27], off
	;; [unrolled: 1-line block ×4, first 2 shown]
	v_mov_b32_e32 v21, v6
	s_waitcnt vmcnt(4)
	v_subrev_nc_u32_e32 v4, s12, v8
	s_delay_alu instid0(VALU_DEP_1) | instskip(NEXT) | instid1(VALU_DEP_1)
	v_mul_lo_u32 v20, v4, 7
	v_lshlrev_b64 v[32:33], 3, v[20:21]
	v_add_nc_u32_e32 v5, 1, v20
	s_delay_alu instid0(VALU_DEP_1) | instskip(NEXT) | instid1(VALU_DEP_3)
	v_lshlrev_b64 v[34:35], 3, v[5:6]
	v_add_co_u32 v32, vcc_lo, s10, v32
	s_delay_alu instid0(VALU_DEP_4) | instskip(NEXT) | instid1(VALU_DEP_3)
	v_add_co_ci_u32_e32 v33, vcc_lo, s11, v33, vcc_lo
	v_add_co_u32 v34, vcc_lo, s10, v34
	global_load_b64 v[32:33], v[32:33], off
	v_add_co_ci_u32_e32 v35, vcc_lo, s11, v35, vcc_lo
	global_load_b64 v[34:35], v[34:35], off
	s_waitcnt vmcnt(1)
	v_dual_fmac_f32 v14, v29, v32 :: v_dual_add_nc_u32 v5, -16, v3
	s_delay_alu instid0(VALU_DEP_1) | instskip(SKIP_4) | instid1(VALU_DEP_4)
	v_lshlrev_b64 v[36:37], 3, v[5:6]
	v_add_nc_u32_e32 v5, -15, v3
	v_fmac_f32_e32 v17, v22, v32
	v_fmac_f32_e32 v18, v28, v32
	v_dual_fmac_f32 v14, v28, v33 :: v_dual_fmac_f32 v15, v27, v32
	v_lshlrev_b64 v[38:39], 3, v[5:6]
	v_add_co_u32 v36, vcc_lo, s8, v36
	v_add_co_ci_u32_e32 v37, vcc_lo, s9, v37, vcc_lo
	v_fma_f32 v8, -v23, v33, v17
	s_delay_alu instid0(VALU_DEP_4)
	v_add_co_u32 v38, vcc_lo, s8, v38
	v_add_co_ci_u32_e32 v39, vcc_lo, s9, v39, vcc_lo
	global_load_b64 v[36:37], v[36:37], off
	s_waitcnt vmcnt(1)
	v_dual_fmac_f32 v8, v30, v34 :: v_dual_add_nc_u32 v5, -14, v3
	global_load_b64 v[38:39], v[38:39], off
	v_fma_f32 v18, -v29, v33, v18
	v_fmac_f32_e32 v15, v26, v33
	v_lshlrev_b64 v[40:41], 3, v[5:6]
	v_fma_f32 v8, -v31, v35, v8
	s_delay_alu instid0(VALU_DEP_2) | instskip(NEXT) | instid1(VALU_DEP_3)
	v_add_co_u32 v40, vcc_lo, s8, v40
	v_add_co_ci_u32_e32 v41, vcc_lo, s9, v41, vcc_lo
	global_load_b64 v[40:41], v[40:41], off
	v_add_nc_u32_e32 v5, 2, v20
	s_waitcnt vmcnt(2)
	v_fmac_f32_e32 v15, v37, v34
	s_waitcnt vmcnt(1)
	v_fmac_f32_e32 v18, v38, v34
	v_lshlrev_b64 v[42:43], 3, v[5:6]
	v_dual_fmac_f32 v14, v39, v34 :: v_dual_add_nc_u32 v5, -13, v3
	v_fmac_f32_e32 v15, v36, v35
	s_delay_alu instid0(VALU_DEP_4) | instskip(NEXT) | instid1(VALU_DEP_4)
	v_fma_f32 v18, -v39, v35, v18
	v_add_co_u32 v42, vcc_lo, s10, v42
	v_add_co_ci_u32_e32 v43, vcc_lo, s11, v43, vcc_lo
	v_lshlrev_b64 v[44:45], 3, v[5:6]
	v_fmac_f32_e32 v14, v38, v35
	global_load_b64 v[42:43], v[42:43], off
	v_add_nc_u32_e32 v5, -12, v3
	v_add_co_u32 v44, vcc_lo, s8, v44
	v_add_co_ci_u32_e32 v45, vcc_lo, s9, v45, vcc_lo
	global_load_b64 v[44:45], v[44:45], off
	s_waitcnt vmcnt(1)
	v_fmac_f32_e32 v8, v40, v42
	v_lshlrev_b64 v[46:47], 3, v[5:6]
	s_delay_alu instid0(VALU_DEP_2) | instskip(NEXT) | instid1(VALU_DEP_2)
	v_fma_f32 v8, -v41, v43, v8
	v_add_co_u32 v46, vcc_lo, s8, v46
	s_delay_alu instid0(VALU_DEP_3) | instskip(SKIP_2) | instid1(VALU_DEP_1)
	v_add_co_ci_u32_e32 v47, vcc_lo, s9, v47, vcc_lo
	global_load_b64 v[46:47], v[46:47], off
	v_add_nc_u32_e32 v5, -11, v3
	v_lshlrev_b64 v[48:49], 3, v[5:6]
	v_add_nc_u32_e32 v5, 3, v20
	s_delay_alu instid0(VALU_DEP_1) | instskip(NEXT) | instid1(VALU_DEP_3)
	v_lshlrev_b64 v[50:51], 3, v[5:6]
	v_add_co_u32 v48, vcc_lo, s8, v48
	s_delay_alu instid0(VALU_DEP_4) | instskip(NEXT) | instid1(VALU_DEP_3)
	v_add_co_ci_u32_e32 v49, vcc_lo, s9, v49, vcc_lo
	v_add_co_u32 v50, vcc_lo, s10, v50
	s_delay_alu instid0(VALU_DEP_4)
	v_add_co_ci_u32_e32 v51, vcc_lo, s11, v51, vcc_lo
	global_load_b64 v[48:49], v[48:49], off
	v_add_nc_u32_e32 v5, -10, v3
	s_waitcnt vmcnt(2)
	v_fmac_f32_e32 v15, v45, v42
	global_load_b64 v[50:51], v[50:51], off
	s_waitcnt vmcnt(2)
	v_dual_fmac_f32 v15, v44, v43 :: v_dual_fmac_f32 v14, v47, v42
	v_lshlrev_b64 v[52:53], 3, v[5:6]
	v_dual_fmac_f32 v18, v46, v42 :: v_dual_add_nc_u32 v5, -9, v3
	s_delay_alu instid0(VALU_DEP_3) | instskip(NEXT) | instid1(VALU_DEP_3)
	v_fmac_f32_e32 v14, v46, v43
	v_add_co_u32 v52, vcc_lo, s8, v52
	s_delay_alu instid0(VALU_DEP_4) | instskip(NEXT) | instid1(VALU_DEP_4)
	v_add_co_ci_u32_e32 v53, vcc_lo, s9, v53, vcc_lo
	v_fma_f32 v18, -v47, v43, v18
	global_load_b64 v[52:53], v[52:53], off
	s_waitcnt vmcnt(1)
	v_fmac_f32_e32 v8, v48, v50
	v_lshlrev_b64 v[54:55], 3, v[5:6]
	s_delay_alu instid0(VALU_DEP_2) | instskip(NEXT) | instid1(VALU_DEP_2)
	v_fma_f32 v8, -v49, v51, v8
	v_add_co_u32 v54, vcc_lo, s8, v54
	s_delay_alu instid0(VALU_DEP_3) | instskip(SKIP_2) | instid1(VALU_DEP_1)
	v_add_co_ci_u32_e32 v55, vcc_lo, s9, v55, vcc_lo
	global_load_b64 v[54:55], v[54:55], off
	v_add_nc_u32_e32 v5, -8, v3
	v_lshlrev_b64 v[56:57], 3, v[5:6]
	v_add_nc_u32_e32 v5, 4, v20
	s_delay_alu instid0(VALU_DEP_1) | instskip(NEXT) | instid1(VALU_DEP_3)
	v_lshlrev_b64 v[58:59], 3, v[5:6]
	v_add_co_u32 v56, vcc_lo, s8, v56
	s_delay_alu instid0(VALU_DEP_4) | instskip(NEXT) | instid1(VALU_DEP_3)
	v_add_co_ci_u32_e32 v57, vcc_lo, s9, v57, vcc_lo
	v_add_co_u32 v58, vcc_lo, s10, v58
	s_delay_alu instid0(VALU_DEP_4)
	v_add_co_ci_u32_e32 v59, vcc_lo, s11, v59, vcc_lo
	global_load_b64 v[56:57], v[56:57], off
	v_add_nc_u32_e32 v5, -7, v3
	global_load_b64 v[58:59], v[58:59], off
	s_waitcnt vmcnt(3)
	v_fmac_f32_e32 v15, v53, v50
	s_waitcnt vmcnt(2)
	s_delay_alu instid0(VALU_DEP_1) | instskip(SKIP_2) | instid1(VALU_DEP_3)
	v_dual_fmac_f32 v15, v52, v51 :: v_dual_fmac_f32 v14, v55, v50
	v_lshlrev_b64 v[60:61], 3, v[5:6]
	v_dual_fmac_f32 v18, v54, v50 :: v_dual_add_nc_u32 v5, -6, v3
	v_fmac_f32_e32 v14, v54, v51
	s_delay_alu instid0(VALU_DEP_3) | instskip(NEXT) | instid1(VALU_DEP_4)
	v_add_co_u32 v60, vcc_lo, s8, v60
	v_add_co_ci_u32_e32 v61, vcc_lo, s9, v61, vcc_lo
	s_delay_alu instid0(VALU_DEP_4) | instskip(SKIP_4) | instid1(VALU_DEP_2)
	v_fma_f32 v18, -v55, v51, v18
	global_load_b64 v[60:61], v[60:61], off
	s_waitcnt vmcnt(1)
	v_fmac_f32_e32 v8, v56, v58
	v_lshlrev_b64 v[62:63], 3, v[5:6]
	v_fma_f32 v8, -v57, v59, v8
	s_delay_alu instid0(VALU_DEP_2) | instskip(NEXT) | instid1(VALU_DEP_3)
	v_add_co_u32 v62, vcc_lo, s8, v62
	v_add_co_ci_u32_e32 v63, vcc_lo, s9, v63, vcc_lo
	global_load_b64 v[62:63], v[62:63], off
	v_add_nc_u32_e32 v5, -5, v3
	s_delay_alu instid0(VALU_DEP_1) | instskip(SKIP_1) | instid1(VALU_DEP_1)
	v_lshlrev_b64 v[64:65], 3, v[5:6]
	v_add_nc_u32_e32 v5, 5, v20
	v_lshlrev_b64 v[66:67], 3, v[5:6]
	s_delay_alu instid0(VALU_DEP_3) | instskip(NEXT) | instid1(VALU_DEP_4)
	v_add_co_u32 v64, vcc_lo, s8, v64
	v_add_co_ci_u32_e32 v65, vcc_lo, s9, v65, vcc_lo
	s_delay_alu instid0(VALU_DEP_3) | instskip(NEXT) | instid1(VALU_DEP_4)
	v_add_co_u32 v66, vcc_lo, s10, v66
	v_add_co_ci_u32_e32 v67, vcc_lo, s11, v67, vcc_lo
	global_load_b64 v[64:65], v[64:65], off
	v_add_nc_u32_e32 v5, -4, v3
	global_load_b64 v[66:67], v[66:67], off
	s_waitcnt vmcnt(3)
	v_fmac_f32_e32 v15, v61, v58
	s_waitcnt vmcnt(2)
	s_delay_alu instid0(VALU_DEP_1) | instskip(SKIP_2) | instid1(VALU_DEP_3)
	v_dual_fmac_f32 v15, v60, v59 :: v_dual_fmac_f32 v14, v63, v58
	v_lshlrev_b64 v[68:69], 3, v[5:6]
	v_dual_fmac_f32 v18, v62, v58 :: v_dual_add_nc_u32 v5, -3, v3
	v_fmac_f32_e32 v14, v62, v59
	s_delay_alu instid0(VALU_DEP_3) | instskip(NEXT) | instid1(VALU_DEP_4)
	v_add_co_u32 v68, vcc_lo, s8, v68
	v_add_co_ci_u32_e32 v69, vcc_lo, s9, v69, vcc_lo
	s_delay_alu instid0(VALU_DEP_4) | instskip(SKIP_4) | instid1(VALU_DEP_3)
	v_fma_f32 v18, -v63, v59, v18
	s_waitcnt vmcnt(0)
	v_fmac_f32_e32 v8, v64, v66
	v_lshlrev_b64 v[70:71], 3, v[5:6]
	v_add_nc_u32_e32 v5, -2, v3
	v_fma_f32 v8, -v65, v67, v8
	s_delay_alu instid0(VALU_DEP_2)
	v_lshlrev_b64 v[72:73], 3, v[5:6]
	v_add_nc_u32_e32 v5, 6, v20
	global_load_b64 v[20:21], v[68:69], off
	v_add_co_u32 v68, vcc_lo, s8, v70
	v_add_co_ci_u32_e32 v69, vcc_lo, s9, v71, vcc_lo
	v_add_co_u32 v72, vcc_lo, s8, v72
	v_add_co_ci_u32_e32 v73, vcc_lo, s9, v73, vcc_lo
	global_load_b64 v[68:69], v[68:69], off
	v_lshlrev_b64 v[70:71], 3, v[5:6]
	global_load_b64 v[72:73], v[72:73], off
	v_add_nc_u32_e32 v5, -1, v3
	v_add_co_u32 v70, vcc_lo, s10, v70
	v_add_co_ci_u32_e32 v71, vcc_lo, s11, v71, vcc_lo
	s_waitcnt vmcnt(2)
	v_fmac_f32_e32 v15, v21, v66
	s_waitcnt vmcnt(1)
	s_delay_alu instid0(VALU_DEP_1) | instskip(SKIP_2) | instid1(VALU_DEP_3)
	v_dual_fmac_f32 v15, v20, v67 :: v_dual_fmac_f32 v14, v69, v66
	v_lshlrev_b64 v[4:5], 3, v[5:6]
	v_fmac_f32_e32 v18, v68, v66
	v_fmac_f32_e32 v14, v68, v67
	s_delay_alu instid0(VALU_DEP_3) | instskip(NEXT) | instid1(VALU_DEP_4)
	v_add_co_u32 v4, vcc_lo, s8, v4
	v_add_co_ci_u32_e32 v5, vcc_lo, s9, v5, vcc_lo
	global_load_b64 v[70:71], v[70:71], off
	s_clause 0x1
	global_load_b64 v[4:5], v[4:5], off
	global_load_b64 v[24:25], v[24:25], off
	v_fmac_f32_e32 v13, v23, v32
	v_fma_f32 v18, -v69, v67, v18
	v_add_nc_u32_e32 v7, 64, v7
	s_waitcnt vmcnt(2)
	v_dual_fmac_f32 v8, v72, v70 :: v_dual_add_nc_u32 v3, 0x540, v3
	s_waitcnt vmcnt(1)
	v_fmac_f32_e32 v15, v5, v70
	s_waitcnt vmcnt(0)
	v_fmac_f32_e32 v18, v24, v70
	v_dual_fmac_f32 v14, v25, v70 :: v_dual_fmac_f32 v19, v26, v32
	v_fmac_f32_e32 v13, v22, v33
	v_cmp_ge_i32_e32 vcc_lo, v7, v16
	v_fmac_f32_e32 v15, v4, v71
	s_delay_alu instid0(VALU_DEP_4) | instskip(SKIP_4) | instid1(VALU_DEP_3)
	v_fmac_f32_e32 v14, v24, v71
	v_fma_f32 v17, -v27, v33, v19
	v_fmac_f32_e32 v13, v31, v34
	v_fma_f32 v18, -v25, v71, v18
	s_or_b32 s5, vcc_lo, s5
	v_fmac_f32_e32 v17, v36, v34
	s_delay_alu instid0(VALU_DEP_3) | instskip(NEXT) | instid1(VALU_DEP_2)
	v_fmac_f32_e32 v13, v30, v35
	v_fma_f32 v17, -v37, v35, v17
	s_delay_alu instid0(VALU_DEP_2) | instskip(NEXT) | instid1(VALU_DEP_2)
	v_fmac_f32_e32 v13, v41, v42
	v_fmac_f32_e32 v17, v44, v42
	s_delay_alu instid0(VALU_DEP_2) | instskip(NEXT) | instid1(VALU_DEP_2)
	v_fmac_f32_e32 v13, v40, v43
	v_fma_f32 v17, -v45, v43, v17
	s_delay_alu instid0(VALU_DEP_2) | instskip(NEXT) | instid1(VALU_DEP_2)
	v_fmac_f32_e32 v13, v49, v50
	v_fmac_f32_e32 v17, v52, v50
	s_delay_alu instid0(VALU_DEP_2) | instskip(NEXT) | instid1(VALU_DEP_2)
	;; [unrolled: 6-line block ×4, first 2 shown]
	v_fmac_f32_e32 v13, v64, v67
	v_fma_f32 v19, -v21, v67, v17
	s_delay_alu instid0(VALU_DEP_2) | instskip(SKIP_1) | instid1(VALU_DEP_3)
	v_fmac_f32_e32 v13, v73, v70
	v_fma_f32 v17, -v73, v71, v8
	v_fmac_f32_e32 v19, v4, v70
	s_delay_alu instid0(VALU_DEP_3) | instskip(NEXT) | instid1(VALU_DEP_2)
	v_fmac_f32_e32 v13, v72, v71
	v_fma_f32 v19, -v5, v71, v19
	s_and_not1_b32 exec_lo, exec_lo, s5
	s_cbranch_execnz .LBB103_12
; %bb.13:
	s_or_b32 exec_lo, exec_lo, s5
.LBB103_14:
	s_delay_alu instid0(SALU_CYCLE_1) | instskip(NEXT) | instid1(SALU_CYCLE_1)
	s_or_b32 exec_lo, exec_lo, s4
	s_and_not1_b32 vcc_lo, exec_lo, s3
	s_cbranch_vccz .LBB103_19
	s_branch .LBB103_24
.LBB103_15:
	v_dual_mov_b32 v1, s4 :: v_dual_mov_b32 v2, s5
	flat_load_b32 v9, v[1:2]
	v_cndmask_b32_e64 v1, 0, 1, s6
	v_mov_b32_e32 v10, s5
	s_and_not1_b32 vcc_lo, exec_lo, s6
	s_cbranch_vccnz .LBB103_2
.LBB103_16:
	v_dual_mov_b32 v2, s4 :: v_dual_mov_b32 v3, s5
	flat_load_b32 v10, v[2:3] offset:4
	v_cmp_ne_u32_e32 vcc_lo, 1, v1
	v_mov_b32_e32 v11, s2
	s_cbranch_vccnz .LBB103_3
.LBB103_17:
	v_dual_mov_b32 v2, s2 :: v_dual_mov_b32 v3, s3
	flat_load_b32 v11, v[2:3]
	v_cmp_ne_u32_e32 vcc_lo, 1, v1
	v_mov_b32_e32 v12, s3
	s_cbranch_vccz .LBB103_4
	s_branch .LBB103_5
.LBB103_18:
                                        ; implicit-def: $vgpr13
                                        ; implicit-def: $vgpr17
                                        ; implicit-def: $vgpr18
                                        ; implicit-def: $vgpr14
                                        ; implicit-def: $vgpr19
                                        ; implicit-def: $vgpr15
.LBB103_19:
	v_dual_mov_b32 v13, 0 :: v_dual_mov_b32 v18, 0
	v_dual_mov_b32 v17, 0 :: v_dual_mov_b32 v14, 0
	v_mov_b32_e32 v19, 0
	v_mov_b32_e32 v15, 0
	s_and_saveexec_b32 s3, s2
	s_cbranch_execz .LBB103_23
; %bb.20:
	v_mad_u64_u32 v[4:5], null, v2, 21, 20
	v_dual_mov_b32 v7, 0 :: v_dual_mov_b32 v18, 0
	v_dual_mov_b32 v13, 0 :: v_dual_mov_b32 v14, 0
	v_mov_b32_e32 v17, 0
	v_mov_b32_e32 v19, 0
	v_mov_b32_e32 v15, 0
	s_mov_b32 s2, 0
.LBB103_21:                             ; =>This Inner Loop Header: Depth=1
	v_ashrrev_i32_e32 v3, 31, v2
	v_dual_mov_b32 v21, v7 :: v_dual_add_nc_u32 v20, -13, v4
	v_dual_mov_b32 v23, v7 :: v_dual_add_nc_u32 v22, -6, v4
	s_delay_alu instid0(VALU_DEP_3) | instskip(NEXT) | instid1(VALU_DEP_3)
	v_lshlrev_b64 v[5:6], 2, v[2:3]
	v_lshlrev_b64 v[20:21], 3, v[20:21]
	s_delay_alu instid0(VALU_DEP_3) | instskip(NEXT) | instid1(VALU_DEP_3)
	v_lshlrev_b64 v[22:23], 3, v[22:23]
	v_add_co_u32 v5, vcc_lo, s6, v5
	s_delay_alu instid0(VALU_DEP_4) | instskip(SKIP_3) | instid1(VALU_DEP_2)
	v_add_co_ci_u32_e32 v6, vcc_lo, s7, v6, vcc_lo
	global_load_b32 v3, v[5:6], off
	v_subrev_nc_u32_e32 v6, 20, v4
	v_mov_b32_e32 v5, v7
	v_lshlrev_b64 v[25:26], 3, v[6:7]
	v_subrev_nc_u32_e32 v6, 19, v4
	s_delay_alu instid0(VALU_DEP_3) | instskip(NEXT) | instid1(VALU_DEP_2)
	v_lshlrev_b64 v[27:28], 3, v[4:5]
	v_lshlrev_b64 v[5:6], 3, v[6:7]
	s_delay_alu instid0(VALU_DEP_4)
	v_add_co_u32 v25, vcc_lo, s8, v25
	v_add_co_ci_u32_e32 v26, vcc_lo, s9, v26, vcc_lo
	v_add_co_u32 v20, vcc_lo, s8, v20
	v_add_co_ci_u32_e32 v21, vcc_lo, s9, v21, vcc_lo
	;; [unrolled: 2-line block ×5, first 2 shown]
	s_clause 0x3
	global_load_b64 v[25:26], v[25:26], off
	global_load_b64 v[20:21], v[20:21], off
	;; [unrolled: 1-line block ×4, first 2 shown]
	v_mov_b32_e32 v24, v7
	s_waitcnt vmcnt(4)
	v_subrev_nc_u32_e32 v3, s12, v3
	s_delay_alu instid0(VALU_DEP_1) | instskip(NEXT) | instid1(VALU_DEP_1)
	v_mul_lo_u32 v23, v3, 7
	v_lshlrev_b64 v[33:34], 3, v[23:24]
	v_add_nc_u32_e32 v6, 1, v23
	s_delay_alu instid0(VALU_DEP_1) | instskip(NEXT) | instid1(VALU_DEP_3)
	v_lshlrev_b64 v[35:36], 3, v[6:7]
	v_add_co_u32 v33, vcc_lo, s10, v33
	s_delay_alu instid0(VALU_DEP_4) | instskip(NEXT) | instid1(VALU_DEP_3)
	v_add_co_ci_u32_e32 v34, vcc_lo, s11, v34, vcc_lo
	v_add_co_u32 v35, vcc_lo, s10, v35
	global_load_b64 v[33:34], v[33:34], off
	v_add_co_ci_u32_e32 v36, vcc_lo, s11, v36, vcc_lo
	global_load_b64 v[35:36], v[35:36], off
	s_waitcnt vmcnt(1)
	v_dual_fmac_f32 v13, v26, v33 :: v_dual_add_nc_u32 v6, -12, v4
	s_delay_alu instid0(VALU_DEP_1) | instskip(SKIP_4) | instid1(VALU_DEP_4)
	v_lshlrev_b64 v[37:38], 3, v[6:7]
	v_dual_fmac_f32 v19, v20, v33 :: v_dual_add_nc_u32 v6, -5, v4
	v_fmac_f32_e32 v17, v25, v33
	v_fmac_f32_e32 v18, v29, v33
	;; [unrolled: 1-line block ×3, first 2 shown]
	v_lshlrev_b64 v[39:40], 3, v[6:7]
	v_subrev_nc_u32_e32 v6, 18, v4
	v_add_co_u32 v37, vcc_lo, s8, v37
	v_add_co_ci_u32_e32 v38, vcc_lo, s9, v38, vcc_lo
	s_delay_alu instid0(VALU_DEP_3)
	v_lshlrev_b64 v[41:42], 3, v[6:7]
	v_add_nc_u32_e32 v6, 2, v23
	v_add_co_u32 v39, vcc_lo, s8, v39
	global_load_b64 v[37:38], v[37:38], off
	v_add_co_ci_u32_e32 v40, vcc_lo, s9, v40, vcc_lo
	v_lshlrev_b64 v[43:44], 3, v[6:7]
	v_add_co_u32 v41, vcc_lo, s8, v41
	global_load_b64 v[39:40], v[39:40], off
	v_dual_fmac_f32 v13, v25, v34 :: v_dual_add_nc_u32 v6, -11, v4
	v_add_co_ci_u32_e32 v42, vcc_lo, s9, v42, vcc_lo
	v_add_co_u32 v43, vcc_lo, s10, v43
	v_add_co_ci_u32_e32 v44, vcc_lo, s11, v44, vcc_lo
	s_delay_alu instid0(VALU_DEP_4)
	v_lshlrev_b64 v[45:46], 3, v[6:7]
	v_dual_fmac_f32 v15, v20, v34 :: v_dual_add_nc_u32 v6, -4, v4
	global_load_b64 v[41:42], v[41:42], off
	global_load_b64 v[43:44], v[43:44], off
	s_waitcnt vmcnt(4)
	v_dual_fmac_f32 v13, v32, v35 :: v_dual_add_nc_u32 v2, 64, v2
	v_add_co_u32 v45, vcc_lo, s8, v45
	v_lshlrev_b64 v[47:48], 3, v[6:7]
	v_subrev_nc_u32_e32 v6, 17, v4
	v_add_co_ci_u32_e32 v46, vcc_lo, s9, v46, vcc_lo
	v_fmac_f32_e32 v13, v31, v36
	v_fma_f32 v3, -v26, v34, v17
	s_delay_alu instid0(VALU_DEP_4)
	v_lshlrev_b64 v[49:50], 3, v[6:7]
	v_add_nc_u32_e32 v6, 3, v23
	global_load_b64 v[45:46], v[45:46], off
	v_add_co_u32 v47, vcc_lo, s8, v47
	v_add_co_ci_u32_e32 v48, vcc_lo, s9, v48, vcc_lo
	v_lshlrev_b64 v[51:52], 3, v[6:7]
	v_add_co_u32 v49, vcc_lo, s8, v49
	global_load_b64 v[47:48], v[47:48], off
	v_add_co_ci_u32_e32 v50, vcc_lo, s9, v50, vcc_lo
	v_add_co_u32 v51, vcc_lo, s10, v51
	v_add_co_ci_u32_e32 v52, vcc_lo, s11, v52, vcc_lo
	global_load_b64 v[49:50], v[49:50], off
	v_dual_fmac_f32 v3, v31, v35 :: v_dual_add_nc_u32 v6, -10, v4
	global_load_b64 v[51:52], v[51:52], off
	v_fma_f32 v17, -v30, v34, v18
	v_fma_f32 v8, -v21, v34, v19
	v_lshlrev_b64 v[53:54], 3, v[6:7]
	v_add_nc_u32_e32 v6, -3, v4
	v_fma_f32 v3, -v32, v36, v3
	s_delay_alu instid0(VALU_DEP_3) | instskip(NEXT) | instid1(VALU_DEP_4)
	v_add_co_u32 v53, vcc_lo, s8, v53
	v_add_co_ci_u32_e32 v54, vcc_lo, s9, v54, vcc_lo
	global_load_b64 v[53:54], v[53:54], off
	s_waitcnt vmcnt(8)
	v_fmac_f32_e32 v15, v38, v35
	v_lshlrev_b64 v[55:56], 3, v[6:7]
	v_add_nc_u32_e32 v6, -16, v4
	s_delay_alu instid0(VALU_DEP_3) | instskip(SKIP_2) | instid1(VALU_DEP_3)
	v_fmac_f32_e32 v15, v37, v36
	s_waitcnt vmcnt(7)
	v_fmac_f32_e32 v17, v39, v35
	v_lshlrev_b64 v[57:58], 3, v[6:7]
	v_add_nc_u32_e32 v6, 4, v23
	v_add_co_u32 v55, vcc_lo, s8, v55
	v_add_co_ci_u32_e32 v56, vcc_lo, s9, v56, vcc_lo
	s_delay_alu instid0(VALU_DEP_3)
	v_lshlrev_b64 v[59:60], 3, v[6:7]
	v_add_nc_u32_e32 v6, -9, v4
	v_add_co_u32 v57, vcc_lo, s8, v57
	v_add_co_ci_u32_e32 v58, vcc_lo, s9, v58, vcc_lo
	s_waitcnt vmcnt(5)
	v_fmac_f32_e32 v3, v41, v43
	v_lshlrev_b64 v[61:62], 3, v[6:7]
	v_dual_fmac_f32 v13, v42, v43 :: v_dual_add_nc_u32 v6, -2, v4
	v_add_co_u32 v59, vcc_lo, s10, v59
	v_add_co_ci_u32_e32 v60, vcc_lo, s11, v60, vcc_lo
	s_delay_alu instid0(VALU_DEP_3)
	v_lshlrev_b64 v[63:64], 3, v[6:7]
	v_add_nc_u32_e32 v6, -15, v4
	v_add_co_u32 v61, vcc_lo, s8, v61
	v_add_co_ci_u32_e32 v62, vcc_lo, s9, v62, vcc_lo
	s_waitcnt vmcnt(4)
	v_fmac_f32_e32 v15, v46, v43
	v_lshlrev_b64 v[65:66], 3, v[6:7]
	v_dual_fmac_f32 v13, v41, v44 :: v_dual_add_nc_u32 v6, 5, v23
	v_fma_f32 v17, -v40, v36, v17
	v_add_co_u32 v63, vcc_lo, s8, v63
	s_delay_alu instid0(VALU_DEP_3) | instskip(SKIP_1) | instid1(VALU_DEP_3)
	v_lshlrev_b64 v[67:68], 3, v[6:7]
	s_waitcnt vmcnt(3)
	v_dual_fmac_f32 v17, v47, v43 :: v_dual_add_nc_u32 v6, -8, v4
	s_clause 0x1
	global_load_b64 v[55:56], v[55:56], off
	global_load_b64 v[57:58], v[57:58], off
	;; [unrolled: 1-line block ×4, first 2 shown]
	v_add_co_ci_u32_e32 v64, vcc_lo, s9, v64, vcc_lo
	v_add_co_u32 v65, vcc_lo, s8, v65
	v_lshlrev_b64 v[69:70], 3, v[6:7]
	global_load_b64 v[63:64], v[63:64], off
	v_add_co_ci_u32_e32 v66, vcc_lo, s9, v66, vcc_lo
	v_add_co_u32 v67, vcc_lo, s10, v67
	v_fma_f32 v3, -v42, v44, v3
	global_load_b64 v[65:66], v[65:66], off
	v_add_nc_u32_e32 v6, -1, v4
	v_add_co_ci_u32_e32 v68, vcc_lo, s11, v68, vcc_lo
	s_waitcnt vmcnt(7)
	v_fmac_f32_e32 v3, v49, v51
	v_add_co_u32 v69, vcc_lo, s8, v69
	v_lshlrev_b64 v[71:72], 3, v[6:7]
	v_dual_fmac_f32 v13, v50, v51 :: v_dual_add_nc_u32 v6, -14, v4
	v_add_co_ci_u32_e32 v70, vcc_lo, s9, v70, vcc_lo
	global_load_b64 v[67:68], v[67:68], off
	v_lshlrev_b64 v[73:74], 3, v[6:7]
	v_dual_fmac_f32 v15, v45, v44 :: v_dual_add_nc_u32 v6, 6, v23
	global_load_b64 v[22:23], v[69:70], off
	v_add_co_u32 v69, vcc_lo, s8, v71
	v_add_co_ci_u32_e32 v70, vcc_lo, s9, v72, vcc_lo
	v_lshlrev_b64 v[71:72], 3, v[6:7]
	s_waitcnt vmcnt(8)
	v_dual_fmac_f32 v15, v54, v51 :: v_dual_add_nc_u32 v6, -7, v4
	v_add_co_u32 v73, vcc_lo, s8, v73
	global_load_b64 v[69:70], v[69:70], off
	v_lshlrev_b64 v[5:6], 3, v[6:7]
	v_add_co_ci_u32_e32 v74, vcc_lo, s9, v74, vcc_lo
	v_add_co_u32 v71, vcc_lo, s10, v71
	v_add_co_ci_u32_e32 v72, vcc_lo, s11, v72, vcc_lo
	global_load_b64 v[73:74], v[73:74], off
	v_add_co_u32 v5, vcc_lo, s8, v5
	v_add_co_ci_u32_e32 v6, vcc_lo, s9, v6, vcc_lo
	global_load_b64 v[71:72], v[71:72], off
	s_clause 0x1
	global_load_b64 v[5:6], v[5:6], off
	global_load_b64 v[27:28], v[27:28], off
	v_dual_fmac_f32 v14, v30, v33 :: v_dual_fmac_f32 v13, v49, v52
	v_fmac_f32_e32 v15, v53, v52
	v_fma_f32 v3, -v50, v52, v3
	v_fma_f32 v17, -v48, v44, v17
	s_delay_alu instid0(VALU_DEP_4)
	v_fmac_f32_e32 v14, v29, v34
	v_add_nc_u32_e32 v4, 0x540, v4
	v_cmp_ge_i32_e32 vcc_lo, v2, v16
	s_or_b32 s2, vcc_lo, s2
	s_waitcnt vmcnt(12)
	v_fmac_f32_e32 v17, v55, v51
	s_waitcnt vmcnt(10)
	v_fmac_f32_e32 v13, v58, v59
	;; [unrolled: 2-line block ×3, first 2 shown]
	v_fmac_f32_e32 v14, v40, v35
	v_fmac_f32_e32 v3, v57, v59
	v_fma_f32 v17, -v56, v52, v17
	v_fmac_f32_e32 v13, v57, v60
	v_fmac_f32_e32 v15, v61, v60
	;; [unrolled: 1-line block ×3, first 2 shown]
	v_fma_f32 v3, -v58, v60, v3
	s_waitcnt vmcnt(8)
	v_fmac_f32_e32 v17, v63, v59
	s_delay_alu instid0(VALU_DEP_3) | instskip(NEXT) | instid1(VALU_DEP_2)
	v_fmac_f32_e32 v14, v48, v43
	v_fma_f32 v17, -v64, v60, v17
	s_waitcnt vmcnt(6)
	s_delay_alu instid0(VALU_DEP_2) | instskip(SKIP_1) | instid1(VALU_DEP_2)
	v_dual_fmac_f32 v14, v47, v44 :: v_dual_fmac_f32 v3, v65, v67
	v_fmac_f32_e32 v13, v66, v67
	v_fmac_f32_e32 v14, v56, v51
	s_waitcnt vmcnt(5)
	v_fmac_f32_e32 v15, v23, v67
	v_fmac_f32_e32 v8, v37, v35
	;; [unrolled: 1-line block ×4, first 2 shown]
	v_fma_f32 v3, -v66, v68, v3
	v_fmac_f32_e32 v15, v22, v68
	v_fma_f32 v8, -v38, v36, v8
	s_waitcnt vmcnt(4)
	v_fmac_f32_e32 v17, v69, v67
	s_delay_alu instid0(VALU_DEP_2) | instskip(SKIP_1) | instid1(VALU_DEP_3)
	v_fmac_f32_e32 v8, v45, v43
	v_fmac_f32_e32 v14, v64, v59
	v_fma_f32 v18, -v70, v68, v17
	s_delay_alu instid0(VALU_DEP_3) | instskip(NEXT) | instid1(VALU_DEP_3)
	v_fma_f32 v8, -v46, v44, v8
	v_fmac_f32_e32 v14, v63, v60
	s_delay_alu instid0(VALU_DEP_2)
	v_fmac_f32_e32 v8, v53, v51
	s_waitcnt vmcnt(2)
	v_fmac_f32_e32 v3, v73, v71
	v_fmac_f32_e32 v13, v74, v71
	s_waitcnt vmcnt(1)
	v_fmac_f32_e32 v15, v6, v71
	v_fma_f32 v8, -v54, v52, v8
	v_fmac_f32_e32 v14, v70, v67
	s_waitcnt vmcnt(0)
	v_dual_fmac_f32 v18, v27, v71 :: v_dual_fmac_f32 v13, v73, v72
	v_fmac_f32_e32 v15, v5, v72
	v_fmac_f32_e32 v8, v61, v59
	;; [unrolled: 1-line block ×3, first 2 shown]
	v_fma_f32 v17, -v74, v72, v3
	v_fma_f32 v18, -v28, v72, v18
	s_delay_alu instid0(VALU_DEP_4) | instskip(NEXT) | instid1(VALU_DEP_4)
	v_fma_f32 v8, -v62, v60, v8
	v_fmac_f32_e32 v14, v28, v71
	s_delay_alu instid0(VALU_DEP_2) | instskip(NEXT) | instid1(VALU_DEP_2)
	v_fmac_f32_e32 v8, v22, v67
	v_fmac_f32_e32 v14, v27, v72
	s_delay_alu instid0(VALU_DEP_2) | instskip(NEXT) | instid1(VALU_DEP_1)
	v_fma_f32 v8, -v23, v68, v8
	v_fmac_f32_e32 v8, v5, v71
	s_delay_alu instid0(VALU_DEP_1)
	v_fma_f32 v19, -v6, v72, v8
	s_and_not1_b32 exec_lo, exec_lo, s2
	s_cbranch_execnz .LBB103_21
; %bb.22:
	s_or_b32 exec_lo, exec_lo, s2
.LBB103_23:
	s_delay_alu instid0(SALU_CYCLE_1)
	s_or_b32 exec_lo, exec_lo, s3
.LBB103_24:
	v_mbcnt_lo_u32_b32 v2, -1, 0
	s_delay_alu instid0(VALU_DEP_1) | instskip(SKIP_1) | instid1(VALU_DEP_2)
	v_or_b32_e32 v3, 32, v2
	v_xor_b32_e32 v16, 16, v2
	v_cmp_gt_i32_e32 vcc_lo, 32, v3
	v_cndmask_b32_e32 v3, v2, v3, vcc_lo
	s_delay_alu instid0(VALU_DEP_3) | instskip(SKIP_1) | instid1(VALU_DEP_1)
	v_cmp_gt_i32_e32 vcc_lo, 32, v16
	v_cndmask_b32_e32 v16, v2, v16, vcc_lo
	v_lshlrev_b32_e32 v16, 2, v16
	s_delay_alu instid0(VALU_DEP_4)
	v_lshlrev_b32_e32 v3, 2, v3
	ds_bpermute_b32 v4, v3, v17
	s_waitcnt lgkmcnt(0)
	v_add_f32_e32 v4, v17, v4
	ds_bpermute_b32 v5, v3, v13
	ds_bpermute_b32 v6, v3, v19
	;; [unrolled: 1-line block ×5, first 2 shown]
	s_waitcnt lgkmcnt(3)
	v_dual_add_f32 v5, v13, v5 :: v_dual_add_f32 v6, v19, v6
	s_waitcnt lgkmcnt(1)
	v_dual_add_f32 v7, v15, v7 :: v_dual_add_f32 v8, v18, v8
	s_waitcnt lgkmcnt(0)
	v_add_f32_e32 v3, v14, v3
	ds_bpermute_b32 v13, v16, v4
	ds_bpermute_b32 v14, v16, v5
	;; [unrolled: 1-line block ×4, first 2 shown]
	v_xor_b32_e32 v19, 8, v2
	ds_bpermute_b32 v17, v16, v7
	ds_bpermute_b32 v16, v16, v3
	v_cmp_gt_i32_e32 vcc_lo, 32, v19
	s_waitcnt lgkmcnt(5)
	v_dual_cndmask_b32 v19, v2, v19 :: v_dual_add_f32 v4, v4, v13
	s_delay_alu instid0(VALU_DEP_1)
	v_lshlrev_b32_e32 v19, 2, v19
	s_waitcnt lgkmcnt(3)
	v_dual_add_f32 v5, v5, v14 :: v_dual_add_f32 v6, v6, v15
	s_waitcnt lgkmcnt(2)
	v_add_f32_e32 v8, v8, v18
	ds_bpermute_b32 v13, v19, v4
	s_waitcnt lgkmcnt(1)
	v_add_f32_e32 v3, v3, v16
	ds_bpermute_b32 v15, v19, v6
	v_add_f32_e32 v7, v7, v17
	ds_bpermute_b32 v17, v19, v8
	ds_bpermute_b32 v14, v19, v5
	s_waitcnt lgkmcnt(3)
	v_add_f32_e32 v4, v4, v13
	ds_bpermute_b32 v18, v19, v3
	s_waitcnt lgkmcnt(3)
	v_add_f32_e32 v6, v6, v15
	ds_bpermute_b32 v16, v19, v7
	v_xor_b32_e32 v19, 4, v2
	s_waitcnt lgkmcnt(3)
	v_add_f32_e32 v8, v8, v17
	s_delay_alu instid0(VALU_DEP_2) | instskip(SKIP_1) | instid1(VALU_DEP_1)
	v_cmp_gt_i32_e32 vcc_lo, 32, v19
	v_cndmask_b32_e32 v19, v2, v19, vcc_lo
	v_lshlrev_b32_e32 v19, 2, v19
	s_waitcnt lgkmcnt(1)
	v_add_f32_e32 v3, v3, v18
	ds_bpermute_b32 v13, v19, v4
	s_waitcnt lgkmcnt(0)
	v_add_f32_e32 v4, v4, v13
	ds_bpermute_b32 v15, v19, v6
	v_add_f32_e32 v5, v5, v14
	ds_bpermute_b32 v17, v19, v8
	;; [unrolled: 2-line block ×3, first 2 shown]
	s_waitcnt lgkmcnt(2)
	v_add_f32_e32 v6, v6, v15
	ds_bpermute_b32 v14, v19, v5
	s_waitcnt lgkmcnt(1)
	v_add_f32_e32 v15, v3, v18
	s_waitcnt lgkmcnt(0)
	v_dual_add_f32 v5, v5, v14 :: v_dual_add_f32 v14, v8, v17
	ds_bpermute_b32 v16, v19, v7
	v_xor_b32_e32 v19, 2, v2
	s_delay_alu instid0(VALU_DEP_1) | instskip(SKIP_3) | instid1(VALU_DEP_1)
	v_cmp_gt_i32_e32 vcc_lo, 32, v19
	s_waitcnt lgkmcnt(0)
	v_add_f32_e32 v13, v7, v16
	v_cndmask_b32_e32 v19, v2, v19, vcc_lo
	v_lshlrev_b32_e32 v19, 2, v19
	ds_bpermute_b32 v3, v19, v4
	ds_bpermute_b32 v7, v19, v5
	ds_bpermute_b32 v8, v19, v6
	ds_bpermute_b32 v16, v19, v13
	ds_bpermute_b32 v17, v19, v14
	ds_bpermute_b32 v18, v19, v15
	v_xor_b32_e32 v19, 1, v2
	s_delay_alu instid0(VALU_DEP_1) | instskip(SKIP_3) | instid1(VALU_DEP_2)
	v_cmp_gt_i32_e32 vcc_lo, 32, v19
	v_cndmask_b32_e32 v2, v2, v19, vcc_lo
	v_cmp_eq_u32_e32 vcc_lo, 63, v0
	s_waitcnt lgkmcnt(5)
	v_dual_add_f32 v2, v4, v3 :: v_dual_lshlrev_b32 v19, 2, v2
	s_waitcnt lgkmcnt(4)
	v_add_f32_e32 v5, v5, v7
	s_waitcnt lgkmcnt(0)
	v_dual_add_f32 v7, v6, v8 :: v_dual_add_f32 v4, v15, v18
	v_dual_add_f32 v8, v13, v16 :: v_dual_add_f32 v3, v14, v17
	ds_bpermute_b32 v6, v19, v2
	ds_bpermute_b32 v15, v19, v5
	;; [unrolled: 1-line block ×6, first 2 shown]
	s_and_b32 exec_lo, exec_lo, vcc_lo
	s_cbranch_execz .LBB103_29
; %bb.25:
	s_load_b64 s[2:3], s[0:1], 0x38
	v_cmp_eq_f32_e32 vcc_lo, 0, v11
	v_cmp_eq_f32_e64 s0, 0, v12
	s_waitcnt lgkmcnt(0)
	v_add_f32_e32 v0, v2, v6
	v_dual_add_f32 v6, v5, v15 :: v_dual_add_f32 v3, v3, v13
	v_dual_add_f32 v2, v7, v16 :: v_dual_add_f32 v5, v8, v17
	v_add_f32_e32 v4, v4, v14
	s_and_b32 s0, vcc_lo, s0
	s_delay_alu instid0(SALU_CYCLE_1) | instskip(NEXT) | instid1(SALU_CYCLE_1)
	s_and_saveexec_b32 s1, s0
	s_xor_b32 s0, exec_lo, s1
	s_cbranch_execz .LBB103_27
; %bb.26:
	v_lshl_add_u32 v7, v1, 1, v1
	v_mul_f32_e64 v11, v6, -v10
	v_mul_f32_e32 v12, v6, v9
	v_mul_f32_e64 v13, v5, -v10
	v_mul_f32_e32 v14, v5, v9
	v_ashrrev_i32_e32 v8, 31, v7
	v_fmac_f32_e32 v11, v9, v0
	v_mul_f32_e64 v5, v4, -v10
	v_dual_mul_f32 v6, v4, v9 :: v_dual_fmac_f32 v13, v9, v2
	s_delay_alu instid0(VALU_DEP_4) | instskip(NEXT) | instid1(VALU_DEP_3)
	v_lshlrev_b64 v[7:8], 3, v[7:8]
	v_dual_fmac_f32 v12, v10, v0 :: v_dual_fmac_f32 v5, v9, v3
	v_fmac_f32_e32 v14, v10, v2
	s_delay_alu instid0(VALU_DEP_4) | instskip(NEXT) | instid1(VALU_DEP_4)
	v_fmac_f32_e32 v6, v10, v3
                                        ; implicit-def: $vgpr9
                                        ; implicit-def: $vgpr10
                                        ; implicit-def: $vgpr2
                                        ; implicit-def: $vgpr3
                                        ; implicit-def: $vgpr4
	v_add_co_u32 v0, vcc_lo, s2, v7
	v_add_co_ci_u32_e32 v1, vcc_lo, s3, v8, vcc_lo
	s_clause 0x1
	global_store_b128 v[0:1], v[11:14], off
	global_store_b64 v[0:1], v[5:6], off offset:16
                                        ; implicit-def: $vgpr11
                                        ; implicit-def: $vgpr12
                                        ; implicit-def: $vgpr1
                                        ; implicit-def: $vgpr0
                                        ; implicit-def: $vgpr6
                                        ; implicit-def: $vgpr5
.LBB103_27:
	s_and_not1_saveexec_b32 s0, s0
	s_cbranch_execz .LBB103_29
; %bb.28:
	v_lshl_add_u32 v7, v1, 1, v1
	v_mul_f32_e64 v21, v5, -v10
	v_mul_f32_e64 v22, v4, -v10
	s_delay_alu instid0(VALU_DEP_3) | instskip(NEXT) | instid1(VALU_DEP_1)
	v_ashrrev_i32_e32 v8, 31, v7
	v_lshlrev_b64 v[7:8], 3, v[7:8]
	s_delay_alu instid0(VALU_DEP_1) | instskip(NEXT) | instid1(VALU_DEP_2)
	v_add_co_u32 v17, vcc_lo, s2, v7
	v_add_co_ci_u32_e32 v18, vcc_lo, s3, v8, vcc_lo
	v_mul_f32_e64 v7, v6, -v10
	v_mul_f32_e32 v6, v6, v9
	s_clause 0x1
	global_load_b128 v[13:16], v[17:18], off
	global_load_b64 v[19:20], v[17:18], off offset:16
	v_fmac_f32_e32 v7, v9, v0
	v_dual_mul_f32 v1, v4, v9 :: v_dual_fmac_f32 v6, v10, v0
	v_mul_f32_e32 v8, v5, v9
	v_fmac_f32_e32 v21, v9, v2
	s_delay_alu instid0(VALU_DEP_3) | instskip(SKIP_1) | instid1(VALU_DEP_3)
	v_fmac_f32_e32 v1, v10, v3
	s_waitcnt vmcnt(1)
	v_dual_fmac_f32 v8, v10, v2 :: v_dual_fmac_f32 v7, v11, v13
	v_fmac_f32_e32 v6, v12, v13
	s_waitcnt vmcnt(0)
	v_fmac_f32_e32 v1, v12, v19
	v_fmac_f32_e32 v21, v11, v15
	;; [unrolled: 1-line block ×3, first 2 shown]
	v_fma_f32 v5, -v12, v14, v7
	v_fmac_f32_e32 v6, v11, v14
	v_dual_fmac_f32 v22, v9, v3 :: v_dual_fmac_f32 v1, v11, v20
	v_fma_f32 v7, -v12, v16, v21
	v_fmac_f32_e32 v8, v11, v16
	s_delay_alu instid0(VALU_DEP_3) | instskip(NEXT) | instid1(VALU_DEP_1)
	v_fmac_f32_e32 v22, v11, v19
	v_fma_f32 v0, -v12, v20, v22
	s_clause 0x1
	global_store_b128 v[17:18], v[5:8], off
	global_store_b64 v[17:18], v[0:1], off offset:16
.LBB103_29:
	s_nop 0
	s_sendmsg sendmsg(MSG_DEALLOC_VGPRS)
	s_endpgm
	.section	.rodata,"a",@progbits
	.p2align	6, 0x0
	.amdhsa_kernel _ZN9rocsparseL19gebsrmvn_3xn_kernelILj128ELj7ELj64E21rocsparse_complex_numIfEEEvi20rocsparse_direction_NS_24const_host_device_scalarIT2_EEPKiS8_PKS5_SA_S6_PS5_21rocsparse_index_base_b
		.amdhsa_group_segment_fixed_size 0
		.amdhsa_private_segment_fixed_size 0
		.amdhsa_kernarg_size 72
		.amdhsa_user_sgpr_count 15
		.amdhsa_user_sgpr_dispatch_ptr 0
		.amdhsa_user_sgpr_queue_ptr 0
		.amdhsa_user_sgpr_kernarg_segment_ptr 1
		.amdhsa_user_sgpr_dispatch_id 0
		.amdhsa_user_sgpr_private_segment_size 0
		.amdhsa_wavefront_size32 1
		.amdhsa_uses_dynamic_stack 0
		.amdhsa_enable_private_segment 0
		.amdhsa_system_sgpr_workgroup_id_x 1
		.amdhsa_system_sgpr_workgroup_id_y 0
		.amdhsa_system_sgpr_workgroup_id_z 0
		.amdhsa_system_sgpr_workgroup_info 0
		.amdhsa_system_vgpr_workitem_id 0
		.amdhsa_next_free_vgpr 75
		.amdhsa_next_free_sgpr 16
		.amdhsa_reserve_vcc 1
		.amdhsa_float_round_mode_32 0
		.amdhsa_float_round_mode_16_64 0
		.amdhsa_float_denorm_mode_32 3
		.amdhsa_float_denorm_mode_16_64 3
		.amdhsa_dx10_clamp 1
		.amdhsa_ieee_mode 1
		.amdhsa_fp16_overflow 0
		.amdhsa_workgroup_processor_mode 1
		.amdhsa_memory_ordered 1
		.amdhsa_forward_progress 0
		.amdhsa_shared_vgpr_count 0
		.amdhsa_exception_fp_ieee_invalid_op 0
		.amdhsa_exception_fp_denorm_src 0
		.amdhsa_exception_fp_ieee_div_zero 0
		.amdhsa_exception_fp_ieee_overflow 0
		.amdhsa_exception_fp_ieee_underflow 0
		.amdhsa_exception_fp_ieee_inexact 0
		.amdhsa_exception_int_div_zero 0
	.end_amdhsa_kernel
	.section	.text._ZN9rocsparseL19gebsrmvn_3xn_kernelILj128ELj7ELj64E21rocsparse_complex_numIfEEEvi20rocsparse_direction_NS_24const_host_device_scalarIT2_EEPKiS8_PKS5_SA_S6_PS5_21rocsparse_index_base_b,"axG",@progbits,_ZN9rocsparseL19gebsrmvn_3xn_kernelILj128ELj7ELj64E21rocsparse_complex_numIfEEEvi20rocsparse_direction_NS_24const_host_device_scalarIT2_EEPKiS8_PKS5_SA_S6_PS5_21rocsparse_index_base_b,comdat
.Lfunc_end103:
	.size	_ZN9rocsparseL19gebsrmvn_3xn_kernelILj128ELj7ELj64E21rocsparse_complex_numIfEEEvi20rocsparse_direction_NS_24const_host_device_scalarIT2_EEPKiS8_PKS5_SA_S6_PS5_21rocsparse_index_base_b, .Lfunc_end103-_ZN9rocsparseL19gebsrmvn_3xn_kernelILj128ELj7ELj64E21rocsparse_complex_numIfEEEvi20rocsparse_direction_NS_24const_host_device_scalarIT2_EEPKiS8_PKS5_SA_S6_PS5_21rocsparse_index_base_b
                                        ; -- End function
	.section	.AMDGPU.csdata,"",@progbits
; Kernel info:
; codeLenInByte = 4932
; NumSgprs: 18
; NumVgprs: 75
; ScratchSize: 0
; MemoryBound: 0
; FloatMode: 240
; IeeeMode: 1
; LDSByteSize: 0 bytes/workgroup (compile time only)
; SGPRBlocks: 2
; VGPRBlocks: 9
; NumSGPRsForWavesPerEU: 18
; NumVGPRsForWavesPerEU: 75
; Occupancy: 16
; WaveLimiterHint : 1
; COMPUTE_PGM_RSRC2:SCRATCH_EN: 0
; COMPUTE_PGM_RSRC2:USER_SGPR: 15
; COMPUTE_PGM_RSRC2:TRAP_HANDLER: 0
; COMPUTE_PGM_RSRC2:TGID_X_EN: 1
; COMPUTE_PGM_RSRC2:TGID_Y_EN: 0
; COMPUTE_PGM_RSRC2:TGID_Z_EN: 0
; COMPUTE_PGM_RSRC2:TIDIG_COMP_CNT: 0
	.section	.text._ZN9rocsparseL19gebsrmvn_3xn_kernelILj128ELj8ELj4E21rocsparse_complex_numIfEEEvi20rocsparse_direction_NS_24const_host_device_scalarIT2_EEPKiS8_PKS5_SA_S6_PS5_21rocsparse_index_base_b,"axG",@progbits,_ZN9rocsparseL19gebsrmvn_3xn_kernelILj128ELj8ELj4E21rocsparse_complex_numIfEEEvi20rocsparse_direction_NS_24const_host_device_scalarIT2_EEPKiS8_PKS5_SA_S6_PS5_21rocsparse_index_base_b,comdat
	.globl	_ZN9rocsparseL19gebsrmvn_3xn_kernelILj128ELj8ELj4E21rocsparse_complex_numIfEEEvi20rocsparse_direction_NS_24const_host_device_scalarIT2_EEPKiS8_PKS5_SA_S6_PS5_21rocsparse_index_base_b ; -- Begin function _ZN9rocsparseL19gebsrmvn_3xn_kernelILj128ELj8ELj4E21rocsparse_complex_numIfEEEvi20rocsparse_direction_NS_24const_host_device_scalarIT2_EEPKiS8_PKS5_SA_S6_PS5_21rocsparse_index_base_b
	.p2align	8
	.type	_ZN9rocsparseL19gebsrmvn_3xn_kernelILj128ELj8ELj4E21rocsparse_complex_numIfEEEvi20rocsparse_direction_NS_24const_host_device_scalarIT2_EEPKiS8_PKS5_SA_S6_PS5_21rocsparse_index_base_b,@function
_ZN9rocsparseL19gebsrmvn_3xn_kernelILj128ELj8ELj4E21rocsparse_complex_numIfEEEvi20rocsparse_direction_NS_24const_host_device_scalarIT2_EEPKiS8_PKS5_SA_S6_PS5_21rocsparse_index_base_b: ; @_ZN9rocsparseL19gebsrmvn_3xn_kernelILj128ELj8ELj4E21rocsparse_complex_numIfEEEvi20rocsparse_direction_NS_24const_host_device_scalarIT2_EEPKiS8_PKS5_SA_S6_PS5_21rocsparse_index_base_b
; %bb.0:
	s_clause 0x2
	s_load_b64 s[12:13], s[0:1], 0x40
	s_load_b64 s[4:5], s[0:1], 0x8
	;; [unrolled: 1-line block ×3, first 2 shown]
	s_waitcnt lgkmcnt(0)
	s_bitcmp1_b32 s13, 0
	v_mov_b32_e32 v9, s4
	s_cselect_b32 s6, -1, 0
	s_delay_alu instid0(SALU_CYCLE_1)
	s_and_b32 vcc_lo, exec_lo, s6
	s_xor_b32 s6, s6, -1
	s_cbranch_vccz .LBB104_15
; %bb.1:
	v_cndmask_b32_e64 v1, 0, 1, s6
	v_mov_b32_e32 v10, s5
	s_and_not1_b32 vcc_lo, exec_lo, s6
	s_cbranch_vccz .LBB104_16
.LBB104_2:
	s_delay_alu instid0(VALU_DEP_2)
	v_cmp_ne_u32_e32 vcc_lo, 1, v1
	v_mov_b32_e32 v11, s2
	s_cbranch_vccz .LBB104_17
.LBB104_3:
	v_cmp_ne_u32_e32 vcc_lo, 1, v1
	v_mov_b32_e32 v12, s3
	s_cbranch_vccnz .LBB104_5
.LBB104_4:
	v_dual_mov_b32 v1, s2 :: v_dual_mov_b32 v2, s3
	flat_load_b32 v12, v[1:2] offset:4
.LBB104_5:
	s_waitcnt vmcnt(0) lgkmcnt(0)
	v_cmp_eq_f32_e32 vcc_lo, 0, v9
	v_cmp_eq_f32_e64 s2, 0, v10
	s_delay_alu instid0(VALU_DEP_1)
	s_and_b32 s4, vcc_lo, s2
	s_mov_b32 s2, -1
	s_and_saveexec_b32 s3, s4
; %bb.6:
	v_cmp_neq_f32_e32 vcc_lo, 1.0, v11
	v_cmp_neq_f32_e64 s2, 0, v12
	s_delay_alu instid0(VALU_DEP_1) | instskip(NEXT) | instid1(SALU_CYCLE_1)
	s_or_b32 s2, vcc_lo, s2
	s_or_not1_b32 s2, s2, exec_lo
; %bb.7:
	s_or_b32 exec_lo, exec_lo, s3
	s_and_saveexec_b32 s3, s2
	s_cbranch_execz .LBB104_29
; %bb.8:
	s_load_b64 s[2:3], s[0:1], 0x0
	v_lshrrev_b32_e32 v1, 2, v0
	s_delay_alu instid0(VALU_DEP_1) | instskip(SKIP_1) | instid1(VALU_DEP_1)
	v_lshl_or_b32 v1, s15, 5, v1
	s_waitcnt lgkmcnt(0)
	v_cmp_gt_i32_e32 vcc_lo, s2, v1
	s_and_b32 exec_lo, exec_lo, vcc_lo
	s_cbranch_execz .LBB104_29
; %bb.9:
	s_load_b256 s[4:11], s[0:1], 0x10
	v_ashrrev_i32_e32 v2, 31, v1
	v_and_b32_e32 v0, 3, v0
	s_cmp_lg_u32 s3, 0
	s_delay_alu instid0(VALU_DEP_2) | instskip(SKIP_1) | instid1(VALU_DEP_1)
	v_lshlrev_b64 v[2:3], 2, v[1:2]
	s_waitcnt lgkmcnt(0)
	v_add_co_u32 v2, vcc_lo, s4, v2
	s_delay_alu instid0(VALU_DEP_2) | instskip(SKIP_4) | instid1(VALU_DEP_2)
	v_add_co_ci_u32_e32 v3, vcc_lo, s5, v3, vcc_lo
	global_load_b64 v[2:3], v[2:3], off
	s_waitcnt vmcnt(0)
	v_subrev_nc_u32_e32 v2, s12, v2
	v_subrev_nc_u32_e32 v16, s12, v3
	v_add_nc_u32_e32 v2, v2, v0
	s_delay_alu instid0(VALU_DEP_1)
	v_cmp_lt_i32_e64 s2, v2, v16
	s_cbranch_scc0 .LBB104_18
; %bb.10:
	v_dual_mov_b32 v13, 0 :: v_dual_mov_b32 v18, 0
	v_dual_mov_b32 v17, 0 :: v_dual_mov_b32 v14, 0
	v_mov_b32_e32 v19, 0
	v_mov_b32_e32 v15, 0
	s_mov_b32 s3, 0
	s_and_saveexec_b32 s4, s2
	s_cbranch_execz .LBB104_14
; %bb.11:
	v_mad_u64_u32 v[3:4], null, v2, 24, 23
	v_dual_mov_b32 v6, 0 :: v_dual_mov_b32 v7, v2
	v_dual_mov_b32 v13, 0 :: v_dual_mov_b32 v18, 0
	;; [unrolled: 1-line block ×3, first 2 shown]
	v_mov_b32_e32 v19, 0
	v_mov_b32_e32 v15, 0
	s_mov_b32 s5, 0
.LBB104_12:                             ; =>This Inner Loop Header: Depth=1
	v_ashrrev_i32_e32 v8, 31, v7
	s_delay_alu instid0(VALU_DEP_1) | instskip(NEXT) | instid1(VALU_DEP_1)
	v_lshlrev_b64 v[4:5], 2, v[7:8]
	v_add_co_u32 v4, vcc_lo, s6, v4
	s_delay_alu instid0(VALU_DEP_2) | instskip(SKIP_3) | instid1(VALU_DEP_2)
	v_add_co_ci_u32_e32 v5, vcc_lo, s7, v5, vcc_lo
	global_load_b32 v8, v[4:5], off
	v_subrev_nc_u32_e32 v5, 23, v3
	v_mov_b32_e32 v4, v6
	v_lshlrev_b64 v[20:21], 3, v[5:6]
	v_add_nc_u32_e32 v5, -15, v3
	s_delay_alu instid0(VALU_DEP_3) | instskip(NEXT) | instid1(VALU_DEP_2)
	v_lshlrev_b64 v[22:23], 3, v[3:4]
	v_lshlrev_b64 v[28:29], 3, v[5:6]
	s_delay_alu instid0(VALU_DEP_4) | instskip(SKIP_1) | instid1(VALU_DEP_4)
	v_add_co_u32 v32, vcc_lo, s8, v20
	v_add_co_ci_u32_e32 v33, vcc_lo, s9, v21, vcc_lo
	v_add_co_u32 v52, vcc_lo, s8, v22
	v_add_co_ci_u32_e32 v53, vcc_lo, s9, v23, vcc_lo
	v_add_co_u32 v40, vcc_lo, s8, v28
	s_clause 0x1
	global_load_b128 v[20:23], v[32:33], off offset:48
	global_load_b128 v[24:27], v[32:33], off offset:32
	v_add_co_ci_u32_e32 v41, vcc_lo, s9, v29, vcc_lo
	s_clause 0x1
	global_load_b128 v[28:31], v[32:33], off offset:16
	global_load_b128 v[32:35], v[32:33], off
	v_add_nc_u32_e32 v5, -14, v3
	global_load_b64 v[54:55], v[40:41], off
	v_lshlrev_b64 v[38:39], 3, v[5:6]
	v_add_nc_u32_e32 v5, -13, v3
	s_delay_alu instid0(VALU_DEP_1) | instskip(NEXT) | instid1(VALU_DEP_3)
	v_lshlrev_b64 v[42:43], 3, v[5:6]
	v_add_co_u32 v38, vcc_lo, s8, v38
	s_delay_alu instid0(VALU_DEP_4) | instskip(SKIP_1) | instid1(VALU_DEP_4)
	v_add_co_ci_u32_e32 v39, vcc_lo, s9, v39, vcc_lo
	v_add_nc_u32_e32 v5, -12, v3
	v_add_co_u32 v42, vcc_lo, s8, v42
	v_add_co_ci_u32_e32 v43, vcc_lo, s9, v43, vcc_lo
	s_clause 0x1
	global_load_b64 v[58:59], v[42:43], off
	global_load_b64 v[56:57], v[38:39], off
	v_lshlrev_b64 v[40:41], 3, v[5:6]
	v_add_nc_u32_e32 v5, -11, v3
	s_delay_alu instid0(VALU_DEP_1) | instskip(SKIP_1) | instid1(VALU_DEP_4)
	v_lshlrev_b64 v[38:39], 3, v[5:6]
	v_add_nc_u32_e32 v5, -10, v3
	v_add_co_u32 v40, vcc_lo, s8, v40
	v_add_co_ci_u32_e32 v41, vcc_lo, s9, v41, vcc_lo
	s_delay_alu instid0(VALU_DEP_4) | instskip(NEXT) | instid1(VALU_DEP_4)
	v_add_co_u32 v38, vcc_lo, s8, v38
	v_lshlrev_b64 v[42:43], 3, v[5:6]
	v_add_nc_u32_e32 v5, -9, v3
	v_add_co_ci_u32_e32 v39, vcc_lo, s9, v39, vcc_lo
	s_clause 0x1
	global_load_b64 v[60:61], v[40:41], off
	global_load_b64 v[62:63], v[38:39], off
	v_lshlrev_b64 v[40:41], 3, v[5:6]
	v_add_nc_u32_e32 v5, -8, v3
	v_add_co_u32 v38, vcc_lo, s8, v42
	v_add_co_ci_u32_e32 v39, vcc_lo, s9, v43, vcc_lo
	s_delay_alu instid0(VALU_DEP_3) | instskip(SKIP_3) | instid1(VALU_DEP_3)
	v_lshlrev_b64 v[42:43], 3, v[5:6]
	v_add_nc_u32_e32 v5, -7, v3
	v_add_co_u32 v40, vcc_lo, s8, v40
	v_add_co_ci_u32_e32 v41, vcc_lo, s9, v41, vcc_lo
	v_lshlrev_b64 v[44:45], 3, v[5:6]
	v_add_nc_u32_e32 v5, -6, v3
	v_add_co_u32 v46, vcc_lo, s8, v42
	v_add_co_ci_u32_e32 v47, vcc_lo, s9, v43, vcc_lo
	s_delay_alu instid0(VALU_DEP_3)
	v_lshlrev_b64 v[48:49], 3, v[5:6]
	s_clause 0x1
	global_load_b64 v[64:65], v[38:39], off
	global_load_b64 v[66:67], v[40:41], off
	s_waitcnt vmcnt(11)
	v_subrev_nc_u32_e32 v4, s12, v8
	s_delay_alu instid0(VALU_DEP_1) | instskip(NEXT) | instid1(VALU_DEP_1)
	v_dual_mov_b32 v37, v6 :: v_dual_lshlrev_b32 v36, 3, v4
	v_lshlrev_b64 v[4:5], 3, v[36:37]
	s_delay_alu instid0(VALU_DEP_1) | instskip(NEXT) | instid1(VALU_DEP_2)
	v_add_co_u32 v50, vcc_lo, s10, v4
	v_add_co_ci_u32_e32 v51, vcc_lo, s11, v5, vcc_lo
	v_add_co_u32 v44, vcc_lo, s8, v44
	v_add_co_ci_u32_e32 v45, vcc_lo, s9, v45, vcc_lo
	s_clause 0x1
	global_load_b128 v[36:39], v[50:51], off
	global_load_b128 v[40:43], v[50:51], off offset:16
	s_clause 0x1
	global_load_b64 v[68:69], v[46:47], off
	global_load_b64 v[70:71], v[44:45], off
	v_add_co_u32 v44, vcc_lo, s8, v48
	v_add_co_ci_u32_e32 v45, vcc_lo, s9, v49, vcc_lo
	global_load_b64 v[74:75], v[44:45], off
	s_waitcnt vmcnt(4)
	v_fmac_f32_e32 v14, v29, v36
	v_fmac_f32_e32 v18, v28, v36
	s_delay_alu instid0(VALU_DEP_2) | instskip(NEXT) | instid1(VALU_DEP_2)
	v_fmac_f32_e32 v14, v28, v37
	v_fma_f32 v18, -v29, v37, v18
	s_delay_alu instid0(VALU_DEP_2) | instskip(NEXT) | instid1(VALU_DEP_2)
	v_dual_fmac_f32 v14, v27, v38 :: v_dual_fmac_f32 v17, v32, v36
	v_fmac_f32_e32 v18, v26, v38
	s_delay_alu instid0(VALU_DEP_2) | instskip(NEXT) | instid1(VALU_DEP_3)
	v_fmac_f32_e32 v14, v26, v39
	v_fma_f32 v8, -v33, v37, v17
	s_delay_alu instid0(VALU_DEP_3) | instskip(SKIP_1) | instid1(VALU_DEP_3)
	v_fma_f32 v18, -v27, v39, v18
	s_waitcnt vmcnt(3)
	v_dual_fmac_f32 v14, v55, v40 :: v_dual_add_nc_u32 v5, -5, v3
	s_delay_alu instid0(VALU_DEP_3) | instskip(NEXT) | instid1(VALU_DEP_3)
	v_fmac_f32_e32 v8, v30, v38
	v_fmac_f32_e32 v18, v54, v40
	s_delay_alu instid0(VALU_DEP_3) | instskip(NEXT) | instid1(VALU_DEP_4)
	v_fmac_f32_e32 v14, v54, v41
	v_lshlrev_b64 v[46:47], 3, v[5:6]
	s_delay_alu instid0(VALU_DEP_4) | instskip(NEXT) | instid1(VALU_DEP_4)
	v_fma_f32 v8, -v31, v39, v8
	v_fma_f32 v18, -v55, v41, v18
	s_delay_alu instid0(VALU_DEP_4) | instskip(SKIP_3) | instid1(VALU_DEP_4)
	v_fmac_f32_e32 v14, v61, v42
	v_fmac_f32_e32 v13, v33, v36
	v_add_co_u32 v46, vcc_lo, s8, v46
	v_add_co_ci_u32_e32 v47, vcc_lo, s9, v47, vcc_lo
	v_fmac_f32_e32 v14, v60, v43
	v_fmac_f32_e32 v8, v20, v40
	;; [unrolled: 1-line block ×3, first 2 shown]
	global_load_b64 v[78:79], v[46:47], off
	s_clause 0x1
	global_load_b128 v[44:47], v[50:51], off offset:32
	global_load_b128 v[48:51], v[50:51], off offset:48
	v_fma_f32 v8, -v21, v41, v8
	v_add_nc_u32_e32 v5, -4, v3
	v_fma_f32 v18, -v61, v43, v18
	s_delay_alu instid0(VALU_DEP_3) | instskip(NEXT) | instid1(VALU_DEP_3)
	v_dual_fmac_f32 v8, v56, v42 :: v_dual_add_nc_u32 v7, 4, v7
	v_lshlrev_b64 v[72:73], 3, v[5:6]
	v_add_nc_u32_e32 v5, -3, v3
	s_delay_alu instid0(VALU_DEP_3) | instskip(NEXT) | instid1(VALU_DEP_2)
	v_fma_f32 v8, -v57, v43, v8
	v_lshlrev_b64 v[76:77], 3, v[5:6]
	v_add_nc_u32_e32 v5, -2, v3
	v_add_co_u32 v72, vcc_lo, s8, v72
	v_add_co_ci_u32_e32 v73, vcc_lo, s9, v73, vcc_lo
	s_delay_alu instid0(VALU_DEP_3)
	v_lshlrev_b64 v[80:81], 3, v[5:6]
	v_add_nc_u32_e32 v5, -1, v3
	v_add_co_u32 v76, vcc_lo, s8, v76
	v_add_co_ci_u32_e32 v77, vcc_lo, s9, v77, vcc_lo
	global_load_b64 v[72:73], v[72:73], off
	v_add_co_u32 v80, vcc_lo, s8, v80
	global_load_b64 v[76:77], v[76:77], off
	v_add_co_ci_u32_e32 v81, vcc_lo, s9, v81, vcc_lo
	s_waitcnt vmcnt(3)
	v_dual_fmac_f32 v14, v67, v44 :: v_dual_add_nc_u32 v3, 0x60, v3
	v_fmac_f32_e32 v8, v62, v44
	v_lshlrev_b64 v[4:5], 3, v[5:6]
	v_fmac_f32_e32 v15, v35, v36
	v_fmac_f32_e32 v18, v66, v44
	;; [unrolled: 1-line block ×3, first 2 shown]
	v_fma_f32 v8, -v63, v45, v8
	v_fmac_f32_e32 v19, v34, v36
	v_add_co_u32 v4, vcc_lo, s8, v4
	v_add_co_ci_u32_e32 v5, vcc_lo, s9, v5, vcc_lo
	s_delay_alu instid0(VALU_DEP_4)
	v_fmac_f32_e32 v8, v68, v46
	s_clause 0x2
	global_load_b64 v[80:81], v[80:81], off
	global_load_b64 v[4:5], v[4:5], off
	;; [unrolled: 1-line block ×3, first 2 shown]
	v_dual_fmac_f32 v15, v34, v37 :: v_dual_fmac_f32 v14, v75, v46
	v_fma_f32 v18, -v67, v45, v18
	v_fmac_f32_e32 v13, v32, v37
	v_fma_f32 v17, -v35, v37, v19
	v_fma_f32 v8, -v69, v47, v8
	v_fmac_f32_e32 v14, v74, v47
	v_fmac_f32_e32 v18, v74, v46
	;; [unrolled: 1-line block ×3, first 2 shown]
	s_waitcnt vmcnt(5)
	v_dual_fmac_f32 v17, v24, v38 :: v_dual_fmac_f32 v8, v78, v48
	v_cmp_ge_i32_e32 vcc_lo, v7, v16
	v_fma_f32 v18, -v75, v47, v18
	v_fmac_f32_e32 v15, v25, v38
	s_waitcnt vmcnt(3)
	v_dual_fmac_f32 v13, v30, v39 :: v_dual_fmac_f32 v14, v77, v48
	v_fma_f32 v17, -v25, v39, v17
	v_fmac_f32_e32 v18, v76, v48
	v_fma_f32 v8, -v79, v49, v8
	s_delay_alu instid0(VALU_DEP_4) | instskip(SKIP_3) | instid1(VALU_DEP_4)
	v_dual_fmac_f32 v13, v21, v40 :: v_dual_fmac_f32 v14, v76, v49
	v_fmac_f32_e32 v15, v24, v39
	v_fmac_f32_e32 v17, v22, v40
	v_fma_f32 v18, -v77, v49, v18
	v_fmac_f32_e32 v13, v20, v41
	s_or_b32 s5, vcc_lo, s5
	s_delay_alu instid0(VALU_DEP_1) | instskip(NEXT) | instid1(VALU_DEP_1)
	v_fmac_f32_e32 v13, v57, v42
	v_fmac_f32_e32 v13, v56, v43
	s_delay_alu instid0(VALU_DEP_1) | instskip(NEXT) | instid1(VALU_DEP_1)
	v_fmac_f32_e32 v13, v63, v44
	v_fmac_f32_e32 v13, v62, v45
	;; [unrolled: 3-line block ×3, first 2 shown]
	s_delay_alu instid0(VALU_DEP_1) | instskip(SKIP_1) | instid1(VALU_DEP_1)
	v_fmac_f32_e32 v13, v79, v48
	s_waitcnt vmcnt(2)
	v_dual_fmac_f32 v13, v78, v49 :: v_dual_fmac_f32 v8, v80, v50
	v_fma_f32 v17, -v23, v41, v17
	s_waitcnt vmcnt(0)
	v_dual_fmac_f32 v14, v53, v50 :: v_dual_fmac_f32 v15, v23, v40
	v_fmac_f32_e32 v18, v52, v50
	v_fmac_f32_e32 v13, v81, v50
	s_delay_alu instid0(VALU_DEP_3) | instskip(NEXT) | instid1(VALU_DEP_4)
	v_dual_fmac_f32 v17, v58, v42 :: v_dual_fmac_f32 v14, v52, v51
	v_fmac_f32_e32 v15, v22, v41
	s_delay_alu instid0(VALU_DEP_4) | instskip(NEXT) | instid1(VALU_DEP_4)
	v_fma_f32 v18, -v53, v51, v18
	v_fmac_f32_e32 v13, v80, v51
	s_delay_alu instid0(VALU_DEP_4) | instskip(NEXT) | instid1(VALU_DEP_4)
	v_fma_f32 v17, -v59, v43, v17
	v_fmac_f32_e32 v15, v59, v42
	s_delay_alu instid0(VALU_DEP_2) | instskip(NEXT) | instid1(VALU_DEP_2)
	v_fmac_f32_e32 v17, v64, v44
	v_fmac_f32_e32 v15, v58, v43
	s_delay_alu instid0(VALU_DEP_2) | instskip(NEXT) | instid1(VALU_DEP_2)
	v_fma_f32 v17, -v65, v45, v17
	v_fmac_f32_e32 v15, v65, v44
	s_delay_alu instid0(VALU_DEP_2) | instskip(NEXT) | instid1(VALU_DEP_2)
	v_fmac_f32_e32 v17, v70, v46
	v_fmac_f32_e32 v15, v64, v45
	s_delay_alu instid0(VALU_DEP_2) | instskip(NEXT) | instid1(VALU_DEP_2)
	v_fma_f32 v17, -v71, v47, v17
	v_fmac_f32_e32 v15, v71, v46
	s_delay_alu instid0(VALU_DEP_2) | instskip(NEXT) | instid1(VALU_DEP_2)
	v_fmac_f32_e32 v17, v72, v48
	v_fmac_f32_e32 v15, v70, v47
	s_delay_alu instid0(VALU_DEP_2) | instskip(SKIP_1) | instid1(VALU_DEP_3)
	v_fma_f32 v19, -v73, v49, v17
	v_fma_f32 v17, -v81, v51, v8
	v_fmac_f32_e32 v15, v73, v48
	s_delay_alu instid0(VALU_DEP_3) | instskip(NEXT) | instid1(VALU_DEP_2)
	v_fmac_f32_e32 v19, v4, v50
	v_fmac_f32_e32 v15, v72, v49
	s_delay_alu instid0(VALU_DEP_2) | instskip(NEXT) | instid1(VALU_DEP_2)
	v_fma_f32 v19, -v5, v51, v19
	v_fmac_f32_e32 v15, v5, v50
	s_delay_alu instid0(VALU_DEP_1)
	v_fmac_f32_e32 v15, v4, v51
	s_and_not1_b32 exec_lo, exec_lo, s5
	s_cbranch_execnz .LBB104_12
; %bb.13:
	s_or_b32 exec_lo, exec_lo, s5
.LBB104_14:
	s_delay_alu instid0(SALU_CYCLE_1) | instskip(NEXT) | instid1(SALU_CYCLE_1)
	s_or_b32 exec_lo, exec_lo, s4
	s_and_not1_b32 vcc_lo, exec_lo, s3
	s_cbranch_vccz .LBB104_19
	s_branch .LBB104_24
.LBB104_15:
	v_dual_mov_b32 v1, s4 :: v_dual_mov_b32 v2, s5
	flat_load_b32 v9, v[1:2]
	v_cndmask_b32_e64 v1, 0, 1, s6
	v_mov_b32_e32 v10, s5
	s_and_not1_b32 vcc_lo, exec_lo, s6
	s_cbranch_vccnz .LBB104_2
.LBB104_16:
	v_dual_mov_b32 v2, s4 :: v_dual_mov_b32 v3, s5
	flat_load_b32 v10, v[2:3] offset:4
	v_cmp_ne_u32_e32 vcc_lo, 1, v1
	v_mov_b32_e32 v11, s2
	s_cbranch_vccnz .LBB104_3
.LBB104_17:
	v_dual_mov_b32 v2, s2 :: v_dual_mov_b32 v3, s3
	flat_load_b32 v11, v[2:3]
	v_cmp_ne_u32_e32 vcc_lo, 1, v1
	v_mov_b32_e32 v12, s3
	s_cbranch_vccz .LBB104_4
	s_branch .LBB104_5
.LBB104_18:
                                        ; implicit-def: $vgpr13
                                        ; implicit-def: $vgpr17
                                        ; implicit-def: $vgpr18
                                        ; implicit-def: $vgpr14
                                        ; implicit-def: $vgpr19
                                        ; implicit-def: $vgpr15
.LBB104_19:
	v_dual_mov_b32 v13, 0 :: v_dual_mov_b32 v18, 0
	v_dual_mov_b32 v17, 0 :: v_dual_mov_b32 v14, 0
	v_mov_b32_e32 v19, 0
	v_mov_b32_e32 v15, 0
	s_and_saveexec_b32 s3, s2
	s_cbranch_execz .LBB104_23
; %bb.20:
	v_mad_u64_u32 v[4:5], null, v2, 24, 23
	v_dual_mov_b32 v7, 0 :: v_dual_mov_b32 v18, 0
	v_dual_mov_b32 v13, 0 :: v_dual_mov_b32 v14, 0
	v_mov_b32_e32 v17, 0
	v_mov_b32_e32 v19, 0
	;; [unrolled: 1-line block ×3, first 2 shown]
	s_mov_b32 s4, 0
.LBB104_21:                             ; =>This Inner Loop Header: Depth=1
	v_ashrrev_i32_e32 v3, 31, v2
	v_dual_mov_b32 v37, v7 :: v_dual_add_nc_u32 v20, -15, v4
	v_dual_mov_b32 v21, v7 :: v_dual_add_nc_u32 v22, -7, v4
	s_delay_alu instid0(VALU_DEP_3) | instskip(SKIP_1) | instid1(VALU_DEP_3)
	v_lshlrev_b64 v[5:6], 2, v[2:3]
	v_mov_b32_e32 v23, v7
	v_lshlrev_b64 v[20:21], 3, v[20:21]
	s_delay_alu instid0(VALU_DEP_3) | instskip(NEXT) | instid1(VALU_DEP_4)
	v_add_co_u32 v5, vcc_lo, s6, v5
	v_add_co_ci_u32_e32 v6, vcc_lo, s7, v6, vcc_lo
	global_load_b32 v3, v[5:6], off
	v_subrev_nc_u32_e32 v6, 23, v4
	v_mov_b32_e32 v5, v7
	s_delay_alu instid0(VALU_DEP_2) | instskip(SKIP_2) | instid1(VALU_DEP_2)
	v_lshlrev_b64 v[24:25], 3, v[6:7]
	v_add_nc_u32_e32 v6, -14, v4
	v_lshlrev_b64 v[22:23], 3, v[22:23]
	v_lshlrev_b64 v[38:39], 3, v[6:7]
	v_add_nc_u32_e32 v6, -6, v4
	v_add_co_u32 v32, vcc_lo, s8, v24
	v_add_co_ci_u32_e32 v33, vcc_lo, s9, v25, vcc_lo
	v_lshlrev_b64 v[26:27], 3, v[4:5]
	v_add_co_u32 v40, vcc_lo, s8, v20
	v_add_co_ci_u32_e32 v41, vcc_lo, s9, v21, vcc_lo
	v_add_co_u32 v42, vcc_lo, s8, v22
	v_add_co_ci_u32_e32 v43, vcc_lo, s9, v23, vcc_lo
	;; [unrolled: 2-line block ×3, first 2 shown]
	v_lshlrev_b64 v[44:45], 3, v[6:7]
	s_clause 0x3
	global_load_b128 v[20:23], v[32:33], off offset:48
	global_load_b128 v[24:27], v[32:33], off offset:32
	;; [unrolled: 1-line block ×3, first 2 shown]
	global_load_b128 v[32:35], v[32:33], off
	v_add_nc_u32_e32 v6, -13, v4
	v_add_co_u32 v38, vcc_lo, s8, v38
	v_add_co_ci_u32_e32 v39, vcc_lo, s9, v39, vcc_lo
	s_clause 0x1
	global_load_b64 v[54:55], v[40:41], off
	global_load_b64 v[56:57], v[42:43], off
	v_lshlrev_b64 v[40:41], 3, v[6:7]
	v_add_nc_u32_e32 v6, -5, v4
	global_load_b64 v[58:59], v[38:39], off
	v_add_co_u32 v38, vcc_lo, s8, v44
	v_add_co_ci_u32_e32 v39, vcc_lo, s9, v45, vcc_lo
	v_add_co_u32 v40, vcc_lo, s8, v40
	v_lshlrev_b64 v[42:43], 3, v[6:7]
	v_add_nc_u32_e32 v6, -12, v4
	v_add_co_ci_u32_e32 v41, vcc_lo, s9, v41, vcc_lo
	s_clause 0x1
	global_load_b64 v[60:61], v[38:39], off
	global_load_b64 v[62:63], v[40:41], off
	v_lshlrev_b64 v[38:39], 3, v[6:7]
	v_add_nc_u32_e32 v6, -4, v4
	v_add_co_u32 v40, vcc_lo, s8, v42
	v_add_co_ci_u32_e32 v41, vcc_lo, s9, v43, vcc_lo
	s_delay_alu instid0(VALU_DEP_3)
	v_lshlrev_b64 v[42:43], 3, v[6:7]
	v_add_co_u32 v38, vcc_lo, s8, v38
	v_add_co_ci_u32_e32 v39, vcc_lo, s9, v39, vcc_lo
	global_load_b64 v[64:65], v[40:41], off
	v_add_co_u32 v46, vcc_lo, s8, v42
	global_load_b64 v[66:67], v[38:39], off
	v_add_co_ci_u32_e32 v47, vcc_lo, s9, v43, vcc_lo
	s_waitcnt vmcnt(11)
	v_subrev_nc_u32_e32 v3, s12, v3
	s_delay_alu instid0(VALU_DEP_1) | instskip(NEXT) | instid1(VALU_DEP_1)
	v_lshlrev_b32_e32 v36, 3, v3
	v_lshlrev_b64 v[36:37], 3, v[36:37]
	s_delay_alu instid0(VALU_DEP_1) | instskip(NEXT) | instid1(VALU_DEP_1)
	v_add_co_u32 v50, s2, s10, v36
	v_add_co_ci_u32_e64 v51, s2, s11, v37, s2
	s_clause 0x1
	global_load_b128 v[36:39], v[50:51], off
	global_load_b128 v[40:43], v[50:51], off offset:16
	global_load_b64 v[68:69], v[46:47], off
	s_waitcnt vmcnt(2)
	v_dual_fmac_f32 v17, v32, v36 :: v_dual_add_nc_u32 v2, 4, v2
	v_fmac_f32_e32 v14, v57, v36
	v_fmac_f32_e32 v13, v33, v36
	;; [unrolled: 1-line block ×3, first 2 shown]
	s_delay_alu instid0(VALU_DEP_4) | instskip(NEXT) | instid1(VALU_DEP_4)
	v_fma_f32 v3, -v33, v37, v17
	v_dual_fmac_f32 v14, v56, v37 :: v_dual_fmac_f32 v19, v54, v36
	s_delay_alu instid0(VALU_DEP_4) | instskip(NEXT) | instid1(VALU_DEP_4)
	v_fmac_f32_e32 v13, v32, v37
	v_fma_f32 v17, -v57, v37, v18
	s_delay_alu instid0(VALU_DEP_4) | instskip(NEXT) | instid1(VALU_DEP_4)
	v_fmac_f32_e32 v3, v34, v38
	v_fmac_f32_e32 v14, v61, v38
	v_fma_f32 v8, -v55, v37, v19
	v_fmac_f32_e32 v15, v55, v36
	v_fmac_f32_e32 v13, v35, v38
	v_fma_f32 v3, -v35, v39, v3
	v_fmac_f32_e32 v17, v60, v38
	v_fmac_f32_e32 v8, v58, v38
	v_dual_fmac_f32 v15, v54, v37 :: v_dual_add_nc_u32 v6, -11, v4
	s_waitcnt vmcnt(1)
	v_fmac_f32_e32 v3, v28, v40
	v_fmac_f32_e32 v13, v34, v39
	s_delay_alu instid0(VALU_DEP_3)
	v_dual_fmac_f32 v14, v60, v39 :: v_dual_fmac_f32 v15, v59, v38
	v_lshlrev_b64 v[44:45], 3, v[6:7]
	v_add_nc_u32_e32 v6, -3, v4
	v_fma_f32 v3, -v29, v41, v3
	v_fma_f32 v8, -v59, v39, v8
	;; [unrolled: 1-line block ×3, first 2 shown]
	v_fmac_f32_e32 v13, v29, v40
	v_add_co_u32 v44, vcc_lo, s8, v44
	v_lshlrev_b64 v[48:49], 3, v[6:7]
	v_add_nc_u32_e32 v6, -10, v4
	v_add_co_ci_u32_e32 v45, vcc_lo, s9, v45, vcc_lo
	v_dual_fmac_f32 v15, v58, v39 :: v_dual_fmac_f32 v14, v65, v40
	v_fmac_f32_e32 v13, v28, v41
	global_load_b64 v[70:71], v[44:45], off
	v_lshlrev_b64 v[46:47], 3, v[6:7]
	v_add_nc_u32_e32 v6, -2, v4
	v_add_co_u32 v44, vcc_lo, s8, v48
	v_add_co_ci_u32_e32 v45, vcc_lo, s9, v49, vcc_lo
	s_delay_alu instid0(VALU_DEP_3)
	v_lshlrev_b64 v[48:49], 3, v[6:7]
	v_add_co_u32 v46, vcc_lo, s8, v46
	v_add_co_ci_u32_e32 v47, vcc_lo, s9, v47, vcc_lo
	global_load_b64 v[72:73], v[44:45], off
	v_add_co_u32 v78, vcc_lo, s8, v48
	global_load_b64 v[76:77], v[46:47], off
	v_add_co_ci_u32_e32 v79, vcc_lo, s9, v49, vcc_lo
	s_clause 0x1
	global_load_b128 v[44:47], v[50:51], off offset:32
	global_load_b128 v[48:51], v[50:51], off offset:48
	v_add_nc_u32_e32 v6, -9, v4
	v_dual_fmac_f32 v15, v63, v40 :: v_dual_fmac_f32 v14, v64, v41
	global_load_b64 v[78:79], v[78:79], off
	v_fmac_f32_e32 v3, v30, v42
	v_lshlrev_b64 v[74:75], 3, v[6:7]
	v_dual_fmac_f32 v15, v62, v41 :: v_dual_add_nc_u32 v6, -1, v4
	v_fmac_f32_e32 v13, v31, v42
	s_delay_alu instid0(VALU_DEP_4) | instskip(NEXT) | instid1(VALU_DEP_3)
	v_fma_f32 v3, -v31, v43, v3
	v_lshlrev_b64 v[80:81], 3, v[6:7]
	v_add_co_u32 v74, vcc_lo, s8, v74
	v_add_co_ci_u32_e32 v75, vcc_lo, s9, v75, vcc_lo
	v_add_nc_u32_e32 v6, -8, v4
	s_delay_alu instid0(VALU_DEP_4)
	v_add_co_u32 v80, vcc_lo, s8, v80
	v_add_co_ci_u32_e32 v81, vcc_lo, s9, v81, vcc_lo
	s_clause 0x1
	global_load_b64 v[74:75], v[74:75], off
	global_load_b64 v[80:81], v[80:81], off
	v_lshlrev_b64 v[5:6], 3, v[6:7]
	v_dual_fmac_f32 v15, v67, v42 :: v_dual_add_nc_u32 v4, 0x60, v4
	s_waitcnt vmcnt(8)
	v_dual_fmac_f32 v14, v69, v42 :: v_dual_fmac_f32 v13, v30, v43
	s_delay_alu instid0(VALU_DEP_3) | instskip(NEXT) | instid1(VALU_DEP_3)
	v_add_co_u32 v5, vcc_lo, s8, v5
	v_fmac_f32_e32 v15, v66, v43
	v_add_co_ci_u32_e32 v6, vcc_lo, s9, v6, vcc_lo
	s_clause 0x1
	global_load_b64 v[5:6], v[5:6], off
	global_load_b64 v[52:53], v[52:53], off
	v_fmac_f32_e32 v14, v68, v43
	v_cmp_ge_i32_e32 vcc_lo, v2, v16
	s_or_b32 s4, vcc_lo, s4
	s_waitcnt vmcnt(6)
	v_fmac_f32_e32 v13, v25, v44
	v_fmac_f32_e32 v8, v62, v40
	;; [unrolled: 1-line block ×4, first 2 shown]
	s_delay_alu instid0(VALU_DEP_4) | instskip(NEXT) | instid1(VALU_DEP_4)
	v_fmac_f32_e32 v13, v24, v45
	v_fma_f32 v8, -v63, v41, v8
	s_delay_alu instid0(VALU_DEP_4)
	v_fmac_f32_e32 v14, v72, v45
	v_fmac_f32_e32 v17, v64, v40
	v_fmac_f32_e32 v3, v24, v44
	v_fmac_f32_e32 v13, v27, v46
	v_fmac_f32_e32 v8, v66, v42
	s_waitcnt vmcnt(4)
	v_fmac_f32_e32 v14, v79, v46
	v_fma_f32 v17, -v65, v41, v17
	v_fma_f32 v3, -v25, v45, v3
	v_fmac_f32_e32 v15, v70, v45
	v_fma_f32 v8, -v67, v43, v8
	s_delay_alu instid0(VALU_DEP_4) | instskip(NEXT) | instid1(VALU_DEP_4)
	v_dual_fmac_f32 v14, v78, v47 :: v_dual_fmac_f32 v17, v68, v42
	v_fmac_f32_e32 v3, v26, v46
	v_fmac_f32_e32 v13, v26, v47
	s_delay_alu instid0(VALU_DEP_4) | instskip(NEXT) | instid1(VALU_DEP_4)
	v_fmac_f32_e32 v8, v70, v44
	v_fma_f32 v17, -v69, v43, v17
	s_waitcnt vmcnt(2)
	v_fmac_f32_e32 v14, v81, v48
	s_delay_alu instid0(VALU_DEP_3) | instskip(SKIP_2) | instid1(VALU_DEP_4)
	v_fma_f32 v8, -v71, v45, v8
	v_fma_f32 v3, -v27, v47, v3
	v_fmac_f32_e32 v17, v72, v44
	v_fmac_f32_e32 v14, v80, v49
	s_delay_alu instid0(VALU_DEP_4) | instskip(NEXT) | instid1(VALU_DEP_4)
	v_fmac_f32_e32 v8, v76, v46
	v_fmac_f32_e32 v3, v20, v48
	s_delay_alu instid0(VALU_DEP_4) | instskip(NEXT) | instid1(VALU_DEP_3)
	v_fma_f32 v17, -v73, v45, v17
	v_fma_f32 v8, -v77, v47, v8
	v_fmac_f32_e32 v15, v77, v46
	s_delay_alu instid0(VALU_DEP_3)
	v_fmac_f32_e32 v17, v78, v46
	s_waitcnt vmcnt(0)
	v_fmac_f32_e32 v14, v53, v50
	v_fmac_f32_e32 v8, v74, v48
	v_fma_f32 v3, -v21, v49, v3
	v_fma_f32 v17, -v79, v47, v17
	s_delay_alu instid0(VALU_DEP_4) | instskip(NEXT) | instid1(VALU_DEP_4)
	v_fmac_f32_e32 v14, v52, v51
	v_fma_f32 v8, -v75, v49, v8
	v_fmac_f32_e32 v15, v76, v47
	s_delay_alu instid0(VALU_DEP_4) | instskip(SKIP_1) | instid1(VALU_DEP_3)
	v_fmac_f32_e32 v17, v80, v48
	v_fmac_f32_e32 v3, v22, v50
	v_dual_fmac_f32 v8, v5, v50 :: v_dual_fmac_f32 v15, v75, v48
	s_delay_alu instid0(VALU_DEP_3) | instskip(SKIP_1) | instid1(VALU_DEP_4)
	v_fma_f32 v18, -v81, v49, v17
	v_fmac_f32_e32 v13, v21, v48
	v_fma_f32 v17, -v23, v51, v3
	s_delay_alu instid0(VALU_DEP_4) | instskip(NEXT) | instid1(VALU_DEP_4)
	v_fma_f32 v19, -v6, v51, v8
	v_dual_fmac_f32 v15, v74, v49 :: v_dual_fmac_f32 v18, v52, v50
	s_delay_alu instid0(VALU_DEP_4) | instskip(NEXT) | instid1(VALU_DEP_2)
	v_fmac_f32_e32 v13, v20, v49
	v_fmac_f32_e32 v15, v6, v50
	s_delay_alu instid0(VALU_DEP_3) | instskip(NEXT) | instid1(VALU_DEP_3)
	v_fma_f32 v18, -v53, v51, v18
	v_fmac_f32_e32 v13, v23, v50
	s_delay_alu instid0(VALU_DEP_3) | instskip(NEXT) | instid1(VALU_DEP_2)
	v_fmac_f32_e32 v15, v5, v51
	v_fmac_f32_e32 v13, v22, v51
	s_and_not1_b32 exec_lo, exec_lo, s4
	s_cbranch_execnz .LBB104_21
; %bb.22:
	s_or_b32 exec_lo, exec_lo, s4
.LBB104_23:
	s_delay_alu instid0(SALU_CYCLE_1)
	s_or_b32 exec_lo, exec_lo, s3
.LBB104_24:
	v_mbcnt_lo_u32_b32 v2, -1, 0
	s_delay_alu instid0(VALU_DEP_1) | instskip(NEXT) | instid1(VALU_DEP_1)
	v_xor_b32_e32 v3, 2, v2
	v_cmp_gt_i32_e32 vcc_lo, 32, v3
	v_cndmask_b32_e32 v3, v2, v3, vcc_lo
	s_delay_alu instid0(VALU_DEP_1)
	v_lshlrev_b32_e32 v3, 2, v3
	ds_bpermute_b32 v8, v3, v15
	s_waitcnt lgkmcnt(0)
	v_add_f32_e32 v8, v15, v8
	ds_bpermute_b32 v4, v3, v17
	ds_bpermute_b32 v5, v3, v13
	;; [unrolled: 1-line block ×5, first 2 shown]
	v_xor_b32_e32 v3, 1, v2
	s_delay_alu instid0(VALU_DEP_1) | instskip(SKIP_4) | instid1(VALU_DEP_3)
	v_cmp_gt_i32_e32 vcc_lo, 32, v3
	v_cndmask_b32_e32 v2, v2, v3, vcc_lo
	v_cmp_eq_u32_e32 vcc_lo, 3, v0
	s_waitcnt lgkmcnt(3)
	v_add_f32_e32 v5, v13, v5
	v_dual_add_f32 v2, v17, v4 :: v_dual_lshlrev_b32 v21, 2, v2
	s_waitcnt lgkmcnt(0)
	v_dual_add_f32 v4, v14, v20 :: v_dual_add_f32 v7, v19, v6
	v_add_f32_e32 v3, v18, v16
	ds_bpermute_b32 v15, v21, v5
	ds_bpermute_b32 v6, v21, v2
	;; [unrolled: 1-line block ×6, first 2 shown]
	s_and_b32 exec_lo, exec_lo, vcc_lo
	s_cbranch_execz .LBB104_29
; %bb.25:
	s_load_b64 s[2:3], s[0:1], 0x38
	v_cmp_eq_f32_e32 vcc_lo, 0, v11
	v_cmp_eq_f32_e64 s0, 0, v12
	s_waitcnt lgkmcnt(0)
	v_add_f32_e32 v0, v2, v6
	v_dual_add_f32 v6, v5, v15 :: v_dual_add_f32 v3, v3, v13
	v_dual_add_f32 v2, v7, v16 :: v_dual_add_f32 v5, v8, v17
	v_add_f32_e32 v4, v4, v14
	s_and_b32 s0, vcc_lo, s0
	s_delay_alu instid0(SALU_CYCLE_1) | instskip(NEXT) | instid1(SALU_CYCLE_1)
	s_and_saveexec_b32 s1, s0
	s_xor_b32 s0, exec_lo, s1
	s_cbranch_execz .LBB104_27
; %bb.26:
	v_lshl_add_u32 v7, v1, 1, v1
	v_mul_f32_e64 v11, v6, -v10
	v_mul_f32_e32 v12, v6, v9
	v_mul_f32_e64 v13, v5, -v10
	v_mul_f32_e32 v14, v5, v9
	v_ashrrev_i32_e32 v8, 31, v7
	v_fmac_f32_e32 v11, v9, v0
	v_mul_f32_e64 v5, v4, -v10
	v_dual_mul_f32 v6, v4, v9 :: v_dual_fmac_f32 v13, v9, v2
	s_delay_alu instid0(VALU_DEP_4) | instskip(NEXT) | instid1(VALU_DEP_3)
	v_lshlrev_b64 v[7:8], 3, v[7:8]
	v_dual_fmac_f32 v12, v10, v0 :: v_dual_fmac_f32 v5, v9, v3
	v_fmac_f32_e32 v14, v10, v2
	s_delay_alu instid0(VALU_DEP_4) | instskip(NEXT) | instid1(VALU_DEP_4)
	v_fmac_f32_e32 v6, v10, v3
                                        ; implicit-def: $vgpr9
                                        ; implicit-def: $vgpr10
                                        ; implicit-def: $vgpr2
                                        ; implicit-def: $vgpr3
                                        ; implicit-def: $vgpr4
	v_add_co_u32 v0, vcc_lo, s2, v7
	v_add_co_ci_u32_e32 v1, vcc_lo, s3, v8, vcc_lo
	s_clause 0x1
	global_store_b128 v[0:1], v[11:14], off
	global_store_b64 v[0:1], v[5:6], off offset:16
                                        ; implicit-def: $vgpr11
                                        ; implicit-def: $vgpr12
                                        ; implicit-def: $vgpr1
                                        ; implicit-def: $vgpr0
                                        ; implicit-def: $vgpr6
                                        ; implicit-def: $vgpr5
.LBB104_27:
	s_and_not1_saveexec_b32 s0, s0
	s_cbranch_execz .LBB104_29
; %bb.28:
	v_lshl_add_u32 v7, v1, 1, v1
	v_mul_f32_e64 v21, v5, -v10
	v_mul_f32_e64 v22, v4, -v10
	s_delay_alu instid0(VALU_DEP_3) | instskip(NEXT) | instid1(VALU_DEP_1)
	v_ashrrev_i32_e32 v8, 31, v7
	v_lshlrev_b64 v[7:8], 3, v[7:8]
	s_delay_alu instid0(VALU_DEP_1) | instskip(NEXT) | instid1(VALU_DEP_2)
	v_add_co_u32 v17, vcc_lo, s2, v7
	v_add_co_ci_u32_e32 v18, vcc_lo, s3, v8, vcc_lo
	v_mul_f32_e64 v7, v6, -v10
	v_mul_f32_e32 v6, v6, v9
	s_clause 0x1
	global_load_b128 v[13:16], v[17:18], off
	global_load_b64 v[19:20], v[17:18], off offset:16
	v_fmac_f32_e32 v7, v9, v0
	v_dual_mul_f32 v1, v4, v9 :: v_dual_fmac_f32 v6, v10, v0
	v_mul_f32_e32 v8, v5, v9
	v_fmac_f32_e32 v21, v9, v2
	s_delay_alu instid0(VALU_DEP_3) | instskip(SKIP_1) | instid1(VALU_DEP_3)
	v_fmac_f32_e32 v1, v10, v3
	s_waitcnt vmcnt(1)
	v_dual_fmac_f32 v8, v10, v2 :: v_dual_fmac_f32 v7, v11, v13
	v_fmac_f32_e32 v6, v12, v13
	s_waitcnt vmcnt(0)
	v_fmac_f32_e32 v1, v12, v19
	v_fmac_f32_e32 v21, v11, v15
	;; [unrolled: 1-line block ×3, first 2 shown]
	v_fma_f32 v5, -v12, v14, v7
	v_fmac_f32_e32 v6, v11, v14
	v_dual_fmac_f32 v22, v9, v3 :: v_dual_fmac_f32 v1, v11, v20
	v_fma_f32 v7, -v12, v16, v21
	v_fmac_f32_e32 v8, v11, v16
	s_delay_alu instid0(VALU_DEP_3) | instskip(NEXT) | instid1(VALU_DEP_1)
	v_fmac_f32_e32 v22, v11, v19
	v_fma_f32 v0, -v12, v20, v22
	s_clause 0x1
	global_store_b128 v[17:18], v[5:8], off
	global_store_b64 v[17:18], v[0:1], off offset:16
.LBB104_29:
	s_nop 0
	s_sendmsg sendmsg(MSG_DEALLOC_VGPRS)
	s_endpgm
	.section	.rodata,"a",@progbits
	.p2align	6, 0x0
	.amdhsa_kernel _ZN9rocsparseL19gebsrmvn_3xn_kernelILj128ELj8ELj4E21rocsparse_complex_numIfEEEvi20rocsparse_direction_NS_24const_host_device_scalarIT2_EEPKiS8_PKS5_SA_S6_PS5_21rocsparse_index_base_b
		.amdhsa_group_segment_fixed_size 0
		.amdhsa_private_segment_fixed_size 0
		.amdhsa_kernarg_size 72
		.amdhsa_user_sgpr_count 15
		.amdhsa_user_sgpr_dispatch_ptr 0
		.amdhsa_user_sgpr_queue_ptr 0
		.amdhsa_user_sgpr_kernarg_segment_ptr 1
		.amdhsa_user_sgpr_dispatch_id 0
		.amdhsa_user_sgpr_private_segment_size 0
		.amdhsa_wavefront_size32 1
		.amdhsa_uses_dynamic_stack 0
		.amdhsa_enable_private_segment 0
		.amdhsa_system_sgpr_workgroup_id_x 1
		.amdhsa_system_sgpr_workgroup_id_y 0
		.amdhsa_system_sgpr_workgroup_id_z 0
		.amdhsa_system_sgpr_workgroup_info 0
		.amdhsa_system_vgpr_workitem_id 0
		.amdhsa_next_free_vgpr 82
		.amdhsa_next_free_sgpr 16
		.amdhsa_reserve_vcc 1
		.amdhsa_float_round_mode_32 0
		.amdhsa_float_round_mode_16_64 0
		.amdhsa_float_denorm_mode_32 3
		.amdhsa_float_denorm_mode_16_64 3
		.amdhsa_dx10_clamp 1
		.amdhsa_ieee_mode 1
		.amdhsa_fp16_overflow 0
		.amdhsa_workgroup_processor_mode 1
		.amdhsa_memory_ordered 1
		.amdhsa_forward_progress 0
		.amdhsa_shared_vgpr_count 0
		.amdhsa_exception_fp_ieee_invalid_op 0
		.amdhsa_exception_fp_denorm_src 0
		.amdhsa_exception_fp_ieee_div_zero 0
		.amdhsa_exception_fp_ieee_overflow 0
		.amdhsa_exception_fp_ieee_underflow 0
		.amdhsa_exception_fp_ieee_inexact 0
		.amdhsa_exception_int_div_zero 0
	.end_amdhsa_kernel
	.section	.text._ZN9rocsparseL19gebsrmvn_3xn_kernelILj128ELj8ELj4E21rocsparse_complex_numIfEEEvi20rocsparse_direction_NS_24const_host_device_scalarIT2_EEPKiS8_PKS5_SA_S6_PS5_21rocsparse_index_base_b,"axG",@progbits,_ZN9rocsparseL19gebsrmvn_3xn_kernelILj128ELj8ELj4E21rocsparse_complex_numIfEEEvi20rocsparse_direction_NS_24const_host_device_scalarIT2_EEPKiS8_PKS5_SA_S6_PS5_21rocsparse_index_base_b,comdat
.Lfunc_end104:
	.size	_ZN9rocsparseL19gebsrmvn_3xn_kernelILj128ELj8ELj4E21rocsparse_complex_numIfEEEvi20rocsparse_direction_NS_24const_host_device_scalarIT2_EEPKiS8_PKS5_SA_S6_PS5_21rocsparse_index_base_b, .Lfunc_end104-_ZN9rocsparseL19gebsrmvn_3xn_kernelILj128ELj8ELj4E21rocsparse_complex_numIfEEEvi20rocsparse_direction_NS_24const_host_device_scalarIT2_EEPKiS8_PKS5_SA_S6_PS5_21rocsparse_index_base_b
                                        ; -- End function
	.section	.AMDGPU.csdata,"",@progbits
; Kernel info:
; codeLenInByte = 3992
; NumSgprs: 18
; NumVgprs: 82
; ScratchSize: 0
; MemoryBound: 0
; FloatMode: 240
; IeeeMode: 1
; LDSByteSize: 0 bytes/workgroup (compile time only)
; SGPRBlocks: 2
; VGPRBlocks: 10
; NumSGPRsForWavesPerEU: 18
; NumVGPRsForWavesPerEU: 82
; Occupancy: 16
; WaveLimiterHint : 1
; COMPUTE_PGM_RSRC2:SCRATCH_EN: 0
; COMPUTE_PGM_RSRC2:USER_SGPR: 15
; COMPUTE_PGM_RSRC2:TRAP_HANDLER: 0
; COMPUTE_PGM_RSRC2:TGID_X_EN: 1
; COMPUTE_PGM_RSRC2:TGID_Y_EN: 0
; COMPUTE_PGM_RSRC2:TGID_Z_EN: 0
; COMPUTE_PGM_RSRC2:TIDIG_COMP_CNT: 0
	.section	.text._ZN9rocsparseL19gebsrmvn_3xn_kernelILj128ELj8ELj8E21rocsparse_complex_numIfEEEvi20rocsparse_direction_NS_24const_host_device_scalarIT2_EEPKiS8_PKS5_SA_S6_PS5_21rocsparse_index_base_b,"axG",@progbits,_ZN9rocsparseL19gebsrmvn_3xn_kernelILj128ELj8ELj8E21rocsparse_complex_numIfEEEvi20rocsparse_direction_NS_24const_host_device_scalarIT2_EEPKiS8_PKS5_SA_S6_PS5_21rocsparse_index_base_b,comdat
	.globl	_ZN9rocsparseL19gebsrmvn_3xn_kernelILj128ELj8ELj8E21rocsparse_complex_numIfEEEvi20rocsparse_direction_NS_24const_host_device_scalarIT2_EEPKiS8_PKS5_SA_S6_PS5_21rocsparse_index_base_b ; -- Begin function _ZN9rocsparseL19gebsrmvn_3xn_kernelILj128ELj8ELj8E21rocsparse_complex_numIfEEEvi20rocsparse_direction_NS_24const_host_device_scalarIT2_EEPKiS8_PKS5_SA_S6_PS5_21rocsparse_index_base_b
	.p2align	8
	.type	_ZN9rocsparseL19gebsrmvn_3xn_kernelILj128ELj8ELj8E21rocsparse_complex_numIfEEEvi20rocsparse_direction_NS_24const_host_device_scalarIT2_EEPKiS8_PKS5_SA_S6_PS5_21rocsparse_index_base_b,@function
_ZN9rocsparseL19gebsrmvn_3xn_kernelILj128ELj8ELj8E21rocsparse_complex_numIfEEEvi20rocsparse_direction_NS_24const_host_device_scalarIT2_EEPKiS8_PKS5_SA_S6_PS5_21rocsparse_index_base_b: ; @_ZN9rocsparseL19gebsrmvn_3xn_kernelILj128ELj8ELj8E21rocsparse_complex_numIfEEEvi20rocsparse_direction_NS_24const_host_device_scalarIT2_EEPKiS8_PKS5_SA_S6_PS5_21rocsparse_index_base_b
; %bb.0:
	s_clause 0x2
	s_load_b64 s[12:13], s[0:1], 0x40
	s_load_b64 s[4:5], s[0:1], 0x8
	;; [unrolled: 1-line block ×3, first 2 shown]
	s_waitcnt lgkmcnt(0)
	s_bitcmp1_b32 s13, 0
	v_mov_b32_e32 v9, s4
	s_cselect_b32 s6, -1, 0
	s_delay_alu instid0(SALU_CYCLE_1)
	s_and_b32 vcc_lo, exec_lo, s6
	s_xor_b32 s6, s6, -1
	s_cbranch_vccz .LBB105_15
; %bb.1:
	v_cndmask_b32_e64 v1, 0, 1, s6
	v_mov_b32_e32 v10, s5
	s_and_not1_b32 vcc_lo, exec_lo, s6
	s_cbranch_vccz .LBB105_16
.LBB105_2:
	s_delay_alu instid0(VALU_DEP_2)
	v_cmp_ne_u32_e32 vcc_lo, 1, v1
	v_mov_b32_e32 v11, s2
	s_cbranch_vccz .LBB105_17
.LBB105_3:
	v_cmp_ne_u32_e32 vcc_lo, 1, v1
	v_mov_b32_e32 v12, s3
	s_cbranch_vccnz .LBB105_5
.LBB105_4:
	v_dual_mov_b32 v1, s2 :: v_dual_mov_b32 v2, s3
	flat_load_b32 v12, v[1:2] offset:4
.LBB105_5:
	s_waitcnt vmcnt(0) lgkmcnt(0)
	v_cmp_eq_f32_e32 vcc_lo, 0, v9
	v_cmp_eq_f32_e64 s2, 0, v10
	s_delay_alu instid0(VALU_DEP_1)
	s_and_b32 s4, vcc_lo, s2
	s_mov_b32 s2, -1
	s_and_saveexec_b32 s3, s4
; %bb.6:
	v_cmp_neq_f32_e32 vcc_lo, 1.0, v11
	v_cmp_neq_f32_e64 s2, 0, v12
	s_delay_alu instid0(VALU_DEP_1) | instskip(NEXT) | instid1(SALU_CYCLE_1)
	s_or_b32 s2, vcc_lo, s2
	s_or_not1_b32 s2, s2, exec_lo
; %bb.7:
	s_or_b32 exec_lo, exec_lo, s3
	s_and_saveexec_b32 s3, s2
	s_cbranch_execz .LBB105_29
; %bb.8:
	s_load_b64 s[2:3], s[0:1], 0x0
	v_lshrrev_b32_e32 v1, 3, v0
	s_delay_alu instid0(VALU_DEP_1) | instskip(SKIP_1) | instid1(VALU_DEP_1)
	v_lshl_or_b32 v1, s15, 4, v1
	s_waitcnt lgkmcnt(0)
	v_cmp_gt_i32_e32 vcc_lo, s2, v1
	s_and_b32 exec_lo, exec_lo, vcc_lo
	s_cbranch_execz .LBB105_29
; %bb.9:
	s_load_b256 s[4:11], s[0:1], 0x10
	v_ashrrev_i32_e32 v2, 31, v1
	v_and_b32_e32 v0, 7, v0
	s_cmp_lg_u32 s3, 0
	s_delay_alu instid0(VALU_DEP_2) | instskip(SKIP_1) | instid1(VALU_DEP_1)
	v_lshlrev_b64 v[2:3], 2, v[1:2]
	s_waitcnt lgkmcnt(0)
	v_add_co_u32 v2, vcc_lo, s4, v2
	s_delay_alu instid0(VALU_DEP_2) | instskip(SKIP_4) | instid1(VALU_DEP_2)
	v_add_co_ci_u32_e32 v3, vcc_lo, s5, v3, vcc_lo
	global_load_b64 v[2:3], v[2:3], off
	s_waitcnt vmcnt(0)
	v_subrev_nc_u32_e32 v2, s12, v2
	v_subrev_nc_u32_e32 v16, s12, v3
	v_add_nc_u32_e32 v2, v2, v0
	s_delay_alu instid0(VALU_DEP_1)
	v_cmp_lt_i32_e64 s2, v2, v16
	s_cbranch_scc0 .LBB105_18
; %bb.10:
	v_dual_mov_b32 v13, 0 :: v_dual_mov_b32 v18, 0
	v_dual_mov_b32 v17, 0 :: v_dual_mov_b32 v14, 0
	v_mov_b32_e32 v19, 0
	v_mov_b32_e32 v15, 0
	s_mov_b32 s3, 0
	s_and_saveexec_b32 s4, s2
	s_cbranch_execz .LBB105_14
; %bb.11:
	v_mad_u64_u32 v[3:4], null, v2, 24, 23
	v_dual_mov_b32 v6, 0 :: v_dual_mov_b32 v7, v2
	v_dual_mov_b32 v13, 0 :: v_dual_mov_b32 v18, 0
	;; [unrolled: 1-line block ×3, first 2 shown]
	v_mov_b32_e32 v19, 0
	v_mov_b32_e32 v15, 0
	s_mov_b32 s5, 0
.LBB105_12:                             ; =>This Inner Loop Header: Depth=1
	v_ashrrev_i32_e32 v8, 31, v7
	s_delay_alu instid0(VALU_DEP_1) | instskip(NEXT) | instid1(VALU_DEP_1)
	v_lshlrev_b64 v[4:5], 2, v[7:8]
	v_add_co_u32 v4, vcc_lo, s6, v4
	s_delay_alu instid0(VALU_DEP_2) | instskip(SKIP_3) | instid1(VALU_DEP_2)
	v_add_co_ci_u32_e32 v5, vcc_lo, s7, v5, vcc_lo
	global_load_b32 v8, v[4:5], off
	v_subrev_nc_u32_e32 v5, 23, v3
	v_mov_b32_e32 v4, v6
	v_lshlrev_b64 v[20:21], 3, v[5:6]
	v_add_nc_u32_e32 v5, -15, v3
	s_delay_alu instid0(VALU_DEP_3) | instskip(NEXT) | instid1(VALU_DEP_2)
	v_lshlrev_b64 v[22:23], 3, v[3:4]
	v_lshlrev_b64 v[28:29], 3, v[5:6]
	s_delay_alu instid0(VALU_DEP_4) | instskip(SKIP_1) | instid1(VALU_DEP_4)
	v_add_co_u32 v32, vcc_lo, s8, v20
	v_add_co_ci_u32_e32 v33, vcc_lo, s9, v21, vcc_lo
	v_add_co_u32 v52, vcc_lo, s8, v22
	v_add_co_ci_u32_e32 v53, vcc_lo, s9, v23, vcc_lo
	v_add_co_u32 v40, vcc_lo, s8, v28
	s_clause 0x1
	global_load_b128 v[20:23], v[32:33], off offset:48
	global_load_b128 v[24:27], v[32:33], off offset:32
	v_add_co_ci_u32_e32 v41, vcc_lo, s9, v29, vcc_lo
	s_clause 0x1
	global_load_b128 v[28:31], v[32:33], off offset:16
	global_load_b128 v[32:35], v[32:33], off
	v_add_nc_u32_e32 v5, -14, v3
	global_load_b64 v[54:55], v[40:41], off
	v_lshlrev_b64 v[38:39], 3, v[5:6]
	v_add_nc_u32_e32 v5, -13, v3
	s_delay_alu instid0(VALU_DEP_1) | instskip(NEXT) | instid1(VALU_DEP_3)
	v_lshlrev_b64 v[42:43], 3, v[5:6]
	v_add_co_u32 v38, vcc_lo, s8, v38
	s_delay_alu instid0(VALU_DEP_4) | instskip(SKIP_1) | instid1(VALU_DEP_4)
	v_add_co_ci_u32_e32 v39, vcc_lo, s9, v39, vcc_lo
	v_add_nc_u32_e32 v5, -12, v3
	v_add_co_u32 v42, vcc_lo, s8, v42
	v_add_co_ci_u32_e32 v43, vcc_lo, s9, v43, vcc_lo
	s_clause 0x1
	global_load_b64 v[58:59], v[42:43], off
	global_load_b64 v[56:57], v[38:39], off
	v_lshlrev_b64 v[40:41], 3, v[5:6]
	v_add_nc_u32_e32 v5, -11, v3
	s_delay_alu instid0(VALU_DEP_1) | instskip(SKIP_1) | instid1(VALU_DEP_4)
	v_lshlrev_b64 v[38:39], 3, v[5:6]
	v_add_nc_u32_e32 v5, -10, v3
	v_add_co_u32 v40, vcc_lo, s8, v40
	v_add_co_ci_u32_e32 v41, vcc_lo, s9, v41, vcc_lo
	s_delay_alu instid0(VALU_DEP_4) | instskip(NEXT) | instid1(VALU_DEP_4)
	v_add_co_u32 v38, vcc_lo, s8, v38
	v_lshlrev_b64 v[42:43], 3, v[5:6]
	v_add_nc_u32_e32 v5, -9, v3
	v_add_co_ci_u32_e32 v39, vcc_lo, s9, v39, vcc_lo
	s_clause 0x1
	global_load_b64 v[60:61], v[40:41], off
	global_load_b64 v[62:63], v[38:39], off
	v_lshlrev_b64 v[40:41], 3, v[5:6]
	v_add_nc_u32_e32 v5, -8, v3
	v_add_co_u32 v38, vcc_lo, s8, v42
	v_add_co_ci_u32_e32 v39, vcc_lo, s9, v43, vcc_lo
	s_delay_alu instid0(VALU_DEP_3) | instskip(SKIP_3) | instid1(VALU_DEP_3)
	v_lshlrev_b64 v[42:43], 3, v[5:6]
	v_add_nc_u32_e32 v5, -7, v3
	v_add_co_u32 v40, vcc_lo, s8, v40
	v_add_co_ci_u32_e32 v41, vcc_lo, s9, v41, vcc_lo
	v_lshlrev_b64 v[44:45], 3, v[5:6]
	v_add_nc_u32_e32 v5, -6, v3
	v_add_co_u32 v46, vcc_lo, s8, v42
	v_add_co_ci_u32_e32 v47, vcc_lo, s9, v43, vcc_lo
	s_delay_alu instid0(VALU_DEP_3)
	v_lshlrev_b64 v[48:49], 3, v[5:6]
	s_clause 0x1
	global_load_b64 v[64:65], v[38:39], off
	global_load_b64 v[66:67], v[40:41], off
	s_waitcnt vmcnt(11)
	v_subrev_nc_u32_e32 v4, s12, v8
	s_delay_alu instid0(VALU_DEP_1) | instskip(NEXT) | instid1(VALU_DEP_1)
	v_dual_mov_b32 v37, v6 :: v_dual_lshlrev_b32 v36, 3, v4
	v_lshlrev_b64 v[4:5], 3, v[36:37]
	s_delay_alu instid0(VALU_DEP_1) | instskip(NEXT) | instid1(VALU_DEP_2)
	v_add_co_u32 v50, vcc_lo, s10, v4
	v_add_co_ci_u32_e32 v51, vcc_lo, s11, v5, vcc_lo
	v_add_co_u32 v44, vcc_lo, s8, v44
	v_add_co_ci_u32_e32 v45, vcc_lo, s9, v45, vcc_lo
	s_clause 0x1
	global_load_b128 v[36:39], v[50:51], off
	global_load_b128 v[40:43], v[50:51], off offset:16
	s_clause 0x1
	global_load_b64 v[68:69], v[46:47], off
	global_load_b64 v[70:71], v[44:45], off
	v_add_co_u32 v44, vcc_lo, s8, v48
	v_add_co_ci_u32_e32 v45, vcc_lo, s9, v49, vcc_lo
	global_load_b64 v[74:75], v[44:45], off
	s_waitcnt vmcnt(4)
	v_fmac_f32_e32 v14, v29, v36
	v_fmac_f32_e32 v18, v28, v36
	s_delay_alu instid0(VALU_DEP_2) | instskip(NEXT) | instid1(VALU_DEP_2)
	v_fmac_f32_e32 v14, v28, v37
	v_fma_f32 v18, -v29, v37, v18
	s_delay_alu instid0(VALU_DEP_2) | instskip(NEXT) | instid1(VALU_DEP_2)
	v_dual_fmac_f32 v14, v27, v38 :: v_dual_fmac_f32 v17, v32, v36
	v_fmac_f32_e32 v18, v26, v38
	s_delay_alu instid0(VALU_DEP_2) | instskip(NEXT) | instid1(VALU_DEP_3)
	v_fmac_f32_e32 v14, v26, v39
	v_fma_f32 v8, -v33, v37, v17
	s_delay_alu instid0(VALU_DEP_3) | instskip(SKIP_1) | instid1(VALU_DEP_3)
	v_fma_f32 v18, -v27, v39, v18
	s_waitcnt vmcnt(3)
	v_dual_fmac_f32 v14, v55, v40 :: v_dual_add_nc_u32 v5, -5, v3
	s_delay_alu instid0(VALU_DEP_3) | instskip(NEXT) | instid1(VALU_DEP_3)
	v_fmac_f32_e32 v8, v30, v38
	v_fmac_f32_e32 v18, v54, v40
	s_delay_alu instid0(VALU_DEP_3) | instskip(NEXT) | instid1(VALU_DEP_4)
	v_fmac_f32_e32 v14, v54, v41
	v_lshlrev_b64 v[46:47], 3, v[5:6]
	s_delay_alu instid0(VALU_DEP_4) | instskip(NEXT) | instid1(VALU_DEP_4)
	v_fma_f32 v8, -v31, v39, v8
	v_fma_f32 v18, -v55, v41, v18
	s_delay_alu instid0(VALU_DEP_4) | instskip(SKIP_3) | instid1(VALU_DEP_4)
	v_fmac_f32_e32 v14, v61, v42
	v_fmac_f32_e32 v13, v33, v36
	v_add_co_u32 v46, vcc_lo, s8, v46
	v_add_co_ci_u32_e32 v47, vcc_lo, s9, v47, vcc_lo
	v_fmac_f32_e32 v14, v60, v43
	v_fmac_f32_e32 v8, v20, v40
	;; [unrolled: 1-line block ×3, first 2 shown]
	global_load_b64 v[78:79], v[46:47], off
	s_clause 0x1
	global_load_b128 v[44:47], v[50:51], off offset:32
	global_load_b128 v[48:51], v[50:51], off offset:48
	v_fma_f32 v8, -v21, v41, v8
	v_add_nc_u32_e32 v5, -4, v3
	v_fma_f32 v18, -v61, v43, v18
	s_delay_alu instid0(VALU_DEP_3) | instskip(NEXT) | instid1(VALU_DEP_3)
	v_dual_fmac_f32 v8, v56, v42 :: v_dual_add_nc_u32 v7, 8, v7
	v_lshlrev_b64 v[72:73], 3, v[5:6]
	v_add_nc_u32_e32 v5, -3, v3
	s_delay_alu instid0(VALU_DEP_3) | instskip(NEXT) | instid1(VALU_DEP_2)
	v_fma_f32 v8, -v57, v43, v8
	v_lshlrev_b64 v[76:77], 3, v[5:6]
	v_add_nc_u32_e32 v5, -2, v3
	v_add_co_u32 v72, vcc_lo, s8, v72
	v_add_co_ci_u32_e32 v73, vcc_lo, s9, v73, vcc_lo
	s_delay_alu instid0(VALU_DEP_3)
	v_lshlrev_b64 v[80:81], 3, v[5:6]
	v_add_nc_u32_e32 v5, -1, v3
	v_add_co_u32 v76, vcc_lo, s8, v76
	v_add_co_ci_u32_e32 v77, vcc_lo, s9, v77, vcc_lo
	global_load_b64 v[72:73], v[72:73], off
	v_add_co_u32 v80, vcc_lo, s8, v80
	global_load_b64 v[76:77], v[76:77], off
	v_add_co_ci_u32_e32 v81, vcc_lo, s9, v81, vcc_lo
	s_waitcnt vmcnt(3)
	v_dual_fmac_f32 v14, v67, v44 :: v_dual_add_nc_u32 v3, 0xc0, v3
	v_fmac_f32_e32 v8, v62, v44
	v_lshlrev_b64 v[4:5], 3, v[5:6]
	v_fmac_f32_e32 v15, v35, v36
	v_fmac_f32_e32 v18, v66, v44
	;; [unrolled: 1-line block ×3, first 2 shown]
	v_fma_f32 v8, -v63, v45, v8
	v_fmac_f32_e32 v19, v34, v36
	v_add_co_u32 v4, vcc_lo, s8, v4
	v_add_co_ci_u32_e32 v5, vcc_lo, s9, v5, vcc_lo
	s_delay_alu instid0(VALU_DEP_4)
	v_fmac_f32_e32 v8, v68, v46
	s_clause 0x2
	global_load_b64 v[80:81], v[80:81], off
	global_load_b64 v[4:5], v[4:5], off
	;; [unrolled: 1-line block ×3, first 2 shown]
	v_dual_fmac_f32 v15, v34, v37 :: v_dual_fmac_f32 v14, v75, v46
	v_fma_f32 v18, -v67, v45, v18
	v_fmac_f32_e32 v13, v32, v37
	v_fma_f32 v17, -v35, v37, v19
	v_fma_f32 v8, -v69, v47, v8
	v_fmac_f32_e32 v14, v74, v47
	v_fmac_f32_e32 v18, v74, v46
	;; [unrolled: 1-line block ×3, first 2 shown]
	s_waitcnt vmcnt(5)
	v_dual_fmac_f32 v17, v24, v38 :: v_dual_fmac_f32 v8, v78, v48
	v_cmp_ge_i32_e32 vcc_lo, v7, v16
	v_fma_f32 v18, -v75, v47, v18
	v_fmac_f32_e32 v15, v25, v38
	s_waitcnt vmcnt(3)
	v_dual_fmac_f32 v13, v30, v39 :: v_dual_fmac_f32 v14, v77, v48
	v_fma_f32 v17, -v25, v39, v17
	v_fmac_f32_e32 v18, v76, v48
	v_fma_f32 v8, -v79, v49, v8
	s_delay_alu instid0(VALU_DEP_4) | instskip(SKIP_3) | instid1(VALU_DEP_4)
	v_dual_fmac_f32 v13, v21, v40 :: v_dual_fmac_f32 v14, v76, v49
	v_fmac_f32_e32 v15, v24, v39
	v_fmac_f32_e32 v17, v22, v40
	v_fma_f32 v18, -v77, v49, v18
	v_fmac_f32_e32 v13, v20, v41
	s_or_b32 s5, vcc_lo, s5
	s_delay_alu instid0(VALU_DEP_1) | instskip(NEXT) | instid1(VALU_DEP_1)
	v_fmac_f32_e32 v13, v57, v42
	v_fmac_f32_e32 v13, v56, v43
	s_delay_alu instid0(VALU_DEP_1) | instskip(NEXT) | instid1(VALU_DEP_1)
	v_fmac_f32_e32 v13, v63, v44
	v_fmac_f32_e32 v13, v62, v45
	;; [unrolled: 3-line block ×3, first 2 shown]
	s_delay_alu instid0(VALU_DEP_1) | instskip(SKIP_1) | instid1(VALU_DEP_1)
	v_fmac_f32_e32 v13, v79, v48
	s_waitcnt vmcnt(2)
	v_dual_fmac_f32 v13, v78, v49 :: v_dual_fmac_f32 v8, v80, v50
	v_fma_f32 v17, -v23, v41, v17
	s_waitcnt vmcnt(0)
	v_dual_fmac_f32 v14, v53, v50 :: v_dual_fmac_f32 v15, v23, v40
	v_fmac_f32_e32 v18, v52, v50
	v_fmac_f32_e32 v13, v81, v50
	s_delay_alu instid0(VALU_DEP_3) | instskip(NEXT) | instid1(VALU_DEP_4)
	v_dual_fmac_f32 v17, v58, v42 :: v_dual_fmac_f32 v14, v52, v51
	v_fmac_f32_e32 v15, v22, v41
	s_delay_alu instid0(VALU_DEP_4) | instskip(NEXT) | instid1(VALU_DEP_4)
	v_fma_f32 v18, -v53, v51, v18
	v_fmac_f32_e32 v13, v80, v51
	s_delay_alu instid0(VALU_DEP_4) | instskip(NEXT) | instid1(VALU_DEP_4)
	v_fma_f32 v17, -v59, v43, v17
	v_fmac_f32_e32 v15, v59, v42
	s_delay_alu instid0(VALU_DEP_2) | instskip(NEXT) | instid1(VALU_DEP_2)
	v_fmac_f32_e32 v17, v64, v44
	v_fmac_f32_e32 v15, v58, v43
	s_delay_alu instid0(VALU_DEP_2) | instskip(NEXT) | instid1(VALU_DEP_2)
	v_fma_f32 v17, -v65, v45, v17
	v_fmac_f32_e32 v15, v65, v44
	s_delay_alu instid0(VALU_DEP_2) | instskip(NEXT) | instid1(VALU_DEP_2)
	v_fmac_f32_e32 v17, v70, v46
	v_fmac_f32_e32 v15, v64, v45
	s_delay_alu instid0(VALU_DEP_2) | instskip(NEXT) | instid1(VALU_DEP_2)
	v_fma_f32 v17, -v71, v47, v17
	v_fmac_f32_e32 v15, v71, v46
	s_delay_alu instid0(VALU_DEP_2) | instskip(NEXT) | instid1(VALU_DEP_2)
	v_fmac_f32_e32 v17, v72, v48
	v_fmac_f32_e32 v15, v70, v47
	s_delay_alu instid0(VALU_DEP_2) | instskip(SKIP_1) | instid1(VALU_DEP_3)
	v_fma_f32 v19, -v73, v49, v17
	v_fma_f32 v17, -v81, v51, v8
	v_fmac_f32_e32 v15, v73, v48
	s_delay_alu instid0(VALU_DEP_3) | instskip(NEXT) | instid1(VALU_DEP_2)
	v_fmac_f32_e32 v19, v4, v50
	v_fmac_f32_e32 v15, v72, v49
	s_delay_alu instid0(VALU_DEP_2) | instskip(NEXT) | instid1(VALU_DEP_2)
	v_fma_f32 v19, -v5, v51, v19
	v_fmac_f32_e32 v15, v5, v50
	s_delay_alu instid0(VALU_DEP_1)
	v_fmac_f32_e32 v15, v4, v51
	s_and_not1_b32 exec_lo, exec_lo, s5
	s_cbranch_execnz .LBB105_12
; %bb.13:
	s_or_b32 exec_lo, exec_lo, s5
.LBB105_14:
	s_delay_alu instid0(SALU_CYCLE_1) | instskip(NEXT) | instid1(SALU_CYCLE_1)
	s_or_b32 exec_lo, exec_lo, s4
	s_and_not1_b32 vcc_lo, exec_lo, s3
	s_cbranch_vccz .LBB105_19
	s_branch .LBB105_24
.LBB105_15:
	v_dual_mov_b32 v1, s4 :: v_dual_mov_b32 v2, s5
	flat_load_b32 v9, v[1:2]
	v_cndmask_b32_e64 v1, 0, 1, s6
	v_mov_b32_e32 v10, s5
	s_and_not1_b32 vcc_lo, exec_lo, s6
	s_cbranch_vccnz .LBB105_2
.LBB105_16:
	v_dual_mov_b32 v2, s4 :: v_dual_mov_b32 v3, s5
	flat_load_b32 v10, v[2:3] offset:4
	v_cmp_ne_u32_e32 vcc_lo, 1, v1
	v_mov_b32_e32 v11, s2
	s_cbranch_vccnz .LBB105_3
.LBB105_17:
	v_dual_mov_b32 v2, s2 :: v_dual_mov_b32 v3, s3
	flat_load_b32 v11, v[2:3]
	v_cmp_ne_u32_e32 vcc_lo, 1, v1
	v_mov_b32_e32 v12, s3
	s_cbranch_vccz .LBB105_4
	s_branch .LBB105_5
.LBB105_18:
                                        ; implicit-def: $vgpr13
                                        ; implicit-def: $vgpr17
                                        ; implicit-def: $vgpr18
                                        ; implicit-def: $vgpr14
                                        ; implicit-def: $vgpr19
                                        ; implicit-def: $vgpr15
.LBB105_19:
	v_dual_mov_b32 v13, 0 :: v_dual_mov_b32 v18, 0
	v_dual_mov_b32 v17, 0 :: v_dual_mov_b32 v14, 0
	v_mov_b32_e32 v19, 0
	v_mov_b32_e32 v15, 0
	s_and_saveexec_b32 s3, s2
	s_cbranch_execz .LBB105_23
; %bb.20:
	v_mad_u64_u32 v[4:5], null, v2, 24, 23
	v_dual_mov_b32 v7, 0 :: v_dual_mov_b32 v18, 0
	v_dual_mov_b32 v13, 0 :: v_dual_mov_b32 v14, 0
	v_mov_b32_e32 v17, 0
	v_mov_b32_e32 v19, 0
	v_mov_b32_e32 v15, 0
	s_mov_b32 s4, 0
.LBB105_21:                             ; =>This Inner Loop Header: Depth=1
	v_ashrrev_i32_e32 v3, 31, v2
	v_dual_mov_b32 v37, v7 :: v_dual_add_nc_u32 v20, -15, v4
	v_dual_mov_b32 v21, v7 :: v_dual_add_nc_u32 v22, -7, v4
	s_delay_alu instid0(VALU_DEP_3) | instskip(SKIP_1) | instid1(VALU_DEP_3)
	v_lshlrev_b64 v[5:6], 2, v[2:3]
	v_mov_b32_e32 v23, v7
	v_lshlrev_b64 v[20:21], 3, v[20:21]
	s_delay_alu instid0(VALU_DEP_3) | instskip(NEXT) | instid1(VALU_DEP_4)
	v_add_co_u32 v5, vcc_lo, s6, v5
	v_add_co_ci_u32_e32 v6, vcc_lo, s7, v6, vcc_lo
	global_load_b32 v3, v[5:6], off
	v_subrev_nc_u32_e32 v6, 23, v4
	v_mov_b32_e32 v5, v7
	s_delay_alu instid0(VALU_DEP_2) | instskip(SKIP_2) | instid1(VALU_DEP_2)
	v_lshlrev_b64 v[24:25], 3, v[6:7]
	v_add_nc_u32_e32 v6, -14, v4
	v_lshlrev_b64 v[22:23], 3, v[22:23]
	v_lshlrev_b64 v[38:39], 3, v[6:7]
	v_add_nc_u32_e32 v6, -6, v4
	v_add_co_u32 v32, vcc_lo, s8, v24
	v_add_co_ci_u32_e32 v33, vcc_lo, s9, v25, vcc_lo
	v_lshlrev_b64 v[26:27], 3, v[4:5]
	v_add_co_u32 v40, vcc_lo, s8, v20
	v_add_co_ci_u32_e32 v41, vcc_lo, s9, v21, vcc_lo
	v_add_co_u32 v42, vcc_lo, s8, v22
	v_add_co_ci_u32_e32 v43, vcc_lo, s9, v23, vcc_lo
	v_add_co_u32 v52, vcc_lo, s8, v26
	v_add_co_ci_u32_e32 v53, vcc_lo, s9, v27, vcc_lo
	v_lshlrev_b64 v[44:45], 3, v[6:7]
	s_clause 0x3
	global_load_b128 v[20:23], v[32:33], off offset:48
	global_load_b128 v[24:27], v[32:33], off offset:32
	;; [unrolled: 1-line block ×3, first 2 shown]
	global_load_b128 v[32:35], v[32:33], off
	v_add_nc_u32_e32 v6, -13, v4
	v_add_co_u32 v38, vcc_lo, s8, v38
	v_add_co_ci_u32_e32 v39, vcc_lo, s9, v39, vcc_lo
	s_clause 0x1
	global_load_b64 v[54:55], v[40:41], off
	global_load_b64 v[56:57], v[42:43], off
	v_lshlrev_b64 v[40:41], 3, v[6:7]
	v_add_nc_u32_e32 v6, -5, v4
	global_load_b64 v[58:59], v[38:39], off
	v_add_co_u32 v38, vcc_lo, s8, v44
	v_add_co_ci_u32_e32 v39, vcc_lo, s9, v45, vcc_lo
	v_add_co_u32 v40, vcc_lo, s8, v40
	v_lshlrev_b64 v[42:43], 3, v[6:7]
	v_add_nc_u32_e32 v6, -12, v4
	v_add_co_ci_u32_e32 v41, vcc_lo, s9, v41, vcc_lo
	s_clause 0x1
	global_load_b64 v[60:61], v[38:39], off
	global_load_b64 v[62:63], v[40:41], off
	v_lshlrev_b64 v[38:39], 3, v[6:7]
	v_add_nc_u32_e32 v6, -4, v4
	v_add_co_u32 v40, vcc_lo, s8, v42
	v_add_co_ci_u32_e32 v41, vcc_lo, s9, v43, vcc_lo
	s_delay_alu instid0(VALU_DEP_3)
	v_lshlrev_b64 v[42:43], 3, v[6:7]
	v_add_co_u32 v38, vcc_lo, s8, v38
	v_add_co_ci_u32_e32 v39, vcc_lo, s9, v39, vcc_lo
	global_load_b64 v[64:65], v[40:41], off
	v_add_co_u32 v46, vcc_lo, s8, v42
	global_load_b64 v[66:67], v[38:39], off
	v_add_co_ci_u32_e32 v47, vcc_lo, s9, v43, vcc_lo
	s_waitcnt vmcnt(11)
	v_subrev_nc_u32_e32 v3, s12, v3
	s_delay_alu instid0(VALU_DEP_1) | instskip(NEXT) | instid1(VALU_DEP_1)
	v_lshlrev_b32_e32 v36, 3, v3
	v_lshlrev_b64 v[36:37], 3, v[36:37]
	s_delay_alu instid0(VALU_DEP_1) | instskip(NEXT) | instid1(VALU_DEP_1)
	v_add_co_u32 v50, s2, s10, v36
	v_add_co_ci_u32_e64 v51, s2, s11, v37, s2
	s_clause 0x1
	global_load_b128 v[36:39], v[50:51], off
	global_load_b128 v[40:43], v[50:51], off offset:16
	global_load_b64 v[68:69], v[46:47], off
	s_waitcnt vmcnt(2)
	v_dual_fmac_f32 v17, v32, v36 :: v_dual_add_nc_u32 v2, 8, v2
	v_fmac_f32_e32 v14, v57, v36
	v_fmac_f32_e32 v13, v33, v36
	;; [unrolled: 1-line block ×3, first 2 shown]
	s_delay_alu instid0(VALU_DEP_4) | instskip(NEXT) | instid1(VALU_DEP_4)
	v_fma_f32 v3, -v33, v37, v17
	v_dual_fmac_f32 v14, v56, v37 :: v_dual_fmac_f32 v19, v54, v36
	s_delay_alu instid0(VALU_DEP_4) | instskip(NEXT) | instid1(VALU_DEP_4)
	v_fmac_f32_e32 v13, v32, v37
	v_fma_f32 v17, -v57, v37, v18
	s_delay_alu instid0(VALU_DEP_4) | instskip(NEXT) | instid1(VALU_DEP_4)
	v_fmac_f32_e32 v3, v34, v38
	v_fmac_f32_e32 v14, v61, v38
	v_fma_f32 v8, -v55, v37, v19
	v_fmac_f32_e32 v15, v55, v36
	v_fmac_f32_e32 v13, v35, v38
	v_fma_f32 v3, -v35, v39, v3
	v_fmac_f32_e32 v17, v60, v38
	v_fmac_f32_e32 v8, v58, v38
	v_dual_fmac_f32 v15, v54, v37 :: v_dual_add_nc_u32 v6, -11, v4
	s_waitcnt vmcnt(1)
	v_fmac_f32_e32 v3, v28, v40
	v_fmac_f32_e32 v13, v34, v39
	s_delay_alu instid0(VALU_DEP_3)
	v_dual_fmac_f32 v14, v60, v39 :: v_dual_fmac_f32 v15, v59, v38
	v_lshlrev_b64 v[44:45], 3, v[6:7]
	v_add_nc_u32_e32 v6, -3, v4
	v_fma_f32 v3, -v29, v41, v3
	v_fma_f32 v8, -v59, v39, v8
	;; [unrolled: 1-line block ×3, first 2 shown]
	v_fmac_f32_e32 v13, v29, v40
	v_add_co_u32 v44, vcc_lo, s8, v44
	v_lshlrev_b64 v[48:49], 3, v[6:7]
	v_add_nc_u32_e32 v6, -10, v4
	v_add_co_ci_u32_e32 v45, vcc_lo, s9, v45, vcc_lo
	v_dual_fmac_f32 v15, v58, v39 :: v_dual_fmac_f32 v14, v65, v40
	v_fmac_f32_e32 v13, v28, v41
	global_load_b64 v[70:71], v[44:45], off
	v_lshlrev_b64 v[46:47], 3, v[6:7]
	v_add_nc_u32_e32 v6, -2, v4
	v_add_co_u32 v44, vcc_lo, s8, v48
	v_add_co_ci_u32_e32 v45, vcc_lo, s9, v49, vcc_lo
	s_delay_alu instid0(VALU_DEP_3)
	v_lshlrev_b64 v[48:49], 3, v[6:7]
	v_add_co_u32 v46, vcc_lo, s8, v46
	v_add_co_ci_u32_e32 v47, vcc_lo, s9, v47, vcc_lo
	global_load_b64 v[72:73], v[44:45], off
	v_add_co_u32 v78, vcc_lo, s8, v48
	global_load_b64 v[76:77], v[46:47], off
	v_add_co_ci_u32_e32 v79, vcc_lo, s9, v49, vcc_lo
	s_clause 0x1
	global_load_b128 v[44:47], v[50:51], off offset:32
	global_load_b128 v[48:51], v[50:51], off offset:48
	v_add_nc_u32_e32 v6, -9, v4
	v_dual_fmac_f32 v15, v63, v40 :: v_dual_fmac_f32 v14, v64, v41
	global_load_b64 v[78:79], v[78:79], off
	v_fmac_f32_e32 v3, v30, v42
	v_lshlrev_b64 v[74:75], 3, v[6:7]
	v_dual_fmac_f32 v15, v62, v41 :: v_dual_add_nc_u32 v6, -1, v4
	v_fmac_f32_e32 v13, v31, v42
	s_delay_alu instid0(VALU_DEP_4) | instskip(NEXT) | instid1(VALU_DEP_3)
	v_fma_f32 v3, -v31, v43, v3
	v_lshlrev_b64 v[80:81], 3, v[6:7]
	v_add_co_u32 v74, vcc_lo, s8, v74
	v_add_co_ci_u32_e32 v75, vcc_lo, s9, v75, vcc_lo
	v_add_nc_u32_e32 v6, -8, v4
	s_delay_alu instid0(VALU_DEP_4)
	v_add_co_u32 v80, vcc_lo, s8, v80
	v_add_co_ci_u32_e32 v81, vcc_lo, s9, v81, vcc_lo
	s_clause 0x1
	global_load_b64 v[74:75], v[74:75], off
	global_load_b64 v[80:81], v[80:81], off
	v_lshlrev_b64 v[5:6], 3, v[6:7]
	v_dual_fmac_f32 v15, v67, v42 :: v_dual_add_nc_u32 v4, 0xc0, v4
	s_waitcnt vmcnt(8)
	v_dual_fmac_f32 v14, v69, v42 :: v_dual_fmac_f32 v13, v30, v43
	s_delay_alu instid0(VALU_DEP_3) | instskip(NEXT) | instid1(VALU_DEP_3)
	v_add_co_u32 v5, vcc_lo, s8, v5
	v_fmac_f32_e32 v15, v66, v43
	v_add_co_ci_u32_e32 v6, vcc_lo, s9, v6, vcc_lo
	s_clause 0x1
	global_load_b64 v[5:6], v[5:6], off
	global_load_b64 v[52:53], v[52:53], off
	v_fmac_f32_e32 v14, v68, v43
	v_cmp_ge_i32_e32 vcc_lo, v2, v16
	s_or_b32 s4, vcc_lo, s4
	s_waitcnt vmcnt(6)
	v_fmac_f32_e32 v13, v25, v44
	v_fmac_f32_e32 v8, v62, v40
	v_fmac_f32_e32 v14, v73, v44
	v_fmac_f32_e32 v15, v71, v44
	s_delay_alu instid0(VALU_DEP_4) | instskip(NEXT) | instid1(VALU_DEP_4)
	v_fmac_f32_e32 v13, v24, v45
	v_fma_f32 v8, -v63, v41, v8
	s_delay_alu instid0(VALU_DEP_4)
	v_fmac_f32_e32 v14, v72, v45
	v_fmac_f32_e32 v17, v64, v40
	;; [unrolled: 1-line block ×5, first 2 shown]
	s_waitcnt vmcnt(4)
	v_fmac_f32_e32 v14, v79, v46
	v_fma_f32 v17, -v65, v41, v17
	v_fma_f32 v3, -v25, v45, v3
	v_fmac_f32_e32 v15, v70, v45
	v_fma_f32 v8, -v67, v43, v8
	s_delay_alu instid0(VALU_DEP_4) | instskip(NEXT) | instid1(VALU_DEP_4)
	v_dual_fmac_f32 v14, v78, v47 :: v_dual_fmac_f32 v17, v68, v42
	v_fmac_f32_e32 v3, v26, v46
	v_fmac_f32_e32 v13, v26, v47
	s_delay_alu instid0(VALU_DEP_4) | instskip(NEXT) | instid1(VALU_DEP_4)
	v_fmac_f32_e32 v8, v70, v44
	v_fma_f32 v17, -v69, v43, v17
	s_waitcnt vmcnt(2)
	v_fmac_f32_e32 v14, v81, v48
	s_delay_alu instid0(VALU_DEP_3) | instskip(SKIP_2) | instid1(VALU_DEP_4)
	v_fma_f32 v8, -v71, v45, v8
	v_fma_f32 v3, -v27, v47, v3
	v_fmac_f32_e32 v17, v72, v44
	v_fmac_f32_e32 v14, v80, v49
	s_delay_alu instid0(VALU_DEP_4) | instskip(NEXT) | instid1(VALU_DEP_4)
	v_fmac_f32_e32 v8, v76, v46
	v_fmac_f32_e32 v3, v20, v48
	s_delay_alu instid0(VALU_DEP_4) | instskip(NEXT) | instid1(VALU_DEP_3)
	v_fma_f32 v17, -v73, v45, v17
	v_fma_f32 v8, -v77, v47, v8
	v_fmac_f32_e32 v15, v77, v46
	s_delay_alu instid0(VALU_DEP_3)
	v_fmac_f32_e32 v17, v78, v46
	s_waitcnt vmcnt(0)
	v_fmac_f32_e32 v14, v53, v50
	v_fmac_f32_e32 v8, v74, v48
	v_fma_f32 v3, -v21, v49, v3
	v_fma_f32 v17, -v79, v47, v17
	s_delay_alu instid0(VALU_DEP_4) | instskip(NEXT) | instid1(VALU_DEP_4)
	v_fmac_f32_e32 v14, v52, v51
	v_fma_f32 v8, -v75, v49, v8
	v_fmac_f32_e32 v15, v76, v47
	s_delay_alu instid0(VALU_DEP_4) | instskip(SKIP_1) | instid1(VALU_DEP_3)
	v_fmac_f32_e32 v17, v80, v48
	v_fmac_f32_e32 v3, v22, v50
	v_dual_fmac_f32 v8, v5, v50 :: v_dual_fmac_f32 v15, v75, v48
	s_delay_alu instid0(VALU_DEP_3) | instskip(SKIP_1) | instid1(VALU_DEP_4)
	v_fma_f32 v18, -v81, v49, v17
	v_fmac_f32_e32 v13, v21, v48
	v_fma_f32 v17, -v23, v51, v3
	s_delay_alu instid0(VALU_DEP_4) | instskip(NEXT) | instid1(VALU_DEP_4)
	v_fma_f32 v19, -v6, v51, v8
	v_dual_fmac_f32 v15, v74, v49 :: v_dual_fmac_f32 v18, v52, v50
	s_delay_alu instid0(VALU_DEP_4) | instskip(NEXT) | instid1(VALU_DEP_2)
	v_fmac_f32_e32 v13, v20, v49
	v_fmac_f32_e32 v15, v6, v50
	s_delay_alu instid0(VALU_DEP_3) | instskip(NEXT) | instid1(VALU_DEP_3)
	v_fma_f32 v18, -v53, v51, v18
	v_fmac_f32_e32 v13, v23, v50
	s_delay_alu instid0(VALU_DEP_3) | instskip(NEXT) | instid1(VALU_DEP_2)
	v_fmac_f32_e32 v15, v5, v51
	v_fmac_f32_e32 v13, v22, v51
	s_and_not1_b32 exec_lo, exec_lo, s4
	s_cbranch_execnz .LBB105_21
; %bb.22:
	s_or_b32 exec_lo, exec_lo, s4
.LBB105_23:
	s_delay_alu instid0(SALU_CYCLE_1)
	s_or_b32 exec_lo, exec_lo, s3
.LBB105_24:
	v_mbcnt_lo_u32_b32 v2, -1, 0
	s_delay_alu instid0(VALU_DEP_1) | instskip(SKIP_1) | instid1(VALU_DEP_2)
	v_xor_b32_e32 v3, 4, v2
	v_xor_b32_e32 v16, 2, v2
	v_cmp_gt_i32_e32 vcc_lo, 32, v3
	v_cndmask_b32_e32 v3, v2, v3, vcc_lo
	s_delay_alu instid0(VALU_DEP_3) | instskip(SKIP_1) | instid1(VALU_DEP_1)
	v_cmp_gt_i32_e32 vcc_lo, 32, v16
	v_cndmask_b32_e32 v16, v2, v16, vcc_lo
	v_lshlrev_b32_e32 v16, 2, v16
	s_delay_alu instid0(VALU_DEP_4)
	v_lshlrev_b32_e32 v3, 2, v3
	ds_bpermute_b32 v4, v3, v17
	s_waitcnt lgkmcnt(0)
	v_add_f32_e32 v4, v17, v4
	ds_bpermute_b32 v6, v3, v19
	ds_bpermute_b32 v5, v3, v13
	;; [unrolled: 1-line block ×5, first 2 shown]
	s_waitcnt lgkmcnt(4)
	v_add_f32_e32 v6, v19, v6
	v_xor_b32_e32 v19, 1, v2
	s_waitcnt lgkmcnt(3)
	v_add_f32_e32 v5, v13, v5
	s_delay_alu instid0(VALU_DEP_2)
	v_cmp_gt_i32_e32 vcc_lo, 32, v19
	v_cndmask_b32_e32 v2, v2, v19, vcc_lo
	s_waitcnt lgkmcnt(0)
	v_add_f32_e32 v14, v14, v3
	ds_bpermute_b32 v3, v16, v4
	v_cmp_eq_u32_e32 vcc_lo, 7, v0
	v_lshlrev_b32_e32 v19, 2, v2
	v_add_f32_e32 v13, v15, v7
	v_add_f32_e32 v15, v18, v8
	ds_bpermute_b32 v7, v16, v5
	ds_bpermute_b32 v8, v16, v6
	;; [unrolled: 1-line block ×5, first 2 shown]
	s_waitcnt lgkmcnt(5)
	v_add_f32_e32 v2, v4, v3
	s_waitcnt lgkmcnt(4)
	v_add_f32_e32 v5, v5, v7
	;; [unrolled: 2-line block ×3, first 2 shown]
	ds_bpermute_b32 v6, v19, v2
	s_waitcnt lgkmcnt(1)
	v_dual_add_f32 v3, v15, v18 :: v_dual_add_f32 v4, v14, v16
	v_add_f32_e32 v8, v13, v17
	ds_bpermute_b32 v15, v19, v5
	ds_bpermute_b32 v16, v19, v7
	;; [unrolled: 1-line block ×5, first 2 shown]
	s_and_b32 exec_lo, exec_lo, vcc_lo
	s_cbranch_execz .LBB105_29
; %bb.25:
	s_load_b64 s[2:3], s[0:1], 0x38
	v_cmp_eq_f32_e32 vcc_lo, 0, v11
	v_cmp_eq_f32_e64 s0, 0, v12
	s_waitcnt lgkmcnt(0)
	v_add_f32_e32 v0, v2, v6
	v_dual_add_f32 v6, v5, v15 :: v_dual_add_f32 v3, v3, v13
	v_dual_add_f32 v2, v7, v16 :: v_dual_add_f32 v5, v8, v17
	v_add_f32_e32 v4, v4, v14
	s_and_b32 s0, vcc_lo, s0
	s_delay_alu instid0(SALU_CYCLE_1) | instskip(NEXT) | instid1(SALU_CYCLE_1)
	s_and_saveexec_b32 s1, s0
	s_xor_b32 s0, exec_lo, s1
	s_cbranch_execz .LBB105_27
; %bb.26:
	v_lshl_add_u32 v7, v1, 1, v1
	v_mul_f32_e64 v11, v6, -v10
	v_mul_f32_e32 v12, v6, v9
	v_mul_f32_e64 v13, v5, -v10
	v_mul_f32_e32 v14, v5, v9
	v_ashrrev_i32_e32 v8, 31, v7
	v_fmac_f32_e32 v11, v9, v0
	v_mul_f32_e64 v5, v4, -v10
	v_dual_mul_f32 v6, v4, v9 :: v_dual_fmac_f32 v13, v9, v2
	s_delay_alu instid0(VALU_DEP_4) | instskip(NEXT) | instid1(VALU_DEP_3)
	v_lshlrev_b64 v[7:8], 3, v[7:8]
	v_dual_fmac_f32 v12, v10, v0 :: v_dual_fmac_f32 v5, v9, v3
	v_fmac_f32_e32 v14, v10, v2
	s_delay_alu instid0(VALU_DEP_4) | instskip(NEXT) | instid1(VALU_DEP_4)
	v_fmac_f32_e32 v6, v10, v3
                                        ; implicit-def: $vgpr9
                                        ; implicit-def: $vgpr10
                                        ; implicit-def: $vgpr2
                                        ; implicit-def: $vgpr3
                                        ; implicit-def: $vgpr4
	v_add_co_u32 v0, vcc_lo, s2, v7
	v_add_co_ci_u32_e32 v1, vcc_lo, s3, v8, vcc_lo
	s_clause 0x1
	global_store_b128 v[0:1], v[11:14], off
	global_store_b64 v[0:1], v[5:6], off offset:16
                                        ; implicit-def: $vgpr11
                                        ; implicit-def: $vgpr12
                                        ; implicit-def: $vgpr1
                                        ; implicit-def: $vgpr0
                                        ; implicit-def: $vgpr6
                                        ; implicit-def: $vgpr5
.LBB105_27:
	s_and_not1_saveexec_b32 s0, s0
	s_cbranch_execz .LBB105_29
; %bb.28:
	v_lshl_add_u32 v7, v1, 1, v1
	v_mul_f32_e64 v21, v5, -v10
	v_mul_f32_e64 v22, v4, -v10
	s_delay_alu instid0(VALU_DEP_3) | instskip(NEXT) | instid1(VALU_DEP_1)
	v_ashrrev_i32_e32 v8, 31, v7
	v_lshlrev_b64 v[7:8], 3, v[7:8]
	s_delay_alu instid0(VALU_DEP_1) | instskip(NEXT) | instid1(VALU_DEP_2)
	v_add_co_u32 v17, vcc_lo, s2, v7
	v_add_co_ci_u32_e32 v18, vcc_lo, s3, v8, vcc_lo
	v_mul_f32_e64 v7, v6, -v10
	v_mul_f32_e32 v6, v6, v9
	s_clause 0x1
	global_load_b128 v[13:16], v[17:18], off
	global_load_b64 v[19:20], v[17:18], off offset:16
	v_fmac_f32_e32 v7, v9, v0
	v_dual_mul_f32 v1, v4, v9 :: v_dual_fmac_f32 v6, v10, v0
	v_mul_f32_e32 v8, v5, v9
	v_fmac_f32_e32 v21, v9, v2
	s_delay_alu instid0(VALU_DEP_3) | instskip(SKIP_1) | instid1(VALU_DEP_3)
	v_fmac_f32_e32 v1, v10, v3
	s_waitcnt vmcnt(1)
	v_dual_fmac_f32 v8, v10, v2 :: v_dual_fmac_f32 v7, v11, v13
	v_fmac_f32_e32 v6, v12, v13
	s_waitcnt vmcnt(0)
	v_fmac_f32_e32 v1, v12, v19
	v_fmac_f32_e32 v21, v11, v15
	;; [unrolled: 1-line block ×3, first 2 shown]
	v_fma_f32 v5, -v12, v14, v7
	v_fmac_f32_e32 v6, v11, v14
	v_dual_fmac_f32 v22, v9, v3 :: v_dual_fmac_f32 v1, v11, v20
	v_fma_f32 v7, -v12, v16, v21
	v_fmac_f32_e32 v8, v11, v16
	s_delay_alu instid0(VALU_DEP_3) | instskip(NEXT) | instid1(VALU_DEP_1)
	v_fmac_f32_e32 v22, v11, v19
	v_fma_f32 v0, -v12, v20, v22
	s_clause 0x1
	global_store_b128 v[17:18], v[5:8], off
	global_store_b64 v[17:18], v[0:1], off offset:16
.LBB105_29:
	s_nop 0
	s_sendmsg sendmsg(MSG_DEALLOC_VGPRS)
	s_endpgm
	.section	.rodata,"a",@progbits
	.p2align	6, 0x0
	.amdhsa_kernel _ZN9rocsparseL19gebsrmvn_3xn_kernelILj128ELj8ELj8E21rocsparse_complex_numIfEEEvi20rocsparse_direction_NS_24const_host_device_scalarIT2_EEPKiS8_PKS5_SA_S6_PS5_21rocsparse_index_base_b
		.amdhsa_group_segment_fixed_size 0
		.amdhsa_private_segment_fixed_size 0
		.amdhsa_kernarg_size 72
		.amdhsa_user_sgpr_count 15
		.amdhsa_user_sgpr_dispatch_ptr 0
		.amdhsa_user_sgpr_queue_ptr 0
		.amdhsa_user_sgpr_kernarg_segment_ptr 1
		.amdhsa_user_sgpr_dispatch_id 0
		.amdhsa_user_sgpr_private_segment_size 0
		.amdhsa_wavefront_size32 1
		.amdhsa_uses_dynamic_stack 0
		.amdhsa_enable_private_segment 0
		.amdhsa_system_sgpr_workgroup_id_x 1
		.amdhsa_system_sgpr_workgroup_id_y 0
		.amdhsa_system_sgpr_workgroup_id_z 0
		.amdhsa_system_sgpr_workgroup_info 0
		.amdhsa_system_vgpr_workitem_id 0
		.amdhsa_next_free_vgpr 82
		.amdhsa_next_free_sgpr 16
		.amdhsa_reserve_vcc 1
		.amdhsa_float_round_mode_32 0
		.amdhsa_float_round_mode_16_64 0
		.amdhsa_float_denorm_mode_32 3
		.amdhsa_float_denorm_mode_16_64 3
		.amdhsa_dx10_clamp 1
		.amdhsa_ieee_mode 1
		.amdhsa_fp16_overflow 0
		.amdhsa_workgroup_processor_mode 1
		.amdhsa_memory_ordered 1
		.amdhsa_forward_progress 0
		.amdhsa_shared_vgpr_count 0
		.amdhsa_exception_fp_ieee_invalid_op 0
		.amdhsa_exception_fp_denorm_src 0
		.amdhsa_exception_fp_ieee_div_zero 0
		.amdhsa_exception_fp_ieee_overflow 0
		.amdhsa_exception_fp_ieee_underflow 0
		.amdhsa_exception_fp_ieee_inexact 0
		.amdhsa_exception_int_div_zero 0
	.end_amdhsa_kernel
	.section	.text._ZN9rocsparseL19gebsrmvn_3xn_kernelILj128ELj8ELj8E21rocsparse_complex_numIfEEEvi20rocsparse_direction_NS_24const_host_device_scalarIT2_EEPKiS8_PKS5_SA_S6_PS5_21rocsparse_index_base_b,"axG",@progbits,_ZN9rocsparseL19gebsrmvn_3xn_kernelILj128ELj8ELj8E21rocsparse_complex_numIfEEEvi20rocsparse_direction_NS_24const_host_device_scalarIT2_EEPKiS8_PKS5_SA_S6_PS5_21rocsparse_index_base_b,comdat
.Lfunc_end105:
	.size	_ZN9rocsparseL19gebsrmvn_3xn_kernelILj128ELj8ELj8E21rocsparse_complex_numIfEEEvi20rocsparse_direction_NS_24const_host_device_scalarIT2_EEPKiS8_PKS5_SA_S6_PS5_21rocsparse_index_base_b, .Lfunc_end105-_ZN9rocsparseL19gebsrmvn_3xn_kernelILj128ELj8ELj8E21rocsparse_complex_numIfEEEvi20rocsparse_direction_NS_24const_host_device_scalarIT2_EEPKiS8_PKS5_SA_S6_PS5_21rocsparse_index_base_b
                                        ; -- End function
	.section	.AMDGPU.csdata,"",@progbits
; Kernel info:
; codeLenInByte = 4104
; NumSgprs: 18
; NumVgprs: 82
; ScratchSize: 0
; MemoryBound: 0
; FloatMode: 240
; IeeeMode: 1
; LDSByteSize: 0 bytes/workgroup (compile time only)
; SGPRBlocks: 2
; VGPRBlocks: 10
; NumSGPRsForWavesPerEU: 18
; NumVGPRsForWavesPerEU: 82
; Occupancy: 16
; WaveLimiterHint : 1
; COMPUTE_PGM_RSRC2:SCRATCH_EN: 0
; COMPUTE_PGM_RSRC2:USER_SGPR: 15
; COMPUTE_PGM_RSRC2:TRAP_HANDLER: 0
; COMPUTE_PGM_RSRC2:TGID_X_EN: 1
; COMPUTE_PGM_RSRC2:TGID_Y_EN: 0
; COMPUTE_PGM_RSRC2:TGID_Z_EN: 0
; COMPUTE_PGM_RSRC2:TIDIG_COMP_CNT: 0
	.section	.text._ZN9rocsparseL19gebsrmvn_3xn_kernelILj128ELj8ELj16E21rocsparse_complex_numIfEEEvi20rocsparse_direction_NS_24const_host_device_scalarIT2_EEPKiS8_PKS5_SA_S6_PS5_21rocsparse_index_base_b,"axG",@progbits,_ZN9rocsparseL19gebsrmvn_3xn_kernelILj128ELj8ELj16E21rocsparse_complex_numIfEEEvi20rocsparse_direction_NS_24const_host_device_scalarIT2_EEPKiS8_PKS5_SA_S6_PS5_21rocsparse_index_base_b,comdat
	.globl	_ZN9rocsparseL19gebsrmvn_3xn_kernelILj128ELj8ELj16E21rocsparse_complex_numIfEEEvi20rocsparse_direction_NS_24const_host_device_scalarIT2_EEPKiS8_PKS5_SA_S6_PS5_21rocsparse_index_base_b ; -- Begin function _ZN9rocsparseL19gebsrmvn_3xn_kernelILj128ELj8ELj16E21rocsparse_complex_numIfEEEvi20rocsparse_direction_NS_24const_host_device_scalarIT2_EEPKiS8_PKS5_SA_S6_PS5_21rocsparse_index_base_b
	.p2align	8
	.type	_ZN9rocsparseL19gebsrmvn_3xn_kernelILj128ELj8ELj16E21rocsparse_complex_numIfEEEvi20rocsparse_direction_NS_24const_host_device_scalarIT2_EEPKiS8_PKS5_SA_S6_PS5_21rocsparse_index_base_b,@function
_ZN9rocsparseL19gebsrmvn_3xn_kernelILj128ELj8ELj16E21rocsparse_complex_numIfEEEvi20rocsparse_direction_NS_24const_host_device_scalarIT2_EEPKiS8_PKS5_SA_S6_PS5_21rocsparse_index_base_b: ; @_ZN9rocsparseL19gebsrmvn_3xn_kernelILj128ELj8ELj16E21rocsparse_complex_numIfEEEvi20rocsparse_direction_NS_24const_host_device_scalarIT2_EEPKiS8_PKS5_SA_S6_PS5_21rocsparse_index_base_b
; %bb.0:
	s_clause 0x2
	s_load_b64 s[12:13], s[0:1], 0x40
	s_load_b64 s[4:5], s[0:1], 0x8
	s_load_b64 s[2:3], s[0:1], 0x30
	s_waitcnt lgkmcnt(0)
	s_bitcmp1_b32 s13, 0
	v_mov_b32_e32 v9, s4
	s_cselect_b32 s6, -1, 0
	s_delay_alu instid0(SALU_CYCLE_1)
	s_and_b32 vcc_lo, exec_lo, s6
	s_xor_b32 s6, s6, -1
	s_cbranch_vccz .LBB106_15
; %bb.1:
	v_cndmask_b32_e64 v1, 0, 1, s6
	v_mov_b32_e32 v10, s5
	s_and_not1_b32 vcc_lo, exec_lo, s6
	s_cbranch_vccz .LBB106_16
.LBB106_2:
	s_delay_alu instid0(VALU_DEP_2)
	v_cmp_ne_u32_e32 vcc_lo, 1, v1
	v_mov_b32_e32 v11, s2
	s_cbranch_vccz .LBB106_17
.LBB106_3:
	v_cmp_ne_u32_e32 vcc_lo, 1, v1
	v_mov_b32_e32 v12, s3
	s_cbranch_vccnz .LBB106_5
.LBB106_4:
	v_dual_mov_b32 v1, s2 :: v_dual_mov_b32 v2, s3
	flat_load_b32 v12, v[1:2] offset:4
.LBB106_5:
	s_waitcnt vmcnt(0) lgkmcnt(0)
	v_cmp_eq_f32_e32 vcc_lo, 0, v9
	v_cmp_eq_f32_e64 s2, 0, v10
	s_delay_alu instid0(VALU_DEP_1)
	s_and_b32 s4, vcc_lo, s2
	s_mov_b32 s2, -1
	s_and_saveexec_b32 s3, s4
; %bb.6:
	v_cmp_neq_f32_e32 vcc_lo, 1.0, v11
	v_cmp_neq_f32_e64 s2, 0, v12
	s_delay_alu instid0(VALU_DEP_1) | instskip(NEXT) | instid1(SALU_CYCLE_1)
	s_or_b32 s2, vcc_lo, s2
	s_or_not1_b32 s2, s2, exec_lo
; %bb.7:
	s_or_b32 exec_lo, exec_lo, s3
	s_and_saveexec_b32 s3, s2
	s_cbranch_execz .LBB106_29
; %bb.8:
	s_load_b64 s[2:3], s[0:1], 0x0
	v_lshrrev_b32_e32 v1, 4, v0
	s_delay_alu instid0(VALU_DEP_1) | instskip(SKIP_1) | instid1(VALU_DEP_1)
	v_lshl_or_b32 v1, s15, 3, v1
	s_waitcnt lgkmcnt(0)
	v_cmp_gt_i32_e32 vcc_lo, s2, v1
	s_and_b32 exec_lo, exec_lo, vcc_lo
	s_cbranch_execz .LBB106_29
; %bb.9:
	s_load_b256 s[4:11], s[0:1], 0x10
	v_ashrrev_i32_e32 v2, 31, v1
	v_and_b32_e32 v0, 15, v0
	s_cmp_lg_u32 s3, 0
	s_delay_alu instid0(VALU_DEP_2) | instskip(SKIP_1) | instid1(VALU_DEP_1)
	v_lshlrev_b64 v[2:3], 2, v[1:2]
	s_waitcnt lgkmcnt(0)
	v_add_co_u32 v2, vcc_lo, s4, v2
	s_delay_alu instid0(VALU_DEP_2) | instskip(SKIP_4) | instid1(VALU_DEP_2)
	v_add_co_ci_u32_e32 v3, vcc_lo, s5, v3, vcc_lo
	global_load_b64 v[2:3], v[2:3], off
	s_waitcnt vmcnt(0)
	v_subrev_nc_u32_e32 v2, s12, v2
	v_subrev_nc_u32_e32 v16, s12, v3
	v_add_nc_u32_e32 v2, v2, v0
	s_delay_alu instid0(VALU_DEP_1)
	v_cmp_lt_i32_e64 s2, v2, v16
	s_cbranch_scc0 .LBB106_18
; %bb.10:
	v_dual_mov_b32 v13, 0 :: v_dual_mov_b32 v18, 0
	v_dual_mov_b32 v17, 0 :: v_dual_mov_b32 v14, 0
	v_mov_b32_e32 v19, 0
	v_mov_b32_e32 v15, 0
	s_mov_b32 s3, 0
	s_and_saveexec_b32 s4, s2
	s_cbranch_execz .LBB106_14
; %bb.11:
	v_mad_u64_u32 v[3:4], null, v2, 24, 23
	v_dual_mov_b32 v6, 0 :: v_dual_mov_b32 v7, v2
	v_dual_mov_b32 v13, 0 :: v_dual_mov_b32 v18, 0
	;; [unrolled: 1-line block ×3, first 2 shown]
	v_mov_b32_e32 v19, 0
	v_mov_b32_e32 v15, 0
	s_mov_b32 s5, 0
.LBB106_12:                             ; =>This Inner Loop Header: Depth=1
	v_ashrrev_i32_e32 v8, 31, v7
	s_delay_alu instid0(VALU_DEP_1) | instskip(NEXT) | instid1(VALU_DEP_1)
	v_lshlrev_b64 v[4:5], 2, v[7:8]
	v_add_co_u32 v4, vcc_lo, s6, v4
	s_delay_alu instid0(VALU_DEP_2) | instskip(SKIP_3) | instid1(VALU_DEP_2)
	v_add_co_ci_u32_e32 v5, vcc_lo, s7, v5, vcc_lo
	global_load_b32 v8, v[4:5], off
	v_subrev_nc_u32_e32 v5, 23, v3
	v_mov_b32_e32 v4, v6
	v_lshlrev_b64 v[20:21], 3, v[5:6]
	v_add_nc_u32_e32 v5, -15, v3
	s_delay_alu instid0(VALU_DEP_3) | instskip(NEXT) | instid1(VALU_DEP_2)
	v_lshlrev_b64 v[22:23], 3, v[3:4]
	v_lshlrev_b64 v[28:29], 3, v[5:6]
	s_delay_alu instid0(VALU_DEP_4) | instskip(SKIP_1) | instid1(VALU_DEP_4)
	v_add_co_u32 v32, vcc_lo, s8, v20
	v_add_co_ci_u32_e32 v33, vcc_lo, s9, v21, vcc_lo
	v_add_co_u32 v52, vcc_lo, s8, v22
	v_add_co_ci_u32_e32 v53, vcc_lo, s9, v23, vcc_lo
	v_add_co_u32 v40, vcc_lo, s8, v28
	s_clause 0x1
	global_load_b128 v[20:23], v[32:33], off offset:48
	global_load_b128 v[24:27], v[32:33], off offset:32
	v_add_co_ci_u32_e32 v41, vcc_lo, s9, v29, vcc_lo
	s_clause 0x1
	global_load_b128 v[28:31], v[32:33], off offset:16
	global_load_b128 v[32:35], v[32:33], off
	v_add_nc_u32_e32 v5, -14, v3
	global_load_b64 v[54:55], v[40:41], off
	v_lshlrev_b64 v[38:39], 3, v[5:6]
	v_add_nc_u32_e32 v5, -13, v3
	s_delay_alu instid0(VALU_DEP_1) | instskip(NEXT) | instid1(VALU_DEP_3)
	v_lshlrev_b64 v[42:43], 3, v[5:6]
	v_add_co_u32 v38, vcc_lo, s8, v38
	s_delay_alu instid0(VALU_DEP_4) | instskip(SKIP_1) | instid1(VALU_DEP_4)
	v_add_co_ci_u32_e32 v39, vcc_lo, s9, v39, vcc_lo
	v_add_nc_u32_e32 v5, -12, v3
	v_add_co_u32 v42, vcc_lo, s8, v42
	v_add_co_ci_u32_e32 v43, vcc_lo, s9, v43, vcc_lo
	s_clause 0x1
	global_load_b64 v[58:59], v[42:43], off
	global_load_b64 v[56:57], v[38:39], off
	v_lshlrev_b64 v[40:41], 3, v[5:6]
	v_add_nc_u32_e32 v5, -11, v3
	s_delay_alu instid0(VALU_DEP_1) | instskip(SKIP_1) | instid1(VALU_DEP_4)
	v_lshlrev_b64 v[38:39], 3, v[5:6]
	v_add_nc_u32_e32 v5, -10, v3
	v_add_co_u32 v40, vcc_lo, s8, v40
	v_add_co_ci_u32_e32 v41, vcc_lo, s9, v41, vcc_lo
	s_delay_alu instid0(VALU_DEP_4) | instskip(NEXT) | instid1(VALU_DEP_4)
	v_add_co_u32 v38, vcc_lo, s8, v38
	v_lshlrev_b64 v[42:43], 3, v[5:6]
	v_add_nc_u32_e32 v5, -9, v3
	v_add_co_ci_u32_e32 v39, vcc_lo, s9, v39, vcc_lo
	s_clause 0x1
	global_load_b64 v[60:61], v[40:41], off
	global_load_b64 v[62:63], v[38:39], off
	v_lshlrev_b64 v[40:41], 3, v[5:6]
	v_add_nc_u32_e32 v5, -8, v3
	v_add_co_u32 v38, vcc_lo, s8, v42
	v_add_co_ci_u32_e32 v39, vcc_lo, s9, v43, vcc_lo
	s_delay_alu instid0(VALU_DEP_3) | instskip(SKIP_3) | instid1(VALU_DEP_3)
	v_lshlrev_b64 v[42:43], 3, v[5:6]
	v_add_nc_u32_e32 v5, -7, v3
	v_add_co_u32 v40, vcc_lo, s8, v40
	v_add_co_ci_u32_e32 v41, vcc_lo, s9, v41, vcc_lo
	v_lshlrev_b64 v[44:45], 3, v[5:6]
	v_add_nc_u32_e32 v5, -6, v3
	v_add_co_u32 v46, vcc_lo, s8, v42
	v_add_co_ci_u32_e32 v47, vcc_lo, s9, v43, vcc_lo
	s_delay_alu instid0(VALU_DEP_3)
	v_lshlrev_b64 v[48:49], 3, v[5:6]
	s_clause 0x1
	global_load_b64 v[64:65], v[38:39], off
	global_load_b64 v[66:67], v[40:41], off
	s_waitcnt vmcnt(11)
	v_subrev_nc_u32_e32 v4, s12, v8
	s_delay_alu instid0(VALU_DEP_1) | instskip(NEXT) | instid1(VALU_DEP_1)
	v_dual_mov_b32 v37, v6 :: v_dual_lshlrev_b32 v36, 3, v4
	v_lshlrev_b64 v[4:5], 3, v[36:37]
	s_delay_alu instid0(VALU_DEP_1) | instskip(NEXT) | instid1(VALU_DEP_2)
	v_add_co_u32 v50, vcc_lo, s10, v4
	v_add_co_ci_u32_e32 v51, vcc_lo, s11, v5, vcc_lo
	v_add_co_u32 v44, vcc_lo, s8, v44
	v_add_co_ci_u32_e32 v45, vcc_lo, s9, v45, vcc_lo
	s_clause 0x1
	global_load_b128 v[36:39], v[50:51], off
	global_load_b128 v[40:43], v[50:51], off offset:16
	s_clause 0x1
	global_load_b64 v[68:69], v[46:47], off
	global_load_b64 v[70:71], v[44:45], off
	v_add_co_u32 v44, vcc_lo, s8, v48
	v_add_co_ci_u32_e32 v45, vcc_lo, s9, v49, vcc_lo
	global_load_b64 v[74:75], v[44:45], off
	s_waitcnt vmcnt(4)
	v_fmac_f32_e32 v14, v29, v36
	v_fmac_f32_e32 v18, v28, v36
	s_delay_alu instid0(VALU_DEP_2) | instskip(NEXT) | instid1(VALU_DEP_2)
	v_fmac_f32_e32 v14, v28, v37
	v_fma_f32 v18, -v29, v37, v18
	s_delay_alu instid0(VALU_DEP_2) | instskip(NEXT) | instid1(VALU_DEP_2)
	v_dual_fmac_f32 v14, v27, v38 :: v_dual_fmac_f32 v17, v32, v36
	v_fmac_f32_e32 v18, v26, v38
	s_delay_alu instid0(VALU_DEP_2) | instskip(NEXT) | instid1(VALU_DEP_3)
	v_fmac_f32_e32 v14, v26, v39
	v_fma_f32 v8, -v33, v37, v17
	s_delay_alu instid0(VALU_DEP_3) | instskip(SKIP_1) | instid1(VALU_DEP_3)
	v_fma_f32 v18, -v27, v39, v18
	s_waitcnt vmcnt(3)
	v_dual_fmac_f32 v14, v55, v40 :: v_dual_add_nc_u32 v5, -5, v3
	s_delay_alu instid0(VALU_DEP_3) | instskip(NEXT) | instid1(VALU_DEP_3)
	v_fmac_f32_e32 v8, v30, v38
	v_fmac_f32_e32 v18, v54, v40
	s_delay_alu instid0(VALU_DEP_3) | instskip(NEXT) | instid1(VALU_DEP_4)
	v_fmac_f32_e32 v14, v54, v41
	v_lshlrev_b64 v[46:47], 3, v[5:6]
	s_delay_alu instid0(VALU_DEP_4) | instskip(NEXT) | instid1(VALU_DEP_4)
	v_fma_f32 v8, -v31, v39, v8
	v_fma_f32 v18, -v55, v41, v18
	s_delay_alu instid0(VALU_DEP_4) | instskip(SKIP_3) | instid1(VALU_DEP_4)
	v_fmac_f32_e32 v14, v61, v42
	v_fmac_f32_e32 v13, v33, v36
	v_add_co_u32 v46, vcc_lo, s8, v46
	v_add_co_ci_u32_e32 v47, vcc_lo, s9, v47, vcc_lo
	v_fmac_f32_e32 v14, v60, v43
	v_fmac_f32_e32 v8, v20, v40
	;; [unrolled: 1-line block ×3, first 2 shown]
	global_load_b64 v[78:79], v[46:47], off
	s_clause 0x1
	global_load_b128 v[44:47], v[50:51], off offset:32
	global_load_b128 v[48:51], v[50:51], off offset:48
	v_fma_f32 v8, -v21, v41, v8
	v_add_nc_u32_e32 v5, -4, v3
	v_fma_f32 v18, -v61, v43, v18
	s_delay_alu instid0(VALU_DEP_3) | instskip(NEXT) | instid1(VALU_DEP_3)
	v_dual_fmac_f32 v8, v56, v42 :: v_dual_add_nc_u32 v7, 16, v7
	v_lshlrev_b64 v[72:73], 3, v[5:6]
	v_add_nc_u32_e32 v5, -3, v3
	s_delay_alu instid0(VALU_DEP_3) | instskip(NEXT) | instid1(VALU_DEP_2)
	v_fma_f32 v8, -v57, v43, v8
	v_lshlrev_b64 v[76:77], 3, v[5:6]
	v_add_nc_u32_e32 v5, -2, v3
	v_add_co_u32 v72, vcc_lo, s8, v72
	v_add_co_ci_u32_e32 v73, vcc_lo, s9, v73, vcc_lo
	s_delay_alu instid0(VALU_DEP_3)
	v_lshlrev_b64 v[80:81], 3, v[5:6]
	v_add_nc_u32_e32 v5, -1, v3
	v_add_co_u32 v76, vcc_lo, s8, v76
	v_add_co_ci_u32_e32 v77, vcc_lo, s9, v77, vcc_lo
	global_load_b64 v[72:73], v[72:73], off
	v_add_co_u32 v80, vcc_lo, s8, v80
	global_load_b64 v[76:77], v[76:77], off
	v_add_co_ci_u32_e32 v81, vcc_lo, s9, v81, vcc_lo
	s_waitcnt vmcnt(3)
	v_dual_fmac_f32 v14, v67, v44 :: v_dual_add_nc_u32 v3, 0x180, v3
	v_fmac_f32_e32 v8, v62, v44
	v_lshlrev_b64 v[4:5], 3, v[5:6]
	v_fmac_f32_e32 v15, v35, v36
	v_fmac_f32_e32 v18, v66, v44
	;; [unrolled: 1-line block ×3, first 2 shown]
	v_fma_f32 v8, -v63, v45, v8
	v_fmac_f32_e32 v19, v34, v36
	v_add_co_u32 v4, vcc_lo, s8, v4
	v_add_co_ci_u32_e32 v5, vcc_lo, s9, v5, vcc_lo
	s_delay_alu instid0(VALU_DEP_4)
	v_fmac_f32_e32 v8, v68, v46
	s_clause 0x2
	global_load_b64 v[80:81], v[80:81], off
	global_load_b64 v[4:5], v[4:5], off
	;; [unrolled: 1-line block ×3, first 2 shown]
	v_dual_fmac_f32 v15, v34, v37 :: v_dual_fmac_f32 v14, v75, v46
	v_fma_f32 v18, -v67, v45, v18
	v_fmac_f32_e32 v13, v32, v37
	v_fma_f32 v17, -v35, v37, v19
	v_fma_f32 v8, -v69, v47, v8
	v_fmac_f32_e32 v14, v74, v47
	v_fmac_f32_e32 v18, v74, v46
	;; [unrolled: 1-line block ×3, first 2 shown]
	s_waitcnt vmcnt(5)
	v_dual_fmac_f32 v17, v24, v38 :: v_dual_fmac_f32 v8, v78, v48
	v_cmp_ge_i32_e32 vcc_lo, v7, v16
	v_fma_f32 v18, -v75, v47, v18
	v_fmac_f32_e32 v15, v25, v38
	s_waitcnt vmcnt(3)
	v_dual_fmac_f32 v13, v30, v39 :: v_dual_fmac_f32 v14, v77, v48
	v_fma_f32 v17, -v25, v39, v17
	v_fmac_f32_e32 v18, v76, v48
	v_fma_f32 v8, -v79, v49, v8
	s_delay_alu instid0(VALU_DEP_4) | instskip(SKIP_3) | instid1(VALU_DEP_4)
	v_dual_fmac_f32 v13, v21, v40 :: v_dual_fmac_f32 v14, v76, v49
	v_fmac_f32_e32 v15, v24, v39
	v_fmac_f32_e32 v17, v22, v40
	v_fma_f32 v18, -v77, v49, v18
	v_fmac_f32_e32 v13, v20, v41
	s_or_b32 s5, vcc_lo, s5
	s_delay_alu instid0(VALU_DEP_1) | instskip(NEXT) | instid1(VALU_DEP_1)
	v_fmac_f32_e32 v13, v57, v42
	v_fmac_f32_e32 v13, v56, v43
	s_delay_alu instid0(VALU_DEP_1) | instskip(NEXT) | instid1(VALU_DEP_1)
	v_fmac_f32_e32 v13, v63, v44
	v_fmac_f32_e32 v13, v62, v45
	;; [unrolled: 3-line block ×3, first 2 shown]
	s_delay_alu instid0(VALU_DEP_1) | instskip(SKIP_1) | instid1(VALU_DEP_1)
	v_fmac_f32_e32 v13, v79, v48
	s_waitcnt vmcnt(2)
	v_dual_fmac_f32 v13, v78, v49 :: v_dual_fmac_f32 v8, v80, v50
	v_fma_f32 v17, -v23, v41, v17
	s_waitcnt vmcnt(0)
	v_dual_fmac_f32 v14, v53, v50 :: v_dual_fmac_f32 v15, v23, v40
	v_fmac_f32_e32 v18, v52, v50
	v_fmac_f32_e32 v13, v81, v50
	s_delay_alu instid0(VALU_DEP_3) | instskip(NEXT) | instid1(VALU_DEP_4)
	v_dual_fmac_f32 v17, v58, v42 :: v_dual_fmac_f32 v14, v52, v51
	v_fmac_f32_e32 v15, v22, v41
	s_delay_alu instid0(VALU_DEP_4) | instskip(NEXT) | instid1(VALU_DEP_4)
	v_fma_f32 v18, -v53, v51, v18
	v_fmac_f32_e32 v13, v80, v51
	s_delay_alu instid0(VALU_DEP_4) | instskip(NEXT) | instid1(VALU_DEP_4)
	v_fma_f32 v17, -v59, v43, v17
	v_fmac_f32_e32 v15, v59, v42
	s_delay_alu instid0(VALU_DEP_2) | instskip(NEXT) | instid1(VALU_DEP_2)
	v_fmac_f32_e32 v17, v64, v44
	v_fmac_f32_e32 v15, v58, v43
	s_delay_alu instid0(VALU_DEP_2) | instskip(NEXT) | instid1(VALU_DEP_2)
	v_fma_f32 v17, -v65, v45, v17
	v_fmac_f32_e32 v15, v65, v44
	s_delay_alu instid0(VALU_DEP_2) | instskip(NEXT) | instid1(VALU_DEP_2)
	v_fmac_f32_e32 v17, v70, v46
	v_fmac_f32_e32 v15, v64, v45
	s_delay_alu instid0(VALU_DEP_2) | instskip(NEXT) | instid1(VALU_DEP_2)
	v_fma_f32 v17, -v71, v47, v17
	v_fmac_f32_e32 v15, v71, v46
	s_delay_alu instid0(VALU_DEP_2) | instskip(NEXT) | instid1(VALU_DEP_2)
	v_fmac_f32_e32 v17, v72, v48
	v_fmac_f32_e32 v15, v70, v47
	s_delay_alu instid0(VALU_DEP_2) | instskip(SKIP_1) | instid1(VALU_DEP_3)
	v_fma_f32 v19, -v73, v49, v17
	v_fma_f32 v17, -v81, v51, v8
	v_fmac_f32_e32 v15, v73, v48
	s_delay_alu instid0(VALU_DEP_3) | instskip(NEXT) | instid1(VALU_DEP_2)
	v_fmac_f32_e32 v19, v4, v50
	v_fmac_f32_e32 v15, v72, v49
	s_delay_alu instid0(VALU_DEP_2) | instskip(NEXT) | instid1(VALU_DEP_2)
	v_fma_f32 v19, -v5, v51, v19
	v_fmac_f32_e32 v15, v5, v50
	s_delay_alu instid0(VALU_DEP_1)
	v_fmac_f32_e32 v15, v4, v51
	s_and_not1_b32 exec_lo, exec_lo, s5
	s_cbranch_execnz .LBB106_12
; %bb.13:
	s_or_b32 exec_lo, exec_lo, s5
.LBB106_14:
	s_delay_alu instid0(SALU_CYCLE_1) | instskip(NEXT) | instid1(SALU_CYCLE_1)
	s_or_b32 exec_lo, exec_lo, s4
	s_and_not1_b32 vcc_lo, exec_lo, s3
	s_cbranch_vccz .LBB106_19
	s_branch .LBB106_24
.LBB106_15:
	v_dual_mov_b32 v1, s4 :: v_dual_mov_b32 v2, s5
	flat_load_b32 v9, v[1:2]
	v_cndmask_b32_e64 v1, 0, 1, s6
	v_mov_b32_e32 v10, s5
	s_and_not1_b32 vcc_lo, exec_lo, s6
	s_cbranch_vccnz .LBB106_2
.LBB106_16:
	v_dual_mov_b32 v2, s4 :: v_dual_mov_b32 v3, s5
	flat_load_b32 v10, v[2:3] offset:4
	v_cmp_ne_u32_e32 vcc_lo, 1, v1
	v_mov_b32_e32 v11, s2
	s_cbranch_vccnz .LBB106_3
.LBB106_17:
	v_dual_mov_b32 v2, s2 :: v_dual_mov_b32 v3, s3
	flat_load_b32 v11, v[2:3]
	v_cmp_ne_u32_e32 vcc_lo, 1, v1
	v_mov_b32_e32 v12, s3
	s_cbranch_vccz .LBB106_4
	s_branch .LBB106_5
.LBB106_18:
                                        ; implicit-def: $vgpr13
                                        ; implicit-def: $vgpr17
                                        ; implicit-def: $vgpr18
                                        ; implicit-def: $vgpr14
                                        ; implicit-def: $vgpr19
                                        ; implicit-def: $vgpr15
.LBB106_19:
	v_dual_mov_b32 v13, 0 :: v_dual_mov_b32 v18, 0
	v_dual_mov_b32 v17, 0 :: v_dual_mov_b32 v14, 0
	v_mov_b32_e32 v19, 0
	v_mov_b32_e32 v15, 0
	s_and_saveexec_b32 s3, s2
	s_cbranch_execz .LBB106_23
; %bb.20:
	v_mad_u64_u32 v[4:5], null, v2, 24, 23
	v_dual_mov_b32 v7, 0 :: v_dual_mov_b32 v18, 0
	v_dual_mov_b32 v13, 0 :: v_dual_mov_b32 v14, 0
	v_mov_b32_e32 v17, 0
	v_mov_b32_e32 v19, 0
	;; [unrolled: 1-line block ×3, first 2 shown]
	s_mov_b32 s4, 0
.LBB106_21:                             ; =>This Inner Loop Header: Depth=1
	v_ashrrev_i32_e32 v3, 31, v2
	v_dual_mov_b32 v37, v7 :: v_dual_add_nc_u32 v20, -15, v4
	v_dual_mov_b32 v21, v7 :: v_dual_add_nc_u32 v22, -7, v4
	s_delay_alu instid0(VALU_DEP_3) | instskip(SKIP_1) | instid1(VALU_DEP_3)
	v_lshlrev_b64 v[5:6], 2, v[2:3]
	v_mov_b32_e32 v23, v7
	v_lshlrev_b64 v[20:21], 3, v[20:21]
	s_delay_alu instid0(VALU_DEP_3) | instskip(NEXT) | instid1(VALU_DEP_4)
	v_add_co_u32 v5, vcc_lo, s6, v5
	v_add_co_ci_u32_e32 v6, vcc_lo, s7, v6, vcc_lo
	global_load_b32 v3, v[5:6], off
	v_subrev_nc_u32_e32 v6, 23, v4
	v_mov_b32_e32 v5, v7
	s_delay_alu instid0(VALU_DEP_2) | instskip(SKIP_2) | instid1(VALU_DEP_2)
	v_lshlrev_b64 v[24:25], 3, v[6:7]
	v_add_nc_u32_e32 v6, -14, v4
	v_lshlrev_b64 v[22:23], 3, v[22:23]
	v_lshlrev_b64 v[38:39], 3, v[6:7]
	v_add_nc_u32_e32 v6, -6, v4
	v_add_co_u32 v32, vcc_lo, s8, v24
	v_add_co_ci_u32_e32 v33, vcc_lo, s9, v25, vcc_lo
	v_lshlrev_b64 v[26:27], 3, v[4:5]
	v_add_co_u32 v40, vcc_lo, s8, v20
	v_add_co_ci_u32_e32 v41, vcc_lo, s9, v21, vcc_lo
	v_add_co_u32 v42, vcc_lo, s8, v22
	v_add_co_ci_u32_e32 v43, vcc_lo, s9, v23, vcc_lo
	;; [unrolled: 2-line block ×3, first 2 shown]
	v_lshlrev_b64 v[44:45], 3, v[6:7]
	s_clause 0x3
	global_load_b128 v[20:23], v[32:33], off offset:48
	global_load_b128 v[24:27], v[32:33], off offset:32
	;; [unrolled: 1-line block ×3, first 2 shown]
	global_load_b128 v[32:35], v[32:33], off
	v_add_nc_u32_e32 v6, -13, v4
	v_add_co_u32 v38, vcc_lo, s8, v38
	v_add_co_ci_u32_e32 v39, vcc_lo, s9, v39, vcc_lo
	s_clause 0x1
	global_load_b64 v[54:55], v[40:41], off
	global_load_b64 v[56:57], v[42:43], off
	v_lshlrev_b64 v[40:41], 3, v[6:7]
	v_add_nc_u32_e32 v6, -5, v4
	global_load_b64 v[58:59], v[38:39], off
	v_add_co_u32 v38, vcc_lo, s8, v44
	v_add_co_ci_u32_e32 v39, vcc_lo, s9, v45, vcc_lo
	v_add_co_u32 v40, vcc_lo, s8, v40
	v_lshlrev_b64 v[42:43], 3, v[6:7]
	v_add_nc_u32_e32 v6, -12, v4
	v_add_co_ci_u32_e32 v41, vcc_lo, s9, v41, vcc_lo
	s_clause 0x1
	global_load_b64 v[60:61], v[38:39], off
	global_load_b64 v[62:63], v[40:41], off
	v_lshlrev_b64 v[38:39], 3, v[6:7]
	v_add_nc_u32_e32 v6, -4, v4
	v_add_co_u32 v40, vcc_lo, s8, v42
	v_add_co_ci_u32_e32 v41, vcc_lo, s9, v43, vcc_lo
	s_delay_alu instid0(VALU_DEP_3)
	v_lshlrev_b64 v[42:43], 3, v[6:7]
	v_add_co_u32 v38, vcc_lo, s8, v38
	v_add_co_ci_u32_e32 v39, vcc_lo, s9, v39, vcc_lo
	global_load_b64 v[64:65], v[40:41], off
	v_add_co_u32 v46, vcc_lo, s8, v42
	global_load_b64 v[66:67], v[38:39], off
	v_add_co_ci_u32_e32 v47, vcc_lo, s9, v43, vcc_lo
	s_waitcnt vmcnt(11)
	v_subrev_nc_u32_e32 v3, s12, v3
	s_delay_alu instid0(VALU_DEP_1) | instskip(NEXT) | instid1(VALU_DEP_1)
	v_lshlrev_b32_e32 v36, 3, v3
	v_lshlrev_b64 v[36:37], 3, v[36:37]
	s_delay_alu instid0(VALU_DEP_1) | instskip(NEXT) | instid1(VALU_DEP_1)
	v_add_co_u32 v50, s2, s10, v36
	v_add_co_ci_u32_e64 v51, s2, s11, v37, s2
	s_clause 0x1
	global_load_b128 v[36:39], v[50:51], off
	global_load_b128 v[40:43], v[50:51], off offset:16
	global_load_b64 v[68:69], v[46:47], off
	s_waitcnt vmcnt(2)
	v_dual_fmac_f32 v17, v32, v36 :: v_dual_add_nc_u32 v2, 16, v2
	v_fmac_f32_e32 v14, v57, v36
	v_fmac_f32_e32 v13, v33, v36
	;; [unrolled: 1-line block ×3, first 2 shown]
	s_delay_alu instid0(VALU_DEP_4) | instskip(NEXT) | instid1(VALU_DEP_4)
	v_fma_f32 v3, -v33, v37, v17
	v_dual_fmac_f32 v14, v56, v37 :: v_dual_fmac_f32 v19, v54, v36
	s_delay_alu instid0(VALU_DEP_4) | instskip(NEXT) | instid1(VALU_DEP_4)
	v_fmac_f32_e32 v13, v32, v37
	v_fma_f32 v17, -v57, v37, v18
	s_delay_alu instid0(VALU_DEP_4) | instskip(NEXT) | instid1(VALU_DEP_4)
	v_fmac_f32_e32 v3, v34, v38
	v_fmac_f32_e32 v14, v61, v38
	v_fma_f32 v8, -v55, v37, v19
	v_fmac_f32_e32 v15, v55, v36
	v_fmac_f32_e32 v13, v35, v38
	v_fma_f32 v3, -v35, v39, v3
	v_fmac_f32_e32 v17, v60, v38
	v_fmac_f32_e32 v8, v58, v38
	v_dual_fmac_f32 v15, v54, v37 :: v_dual_add_nc_u32 v6, -11, v4
	s_waitcnt vmcnt(1)
	v_fmac_f32_e32 v3, v28, v40
	v_fmac_f32_e32 v13, v34, v39
	s_delay_alu instid0(VALU_DEP_3)
	v_dual_fmac_f32 v14, v60, v39 :: v_dual_fmac_f32 v15, v59, v38
	v_lshlrev_b64 v[44:45], 3, v[6:7]
	v_add_nc_u32_e32 v6, -3, v4
	v_fma_f32 v3, -v29, v41, v3
	v_fma_f32 v8, -v59, v39, v8
	;; [unrolled: 1-line block ×3, first 2 shown]
	v_fmac_f32_e32 v13, v29, v40
	v_add_co_u32 v44, vcc_lo, s8, v44
	v_lshlrev_b64 v[48:49], 3, v[6:7]
	v_add_nc_u32_e32 v6, -10, v4
	v_add_co_ci_u32_e32 v45, vcc_lo, s9, v45, vcc_lo
	v_dual_fmac_f32 v15, v58, v39 :: v_dual_fmac_f32 v14, v65, v40
	v_fmac_f32_e32 v13, v28, v41
	global_load_b64 v[70:71], v[44:45], off
	v_lshlrev_b64 v[46:47], 3, v[6:7]
	v_add_nc_u32_e32 v6, -2, v4
	v_add_co_u32 v44, vcc_lo, s8, v48
	v_add_co_ci_u32_e32 v45, vcc_lo, s9, v49, vcc_lo
	s_delay_alu instid0(VALU_DEP_3)
	v_lshlrev_b64 v[48:49], 3, v[6:7]
	v_add_co_u32 v46, vcc_lo, s8, v46
	v_add_co_ci_u32_e32 v47, vcc_lo, s9, v47, vcc_lo
	global_load_b64 v[72:73], v[44:45], off
	v_add_co_u32 v78, vcc_lo, s8, v48
	global_load_b64 v[76:77], v[46:47], off
	v_add_co_ci_u32_e32 v79, vcc_lo, s9, v49, vcc_lo
	s_clause 0x1
	global_load_b128 v[44:47], v[50:51], off offset:32
	global_load_b128 v[48:51], v[50:51], off offset:48
	v_add_nc_u32_e32 v6, -9, v4
	v_dual_fmac_f32 v15, v63, v40 :: v_dual_fmac_f32 v14, v64, v41
	global_load_b64 v[78:79], v[78:79], off
	v_fmac_f32_e32 v3, v30, v42
	v_lshlrev_b64 v[74:75], 3, v[6:7]
	v_dual_fmac_f32 v15, v62, v41 :: v_dual_add_nc_u32 v6, -1, v4
	v_fmac_f32_e32 v13, v31, v42
	s_delay_alu instid0(VALU_DEP_4) | instskip(NEXT) | instid1(VALU_DEP_3)
	v_fma_f32 v3, -v31, v43, v3
	v_lshlrev_b64 v[80:81], 3, v[6:7]
	v_add_co_u32 v74, vcc_lo, s8, v74
	v_add_co_ci_u32_e32 v75, vcc_lo, s9, v75, vcc_lo
	v_add_nc_u32_e32 v6, -8, v4
	s_delay_alu instid0(VALU_DEP_4)
	v_add_co_u32 v80, vcc_lo, s8, v80
	v_add_co_ci_u32_e32 v81, vcc_lo, s9, v81, vcc_lo
	s_clause 0x1
	global_load_b64 v[74:75], v[74:75], off
	global_load_b64 v[80:81], v[80:81], off
	v_lshlrev_b64 v[5:6], 3, v[6:7]
	v_dual_fmac_f32 v15, v67, v42 :: v_dual_add_nc_u32 v4, 0x180, v4
	s_waitcnt vmcnt(8)
	v_dual_fmac_f32 v14, v69, v42 :: v_dual_fmac_f32 v13, v30, v43
	s_delay_alu instid0(VALU_DEP_3) | instskip(NEXT) | instid1(VALU_DEP_3)
	v_add_co_u32 v5, vcc_lo, s8, v5
	v_fmac_f32_e32 v15, v66, v43
	v_add_co_ci_u32_e32 v6, vcc_lo, s9, v6, vcc_lo
	s_clause 0x1
	global_load_b64 v[5:6], v[5:6], off
	global_load_b64 v[52:53], v[52:53], off
	v_fmac_f32_e32 v14, v68, v43
	v_cmp_ge_i32_e32 vcc_lo, v2, v16
	s_or_b32 s4, vcc_lo, s4
	s_waitcnt vmcnt(6)
	v_fmac_f32_e32 v13, v25, v44
	v_fmac_f32_e32 v8, v62, v40
	;; [unrolled: 1-line block ×4, first 2 shown]
	s_delay_alu instid0(VALU_DEP_4) | instskip(NEXT) | instid1(VALU_DEP_4)
	v_fmac_f32_e32 v13, v24, v45
	v_fma_f32 v8, -v63, v41, v8
	s_delay_alu instid0(VALU_DEP_4)
	v_fmac_f32_e32 v14, v72, v45
	v_fmac_f32_e32 v17, v64, v40
	;; [unrolled: 1-line block ×5, first 2 shown]
	s_waitcnt vmcnt(4)
	v_fmac_f32_e32 v14, v79, v46
	v_fma_f32 v17, -v65, v41, v17
	v_fma_f32 v3, -v25, v45, v3
	v_fmac_f32_e32 v15, v70, v45
	v_fma_f32 v8, -v67, v43, v8
	s_delay_alu instid0(VALU_DEP_4) | instskip(NEXT) | instid1(VALU_DEP_4)
	v_dual_fmac_f32 v14, v78, v47 :: v_dual_fmac_f32 v17, v68, v42
	v_fmac_f32_e32 v3, v26, v46
	v_fmac_f32_e32 v13, v26, v47
	s_delay_alu instid0(VALU_DEP_4) | instskip(NEXT) | instid1(VALU_DEP_4)
	v_fmac_f32_e32 v8, v70, v44
	v_fma_f32 v17, -v69, v43, v17
	s_waitcnt vmcnt(2)
	v_fmac_f32_e32 v14, v81, v48
	s_delay_alu instid0(VALU_DEP_3) | instskip(SKIP_2) | instid1(VALU_DEP_4)
	v_fma_f32 v8, -v71, v45, v8
	v_fma_f32 v3, -v27, v47, v3
	v_fmac_f32_e32 v17, v72, v44
	v_fmac_f32_e32 v14, v80, v49
	s_delay_alu instid0(VALU_DEP_4) | instskip(NEXT) | instid1(VALU_DEP_4)
	v_fmac_f32_e32 v8, v76, v46
	v_fmac_f32_e32 v3, v20, v48
	s_delay_alu instid0(VALU_DEP_4) | instskip(NEXT) | instid1(VALU_DEP_3)
	v_fma_f32 v17, -v73, v45, v17
	v_fma_f32 v8, -v77, v47, v8
	v_fmac_f32_e32 v15, v77, v46
	s_delay_alu instid0(VALU_DEP_3)
	v_fmac_f32_e32 v17, v78, v46
	s_waitcnt vmcnt(0)
	v_fmac_f32_e32 v14, v53, v50
	v_fmac_f32_e32 v8, v74, v48
	v_fma_f32 v3, -v21, v49, v3
	v_fma_f32 v17, -v79, v47, v17
	s_delay_alu instid0(VALU_DEP_4) | instskip(NEXT) | instid1(VALU_DEP_4)
	v_fmac_f32_e32 v14, v52, v51
	v_fma_f32 v8, -v75, v49, v8
	v_fmac_f32_e32 v15, v76, v47
	s_delay_alu instid0(VALU_DEP_4) | instskip(SKIP_1) | instid1(VALU_DEP_3)
	v_fmac_f32_e32 v17, v80, v48
	v_fmac_f32_e32 v3, v22, v50
	v_dual_fmac_f32 v8, v5, v50 :: v_dual_fmac_f32 v15, v75, v48
	s_delay_alu instid0(VALU_DEP_3) | instskip(SKIP_1) | instid1(VALU_DEP_4)
	v_fma_f32 v18, -v81, v49, v17
	v_fmac_f32_e32 v13, v21, v48
	v_fma_f32 v17, -v23, v51, v3
	s_delay_alu instid0(VALU_DEP_4) | instskip(NEXT) | instid1(VALU_DEP_4)
	v_fma_f32 v19, -v6, v51, v8
	v_dual_fmac_f32 v15, v74, v49 :: v_dual_fmac_f32 v18, v52, v50
	s_delay_alu instid0(VALU_DEP_4) | instskip(NEXT) | instid1(VALU_DEP_2)
	v_fmac_f32_e32 v13, v20, v49
	v_fmac_f32_e32 v15, v6, v50
	s_delay_alu instid0(VALU_DEP_3) | instskip(NEXT) | instid1(VALU_DEP_3)
	v_fma_f32 v18, -v53, v51, v18
	v_fmac_f32_e32 v13, v23, v50
	s_delay_alu instid0(VALU_DEP_3) | instskip(NEXT) | instid1(VALU_DEP_2)
	v_fmac_f32_e32 v15, v5, v51
	v_fmac_f32_e32 v13, v22, v51
	s_and_not1_b32 exec_lo, exec_lo, s4
	s_cbranch_execnz .LBB106_21
; %bb.22:
	s_or_b32 exec_lo, exec_lo, s4
.LBB106_23:
	s_delay_alu instid0(SALU_CYCLE_1)
	s_or_b32 exec_lo, exec_lo, s3
.LBB106_24:
	v_mbcnt_lo_u32_b32 v2, -1, 0
	s_delay_alu instid0(VALU_DEP_1) | instskip(SKIP_1) | instid1(VALU_DEP_2)
	v_xor_b32_e32 v3, 8, v2
	v_xor_b32_e32 v16, 4, v2
	v_cmp_gt_i32_e32 vcc_lo, 32, v3
	v_cndmask_b32_e32 v3, v2, v3, vcc_lo
	s_delay_alu instid0(VALU_DEP_3) | instskip(SKIP_1) | instid1(VALU_DEP_1)
	v_cmp_gt_i32_e32 vcc_lo, 32, v16
	v_cndmask_b32_e32 v16, v2, v16, vcc_lo
	v_lshlrev_b32_e32 v16, 2, v16
	s_delay_alu instid0(VALU_DEP_4)
	v_lshlrev_b32_e32 v3, 2, v3
	ds_bpermute_b32 v4, v3, v17
	s_waitcnt lgkmcnt(0)
	v_add_f32_e32 v4, v17, v4
	ds_bpermute_b32 v5, v3, v13
	ds_bpermute_b32 v6, v3, v19
	ds_bpermute_b32 v7, v3, v15
	ds_bpermute_b32 v8, v3, v18
	ds_bpermute_b32 v3, v3, v14
	s_waitcnt lgkmcnt(3)
	v_dual_add_f32 v5, v13, v5 :: v_dual_add_f32 v6, v19, v6
	s_waitcnt lgkmcnt(1)
	v_dual_add_f32 v7, v15, v7 :: v_dual_add_f32 v8, v18, v8
	s_waitcnt lgkmcnt(0)
	v_add_f32_e32 v3, v14, v3
	ds_bpermute_b32 v13, v16, v4
	ds_bpermute_b32 v14, v16, v5
	;; [unrolled: 1-line block ×6, first 2 shown]
	v_xor_b32_e32 v19, 2, v2
	s_delay_alu instid0(VALU_DEP_1) | instskip(SKIP_2) | instid1(VALU_DEP_1)
	v_cmp_gt_i32_e32 vcc_lo, 32, v19
	s_waitcnt lgkmcnt(5)
	v_dual_cndmask_b32 v19, v2, v19 :: v_dual_add_f32 v4, v4, v13
	v_lshlrev_b32_e32 v19, 2, v19
	s_waitcnt lgkmcnt(3)
	v_dual_add_f32 v5, v5, v14 :: v_dual_add_f32 v6, v6, v15
	s_waitcnt lgkmcnt(1)
	v_dual_add_f32 v13, v7, v17 :: v_dual_add_f32 v14, v8, v18
	s_waitcnt lgkmcnt(0)
	v_add_f32_e32 v15, v3, v16
	ds_bpermute_b32 v3, v19, v4
	ds_bpermute_b32 v7, v19, v5
	;; [unrolled: 1-line block ×6, first 2 shown]
	v_xor_b32_e32 v19, 1, v2
	s_delay_alu instid0(VALU_DEP_1) | instskip(SKIP_3) | instid1(VALU_DEP_2)
	v_cmp_gt_i32_e32 vcc_lo, 32, v19
	v_cndmask_b32_e32 v2, v2, v19, vcc_lo
	v_cmp_eq_u32_e32 vcc_lo, 15, v0
	s_waitcnt lgkmcnt(5)
	v_dual_add_f32 v2, v4, v3 :: v_dual_lshlrev_b32 v19, 2, v2
	s_waitcnt lgkmcnt(4)
	v_add_f32_e32 v5, v5, v7
	s_waitcnt lgkmcnt(0)
	v_dual_add_f32 v7, v6, v8 :: v_dual_add_f32 v4, v15, v18
	v_dual_add_f32 v8, v13, v16 :: v_dual_add_f32 v3, v14, v17
	ds_bpermute_b32 v6, v19, v2
	ds_bpermute_b32 v15, v19, v5
	;; [unrolled: 1-line block ×6, first 2 shown]
	s_and_b32 exec_lo, exec_lo, vcc_lo
	s_cbranch_execz .LBB106_29
; %bb.25:
	s_load_b64 s[2:3], s[0:1], 0x38
	v_cmp_eq_f32_e32 vcc_lo, 0, v11
	v_cmp_eq_f32_e64 s0, 0, v12
	s_waitcnt lgkmcnt(0)
	v_add_f32_e32 v0, v2, v6
	v_dual_add_f32 v6, v5, v15 :: v_dual_add_f32 v3, v3, v13
	v_dual_add_f32 v2, v7, v16 :: v_dual_add_f32 v5, v8, v17
	v_add_f32_e32 v4, v4, v14
	s_and_b32 s0, vcc_lo, s0
	s_delay_alu instid0(SALU_CYCLE_1) | instskip(NEXT) | instid1(SALU_CYCLE_1)
	s_and_saveexec_b32 s1, s0
	s_xor_b32 s0, exec_lo, s1
	s_cbranch_execz .LBB106_27
; %bb.26:
	v_lshl_add_u32 v7, v1, 1, v1
	v_mul_f32_e64 v11, v6, -v10
	v_mul_f32_e32 v12, v6, v9
	v_mul_f32_e64 v13, v5, -v10
	v_mul_f32_e32 v14, v5, v9
	v_ashrrev_i32_e32 v8, 31, v7
	v_fmac_f32_e32 v11, v9, v0
	v_mul_f32_e64 v5, v4, -v10
	v_dual_mul_f32 v6, v4, v9 :: v_dual_fmac_f32 v13, v9, v2
	s_delay_alu instid0(VALU_DEP_4) | instskip(NEXT) | instid1(VALU_DEP_3)
	v_lshlrev_b64 v[7:8], 3, v[7:8]
	v_dual_fmac_f32 v12, v10, v0 :: v_dual_fmac_f32 v5, v9, v3
	v_fmac_f32_e32 v14, v10, v2
	s_delay_alu instid0(VALU_DEP_4) | instskip(NEXT) | instid1(VALU_DEP_4)
	v_fmac_f32_e32 v6, v10, v3
                                        ; implicit-def: $vgpr9
                                        ; implicit-def: $vgpr10
                                        ; implicit-def: $vgpr2
                                        ; implicit-def: $vgpr3
                                        ; implicit-def: $vgpr4
	v_add_co_u32 v0, vcc_lo, s2, v7
	v_add_co_ci_u32_e32 v1, vcc_lo, s3, v8, vcc_lo
	s_clause 0x1
	global_store_b128 v[0:1], v[11:14], off
	global_store_b64 v[0:1], v[5:6], off offset:16
                                        ; implicit-def: $vgpr11
                                        ; implicit-def: $vgpr12
                                        ; implicit-def: $vgpr1
                                        ; implicit-def: $vgpr0
                                        ; implicit-def: $vgpr6
                                        ; implicit-def: $vgpr5
.LBB106_27:
	s_and_not1_saveexec_b32 s0, s0
	s_cbranch_execz .LBB106_29
; %bb.28:
	v_lshl_add_u32 v7, v1, 1, v1
	v_mul_f32_e64 v21, v5, -v10
	v_mul_f32_e64 v22, v4, -v10
	s_delay_alu instid0(VALU_DEP_3) | instskip(NEXT) | instid1(VALU_DEP_1)
	v_ashrrev_i32_e32 v8, 31, v7
	v_lshlrev_b64 v[7:8], 3, v[7:8]
	s_delay_alu instid0(VALU_DEP_1) | instskip(NEXT) | instid1(VALU_DEP_2)
	v_add_co_u32 v17, vcc_lo, s2, v7
	v_add_co_ci_u32_e32 v18, vcc_lo, s3, v8, vcc_lo
	v_mul_f32_e64 v7, v6, -v10
	v_mul_f32_e32 v6, v6, v9
	s_clause 0x1
	global_load_b128 v[13:16], v[17:18], off
	global_load_b64 v[19:20], v[17:18], off offset:16
	v_fmac_f32_e32 v7, v9, v0
	v_dual_mul_f32 v1, v4, v9 :: v_dual_fmac_f32 v6, v10, v0
	v_mul_f32_e32 v8, v5, v9
	v_fmac_f32_e32 v21, v9, v2
	s_delay_alu instid0(VALU_DEP_3) | instskip(SKIP_1) | instid1(VALU_DEP_3)
	v_fmac_f32_e32 v1, v10, v3
	s_waitcnt vmcnt(1)
	v_dual_fmac_f32 v8, v10, v2 :: v_dual_fmac_f32 v7, v11, v13
	v_fmac_f32_e32 v6, v12, v13
	s_waitcnt vmcnt(0)
	v_fmac_f32_e32 v1, v12, v19
	v_fmac_f32_e32 v21, v11, v15
	;; [unrolled: 1-line block ×3, first 2 shown]
	v_fma_f32 v5, -v12, v14, v7
	v_fmac_f32_e32 v6, v11, v14
	v_dual_fmac_f32 v22, v9, v3 :: v_dual_fmac_f32 v1, v11, v20
	v_fma_f32 v7, -v12, v16, v21
	v_fmac_f32_e32 v8, v11, v16
	s_delay_alu instid0(VALU_DEP_3) | instskip(NEXT) | instid1(VALU_DEP_1)
	v_fmac_f32_e32 v22, v11, v19
	v_fma_f32 v0, -v12, v20, v22
	s_clause 0x1
	global_store_b128 v[17:18], v[5:8], off
	global_store_b64 v[17:18], v[0:1], off offset:16
.LBB106_29:
	s_nop 0
	s_sendmsg sendmsg(MSG_DEALLOC_VGPRS)
	s_endpgm
	.section	.rodata,"a",@progbits
	.p2align	6, 0x0
	.amdhsa_kernel _ZN9rocsparseL19gebsrmvn_3xn_kernelILj128ELj8ELj16E21rocsparse_complex_numIfEEEvi20rocsparse_direction_NS_24const_host_device_scalarIT2_EEPKiS8_PKS5_SA_S6_PS5_21rocsparse_index_base_b
		.amdhsa_group_segment_fixed_size 0
		.amdhsa_private_segment_fixed_size 0
		.amdhsa_kernarg_size 72
		.amdhsa_user_sgpr_count 15
		.amdhsa_user_sgpr_dispatch_ptr 0
		.amdhsa_user_sgpr_queue_ptr 0
		.amdhsa_user_sgpr_kernarg_segment_ptr 1
		.amdhsa_user_sgpr_dispatch_id 0
		.amdhsa_user_sgpr_private_segment_size 0
		.amdhsa_wavefront_size32 1
		.amdhsa_uses_dynamic_stack 0
		.amdhsa_enable_private_segment 0
		.amdhsa_system_sgpr_workgroup_id_x 1
		.amdhsa_system_sgpr_workgroup_id_y 0
		.amdhsa_system_sgpr_workgroup_id_z 0
		.amdhsa_system_sgpr_workgroup_info 0
		.amdhsa_system_vgpr_workitem_id 0
		.amdhsa_next_free_vgpr 82
		.amdhsa_next_free_sgpr 16
		.amdhsa_reserve_vcc 1
		.amdhsa_float_round_mode_32 0
		.amdhsa_float_round_mode_16_64 0
		.amdhsa_float_denorm_mode_32 3
		.amdhsa_float_denorm_mode_16_64 3
		.amdhsa_dx10_clamp 1
		.amdhsa_ieee_mode 1
		.amdhsa_fp16_overflow 0
		.amdhsa_workgroup_processor_mode 1
		.amdhsa_memory_ordered 1
		.amdhsa_forward_progress 0
		.amdhsa_shared_vgpr_count 0
		.amdhsa_exception_fp_ieee_invalid_op 0
		.amdhsa_exception_fp_denorm_src 0
		.amdhsa_exception_fp_ieee_div_zero 0
		.amdhsa_exception_fp_ieee_overflow 0
		.amdhsa_exception_fp_ieee_underflow 0
		.amdhsa_exception_fp_ieee_inexact 0
		.amdhsa_exception_int_div_zero 0
	.end_amdhsa_kernel
	.section	.text._ZN9rocsparseL19gebsrmvn_3xn_kernelILj128ELj8ELj16E21rocsparse_complex_numIfEEEvi20rocsparse_direction_NS_24const_host_device_scalarIT2_EEPKiS8_PKS5_SA_S6_PS5_21rocsparse_index_base_b,"axG",@progbits,_ZN9rocsparseL19gebsrmvn_3xn_kernelILj128ELj8ELj16E21rocsparse_complex_numIfEEEvi20rocsparse_direction_NS_24const_host_device_scalarIT2_EEPKiS8_PKS5_SA_S6_PS5_21rocsparse_index_base_b,comdat
.Lfunc_end106:
	.size	_ZN9rocsparseL19gebsrmvn_3xn_kernelILj128ELj8ELj16E21rocsparse_complex_numIfEEEvi20rocsparse_direction_NS_24const_host_device_scalarIT2_EEPKiS8_PKS5_SA_S6_PS5_21rocsparse_index_base_b, .Lfunc_end106-_ZN9rocsparseL19gebsrmvn_3xn_kernelILj128ELj8ELj16E21rocsparse_complex_numIfEEEvi20rocsparse_direction_NS_24const_host_device_scalarIT2_EEPKiS8_PKS5_SA_S6_PS5_21rocsparse_index_base_b
                                        ; -- End function
	.section	.AMDGPU.csdata,"",@progbits
; Kernel info:
; codeLenInByte = 4208
; NumSgprs: 18
; NumVgprs: 82
; ScratchSize: 0
; MemoryBound: 0
; FloatMode: 240
; IeeeMode: 1
; LDSByteSize: 0 bytes/workgroup (compile time only)
; SGPRBlocks: 2
; VGPRBlocks: 10
; NumSGPRsForWavesPerEU: 18
; NumVGPRsForWavesPerEU: 82
; Occupancy: 16
; WaveLimiterHint : 1
; COMPUTE_PGM_RSRC2:SCRATCH_EN: 0
; COMPUTE_PGM_RSRC2:USER_SGPR: 15
; COMPUTE_PGM_RSRC2:TRAP_HANDLER: 0
; COMPUTE_PGM_RSRC2:TGID_X_EN: 1
; COMPUTE_PGM_RSRC2:TGID_Y_EN: 0
; COMPUTE_PGM_RSRC2:TGID_Z_EN: 0
; COMPUTE_PGM_RSRC2:TIDIG_COMP_CNT: 0
	.section	.text._ZN9rocsparseL19gebsrmvn_3xn_kernelILj128ELj8ELj32E21rocsparse_complex_numIfEEEvi20rocsparse_direction_NS_24const_host_device_scalarIT2_EEPKiS8_PKS5_SA_S6_PS5_21rocsparse_index_base_b,"axG",@progbits,_ZN9rocsparseL19gebsrmvn_3xn_kernelILj128ELj8ELj32E21rocsparse_complex_numIfEEEvi20rocsparse_direction_NS_24const_host_device_scalarIT2_EEPKiS8_PKS5_SA_S6_PS5_21rocsparse_index_base_b,comdat
	.globl	_ZN9rocsparseL19gebsrmvn_3xn_kernelILj128ELj8ELj32E21rocsparse_complex_numIfEEEvi20rocsparse_direction_NS_24const_host_device_scalarIT2_EEPKiS8_PKS5_SA_S6_PS5_21rocsparse_index_base_b ; -- Begin function _ZN9rocsparseL19gebsrmvn_3xn_kernelILj128ELj8ELj32E21rocsparse_complex_numIfEEEvi20rocsparse_direction_NS_24const_host_device_scalarIT2_EEPKiS8_PKS5_SA_S6_PS5_21rocsparse_index_base_b
	.p2align	8
	.type	_ZN9rocsparseL19gebsrmvn_3xn_kernelILj128ELj8ELj32E21rocsparse_complex_numIfEEEvi20rocsparse_direction_NS_24const_host_device_scalarIT2_EEPKiS8_PKS5_SA_S6_PS5_21rocsparse_index_base_b,@function
_ZN9rocsparseL19gebsrmvn_3xn_kernelILj128ELj8ELj32E21rocsparse_complex_numIfEEEvi20rocsparse_direction_NS_24const_host_device_scalarIT2_EEPKiS8_PKS5_SA_S6_PS5_21rocsparse_index_base_b: ; @_ZN9rocsparseL19gebsrmvn_3xn_kernelILj128ELj8ELj32E21rocsparse_complex_numIfEEEvi20rocsparse_direction_NS_24const_host_device_scalarIT2_EEPKiS8_PKS5_SA_S6_PS5_21rocsparse_index_base_b
; %bb.0:
	s_clause 0x2
	s_load_b64 s[12:13], s[0:1], 0x40
	s_load_b64 s[4:5], s[0:1], 0x8
	;; [unrolled: 1-line block ×3, first 2 shown]
	s_waitcnt lgkmcnt(0)
	s_bitcmp1_b32 s13, 0
	v_mov_b32_e32 v9, s4
	s_cselect_b32 s6, -1, 0
	s_delay_alu instid0(SALU_CYCLE_1)
	s_and_b32 vcc_lo, exec_lo, s6
	s_xor_b32 s6, s6, -1
	s_cbranch_vccz .LBB107_15
; %bb.1:
	v_cndmask_b32_e64 v1, 0, 1, s6
	v_mov_b32_e32 v10, s5
	s_and_not1_b32 vcc_lo, exec_lo, s6
	s_cbranch_vccz .LBB107_16
.LBB107_2:
	s_delay_alu instid0(VALU_DEP_2)
	v_cmp_ne_u32_e32 vcc_lo, 1, v1
	v_mov_b32_e32 v11, s2
	s_cbranch_vccz .LBB107_17
.LBB107_3:
	v_cmp_ne_u32_e32 vcc_lo, 1, v1
	v_mov_b32_e32 v12, s3
	s_cbranch_vccnz .LBB107_5
.LBB107_4:
	v_dual_mov_b32 v1, s2 :: v_dual_mov_b32 v2, s3
	flat_load_b32 v12, v[1:2] offset:4
.LBB107_5:
	s_waitcnt vmcnt(0) lgkmcnt(0)
	v_cmp_eq_f32_e32 vcc_lo, 0, v9
	v_cmp_eq_f32_e64 s2, 0, v10
	s_delay_alu instid0(VALU_DEP_1)
	s_and_b32 s4, vcc_lo, s2
	s_mov_b32 s2, -1
	s_and_saveexec_b32 s3, s4
; %bb.6:
	v_cmp_neq_f32_e32 vcc_lo, 1.0, v11
	v_cmp_neq_f32_e64 s2, 0, v12
	s_delay_alu instid0(VALU_DEP_1) | instskip(NEXT) | instid1(SALU_CYCLE_1)
	s_or_b32 s2, vcc_lo, s2
	s_or_not1_b32 s2, s2, exec_lo
; %bb.7:
	s_or_b32 exec_lo, exec_lo, s3
	s_and_saveexec_b32 s3, s2
	s_cbranch_execz .LBB107_29
; %bb.8:
	s_load_b64 s[2:3], s[0:1], 0x0
	v_lshrrev_b32_e32 v1, 5, v0
	s_delay_alu instid0(VALU_DEP_1) | instskip(SKIP_1) | instid1(VALU_DEP_1)
	v_lshl_or_b32 v1, s15, 2, v1
	s_waitcnt lgkmcnt(0)
	v_cmp_gt_i32_e32 vcc_lo, s2, v1
	s_and_b32 exec_lo, exec_lo, vcc_lo
	s_cbranch_execz .LBB107_29
; %bb.9:
	s_load_b256 s[4:11], s[0:1], 0x10
	v_ashrrev_i32_e32 v2, 31, v1
	v_and_b32_e32 v0, 31, v0
	s_cmp_lg_u32 s3, 0
	s_delay_alu instid0(VALU_DEP_2) | instskip(SKIP_1) | instid1(VALU_DEP_1)
	v_lshlrev_b64 v[2:3], 2, v[1:2]
	s_waitcnt lgkmcnt(0)
	v_add_co_u32 v2, vcc_lo, s4, v2
	s_delay_alu instid0(VALU_DEP_2) | instskip(SKIP_4) | instid1(VALU_DEP_2)
	v_add_co_ci_u32_e32 v3, vcc_lo, s5, v3, vcc_lo
	global_load_b64 v[2:3], v[2:3], off
	s_waitcnt vmcnt(0)
	v_subrev_nc_u32_e32 v2, s12, v2
	v_subrev_nc_u32_e32 v16, s12, v3
	v_add_nc_u32_e32 v2, v2, v0
	s_delay_alu instid0(VALU_DEP_1)
	v_cmp_lt_i32_e64 s2, v2, v16
	s_cbranch_scc0 .LBB107_18
; %bb.10:
	v_dual_mov_b32 v13, 0 :: v_dual_mov_b32 v18, 0
	v_dual_mov_b32 v17, 0 :: v_dual_mov_b32 v14, 0
	v_mov_b32_e32 v19, 0
	v_mov_b32_e32 v15, 0
	s_mov_b32 s3, 0
	s_and_saveexec_b32 s4, s2
	s_cbranch_execz .LBB107_14
; %bb.11:
	v_mad_u64_u32 v[3:4], null, v2, 24, 23
	v_dual_mov_b32 v6, 0 :: v_dual_mov_b32 v7, v2
	v_dual_mov_b32 v13, 0 :: v_dual_mov_b32 v18, 0
	;; [unrolled: 1-line block ×3, first 2 shown]
	v_mov_b32_e32 v19, 0
	v_mov_b32_e32 v15, 0
	s_mov_b32 s5, 0
.LBB107_12:                             ; =>This Inner Loop Header: Depth=1
	v_ashrrev_i32_e32 v8, 31, v7
	s_delay_alu instid0(VALU_DEP_1) | instskip(NEXT) | instid1(VALU_DEP_1)
	v_lshlrev_b64 v[4:5], 2, v[7:8]
	v_add_co_u32 v4, vcc_lo, s6, v4
	s_delay_alu instid0(VALU_DEP_2) | instskip(SKIP_3) | instid1(VALU_DEP_2)
	v_add_co_ci_u32_e32 v5, vcc_lo, s7, v5, vcc_lo
	global_load_b32 v8, v[4:5], off
	v_subrev_nc_u32_e32 v5, 23, v3
	v_mov_b32_e32 v4, v6
	v_lshlrev_b64 v[20:21], 3, v[5:6]
	v_add_nc_u32_e32 v5, -15, v3
	s_delay_alu instid0(VALU_DEP_3) | instskip(NEXT) | instid1(VALU_DEP_2)
	v_lshlrev_b64 v[22:23], 3, v[3:4]
	v_lshlrev_b64 v[28:29], 3, v[5:6]
	s_delay_alu instid0(VALU_DEP_4) | instskip(SKIP_1) | instid1(VALU_DEP_4)
	v_add_co_u32 v32, vcc_lo, s8, v20
	v_add_co_ci_u32_e32 v33, vcc_lo, s9, v21, vcc_lo
	v_add_co_u32 v52, vcc_lo, s8, v22
	v_add_co_ci_u32_e32 v53, vcc_lo, s9, v23, vcc_lo
	v_add_co_u32 v40, vcc_lo, s8, v28
	s_clause 0x1
	global_load_b128 v[20:23], v[32:33], off offset:48
	global_load_b128 v[24:27], v[32:33], off offset:32
	v_add_co_ci_u32_e32 v41, vcc_lo, s9, v29, vcc_lo
	s_clause 0x1
	global_load_b128 v[28:31], v[32:33], off offset:16
	global_load_b128 v[32:35], v[32:33], off
	v_add_nc_u32_e32 v5, -14, v3
	global_load_b64 v[54:55], v[40:41], off
	v_lshlrev_b64 v[38:39], 3, v[5:6]
	v_add_nc_u32_e32 v5, -13, v3
	s_delay_alu instid0(VALU_DEP_1) | instskip(NEXT) | instid1(VALU_DEP_3)
	v_lshlrev_b64 v[42:43], 3, v[5:6]
	v_add_co_u32 v38, vcc_lo, s8, v38
	s_delay_alu instid0(VALU_DEP_4) | instskip(SKIP_1) | instid1(VALU_DEP_4)
	v_add_co_ci_u32_e32 v39, vcc_lo, s9, v39, vcc_lo
	v_add_nc_u32_e32 v5, -12, v3
	v_add_co_u32 v42, vcc_lo, s8, v42
	v_add_co_ci_u32_e32 v43, vcc_lo, s9, v43, vcc_lo
	s_clause 0x1
	global_load_b64 v[58:59], v[42:43], off
	global_load_b64 v[56:57], v[38:39], off
	v_lshlrev_b64 v[40:41], 3, v[5:6]
	v_add_nc_u32_e32 v5, -11, v3
	s_delay_alu instid0(VALU_DEP_1) | instskip(SKIP_1) | instid1(VALU_DEP_4)
	v_lshlrev_b64 v[38:39], 3, v[5:6]
	v_add_nc_u32_e32 v5, -10, v3
	v_add_co_u32 v40, vcc_lo, s8, v40
	v_add_co_ci_u32_e32 v41, vcc_lo, s9, v41, vcc_lo
	s_delay_alu instid0(VALU_DEP_4) | instskip(NEXT) | instid1(VALU_DEP_4)
	v_add_co_u32 v38, vcc_lo, s8, v38
	v_lshlrev_b64 v[42:43], 3, v[5:6]
	v_add_nc_u32_e32 v5, -9, v3
	v_add_co_ci_u32_e32 v39, vcc_lo, s9, v39, vcc_lo
	s_clause 0x1
	global_load_b64 v[60:61], v[40:41], off
	global_load_b64 v[62:63], v[38:39], off
	v_lshlrev_b64 v[40:41], 3, v[5:6]
	v_add_nc_u32_e32 v5, -8, v3
	v_add_co_u32 v38, vcc_lo, s8, v42
	v_add_co_ci_u32_e32 v39, vcc_lo, s9, v43, vcc_lo
	s_delay_alu instid0(VALU_DEP_3) | instskip(SKIP_3) | instid1(VALU_DEP_3)
	v_lshlrev_b64 v[42:43], 3, v[5:6]
	v_add_nc_u32_e32 v5, -7, v3
	v_add_co_u32 v40, vcc_lo, s8, v40
	v_add_co_ci_u32_e32 v41, vcc_lo, s9, v41, vcc_lo
	v_lshlrev_b64 v[44:45], 3, v[5:6]
	v_add_nc_u32_e32 v5, -6, v3
	v_add_co_u32 v46, vcc_lo, s8, v42
	v_add_co_ci_u32_e32 v47, vcc_lo, s9, v43, vcc_lo
	s_delay_alu instid0(VALU_DEP_3)
	v_lshlrev_b64 v[48:49], 3, v[5:6]
	s_clause 0x1
	global_load_b64 v[64:65], v[38:39], off
	global_load_b64 v[66:67], v[40:41], off
	s_waitcnt vmcnt(11)
	v_subrev_nc_u32_e32 v4, s12, v8
	s_delay_alu instid0(VALU_DEP_1) | instskip(NEXT) | instid1(VALU_DEP_1)
	v_dual_mov_b32 v37, v6 :: v_dual_lshlrev_b32 v36, 3, v4
	v_lshlrev_b64 v[4:5], 3, v[36:37]
	s_delay_alu instid0(VALU_DEP_1) | instskip(NEXT) | instid1(VALU_DEP_2)
	v_add_co_u32 v50, vcc_lo, s10, v4
	v_add_co_ci_u32_e32 v51, vcc_lo, s11, v5, vcc_lo
	v_add_co_u32 v44, vcc_lo, s8, v44
	v_add_co_ci_u32_e32 v45, vcc_lo, s9, v45, vcc_lo
	s_clause 0x1
	global_load_b128 v[36:39], v[50:51], off
	global_load_b128 v[40:43], v[50:51], off offset:16
	s_clause 0x1
	global_load_b64 v[68:69], v[46:47], off
	global_load_b64 v[70:71], v[44:45], off
	v_add_co_u32 v44, vcc_lo, s8, v48
	v_add_co_ci_u32_e32 v45, vcc_lo, s9, v49, vcc_lo
	global_load_b64 v[74:75], v[44:45], off
	s_waitcnt vmcnt(4)
	v_fmac_f32_e32 v14, v29, v36
	v_fmac_f32_e32 v18, v28, v36
	s_delay_alu instid0(VALU_DEP_2) | instskip(NEXT) | instid1(VALU_DEP_2)
	v_fmac_f32_e32 v14, v28, v37
	v_fma_f32 v18, -v29, v37, v18
	s_delay_alu instid0(VALU_DEP_2) | instskip(NEXT) | instid1(VALU_DEP_2)
	v_dual_fmac_f32 v14, v27, v38 :: v_dual_fmac_f32 v17, v32, v36
	v_fmac_f32_e32 v18, v26, v38
	s_delay_alu instid0(VALU_DEP_2) | instskip(NEXT) | instid1(VALU_DEP_3)
	v_fmac_f32_e32 v14, v26, v39
	v_fma_f32 v8, -v33, v37, v17
	s_delay_alu instid0(VALU_DEP_3) | instskip(SKIP_1) | instid1(VALU_DEP_3)
	v_fma_f32 v18, -v27, v39, v18
	s_waitcnt vmcnt(3)
	v_dual_fmac_f32 v14, v55, v40 :: v_dual_add_nc_u32 v5, -5, v3
	s_delay_alu instid0(VALU_DEP_3) | instskip(NEXT) | instid1(VALU_DEP_3)
	v_fmac_f32_e32 v8, v30, v38
	v_fmac_f32_e32 v18, v54, v40
	s_delay_alu instid0(VALU_DEP_3) | instskip(NEXT) | instid1(VALU_DEP_4)
	v_fmac_f32_e32 v14, v54, v41
	v_lshlrev_b64 v[46:47], 3, v[5:6]
	s_delay_alu instid0(VALU_DEP_4) | instskip(NEXT) | instid1(VALU_DEP_4)
	v_fma_f32 v8, -v31, v39, v8
	v_fma_f32 v18, -v55, v41, v18
	s_delay_alu instid0(VALU_DEP_4) | instskip(SKIP_3) | instid1(VALU_DEP_4)
	v_fmac_f32_e32 v14, v61, v42
	v_fmac_f32_e32 v13, v33, v36
	v_add_co_u32 v46, vcc_lo, s8, v46
	v_add_co_ci_u32_e32 v47, vcc_lo, s9, v47, vcc_lo
	v_fmac_f32_e32 v14, v60, v43
	v_fmac_f32_e32 v8, v20, v40
	;; [unrolled: 1-line block ×3, first 2 shown]
	global_load_b64 v[78:79], v[46:47], off
	s_clause 0x1
	global_load_b128 v[44:47], v[50:51], off offset:32
	global_load_b128 v[48:51], v[50:51], off offset:48
	v_fma_f32 v8, -v21, v41, v8
	v_add_nc_u32_e32 v5, -4, v3
	v_fma_f32 v18, -v61, v43, v18
	s_delay_alu instid0(VALU_DEP_3) | instskip(NEXT) | instid1(VALU_DEP_3)
	v_dual_fmac_f32 v8, v56, v42 :: v_dual_add_nc_u32 v7, 32, v7
	v_lshlrev_b64 v[72:73], 3, v[5:6]
	v_add_nc_u32_e32 v5, -3, v3
	s_delay_alu instid0(VALU_DEP_3) | instskip(NEXT) | instid1(VALU_DEP_2)
	v_fma_f32 v8, -v57, v43, v8
	v_lshlrev_b64 v[76:77], 3, v[5:6]
	v_add_nc_u32_e32 v5, -2, v3
	v_add_co_u32 v72, vcc_lo, s8, v72
	v_add_co_ci_u32_e32 v73, vcc_lo, s9, v73, vcc_lo
	s_delay_alu instid0(VALU_DEP_3)
	v_lshlrev_b64 v[80:81], 3, v[5:6]
	v_add_nc_u32_e32 v5, -1, v3
	v_add_co_u32 v76, vcc_lo, s8, v76
	v_add_co_ci_u32_e32 v77, vcc_lo, s9, v77, vcc_lo
	global_load_b64 v[72:73], v[72:73], off
	v_add_co_u32 v80, vcc_lo, s8, v80
	global_load_b64 v[76:77], v[76:77], off
	v_add_co_ci_u32_e32 v81, vcc_lo, s9, v81, vcc_lo
	s_waitcnt vmcnt(3)
	v_dual_fmac_f32 v14, v67, v44 :: v_dual_add_nc_u32 v3, 0x300, v3
	v_fmac_f32_e32 v8, v62, v44
	v_lshlrev_b64 v[4:5], 3, v[5:6]
	v_fmac_f32_e32 v15, v35, v36
	v_fmac_f32_e32 v18, v66, v44
	;; [unrolled: 1-line block ×3, first 2 shown]
	v_fma_f32 v8, -v63, v45, v8
	v_fmac_f32_e32 v19, v34, v36
	v_add_co_u32 v4, vcc_lo, s8, v4
	v_add_co_ci_u32_e32 v5, vcc_lo, s9, v5, vcc_lo
	s_delay_alu instid0(VALU_DEP_4)
	v_fmac_f32_e32 v8, v68, v46
	s_clause 0x2
	global_load_b64 v[80:81], v[80:81], off
	global_load_b64 v[4:5], v[4:5], off
	global_load_b64 v[52:53], v[52:53], off
	v_dual_fmac_f32 v15, v34, v37 :: v_dual_fmac_f32 v14, v75, v46
	v_fma_f32 v18, -v67, v45, v18
	v_fmac_f32_e32 v13, v32, v37
	v_fma_f32 v17, -v35, v37, v19
	v_fma_f32 v8, -v69, v47, v8
	v_fmac_f32_e32 v14, v74, v47
	v_fmac_f32_e32 v18, v74, v46
	;; [unrolled: 1-line block ×3, first 2 shown]
	s_waitcnt vmcnt(5)
	v_dual_fmac_f32 v17, v24, v38 :: v_dual_fmac_f32 v8, v78, v48
	v_cmp_ge_i32_e32 vcc_lo, v7, v16
	v_fma_f32 v18, -v75, v47, v18
	v_fmac_f32_e32 v15, v25, v38
	s_waitcnt vmcnt(3)
	v_dual_fmac_f32 v13, v30, v39 :: v_dual_fmac_f32 v14, v77, v48
	v_fma_f32 v17, -v25, v39, v17
	v_fmac_f32_e32 v18, v76, v48
	v_fma_f32 v8, -v79, v49, v8
	s_delay_alu instid0(VALU_DEP_4) | instskip(SKIP_3) | instid1(VALU_DEP_4)
	v_dual_fmac_f32 v13, v21, v40 :: v_dual_fmac_f32 v14, v76, v49
	v_fmac_f32_e32 v15, v24, v39
	v_fmac_f32_e32 v17, v22, v40
	v_fma_f32 v18, -v77, v49, v18
	v_fmac_f32_e32 v13, v20, v41
	s_or_b32 s5, vcc_lo, s5
	s_delay_alu instid0(VALU_DEP_1) | instskip(NEXT) | instid1(VALU_DEP_1)
	v_fmac_f32_e32 v13, v57, v42
	v_fmac_f32_e32 v13, v56, v43
	s_delay_alu instid0(VALU_DEP_1) | instskip(NEXT) | instid1(VALU_DEP_1)
	v_fmac_f32_e32 v13, v63, v44
	v_fmac_f32_e32 v13, v62, v45
	;; [unrolled: 3-line block ×3, first 2 shown]
	s_delay_alu instid0(VALU_DEP_1) | instskip(SKIP_1) | instid1(VALU_DEP_1)
	v_fmac_f32_e32 v13, v79, v48
	s_waitcnt vmcnt(2)
	v_dual_fmac_f32 v13, v78, v49 :: v_dual_fmac_f32 v8, v80, v50
	v_fma_f32 v17, -v23, v41, v17
	s_waitcnt vmcnt(0)
	v_dual_fmac_f32 v14, v53, v50 :: v_dual_fmac_f32 v15, v23, v40
	v_fmac_f32_e32 v18, v52, v50
	v_fmac_f32_e32 v13, v81, v50
	s_delay_alu instid0(VALU_DEP_3) | instskip(NEXT) | instid1(VALU_DEP_4)
	v_dual_fmac_f32 v17, v58, v42 :: v_dual_fmac_f32 v14, v52, v51
	v_fmac_f32_e32 v15, v22, v41
	s_delay_alu instid0(VALU_DEP_4) | instskip(NEXT) | instid1(VALU_DEP_4)
	v_fma_f32 v18, -v53, v51, v18
	v_fmac_f32_e32 v13, v80, v51
	s_delay_alu instid0(VALU_DEP_4) | instskip(NEXT) | instid1(VALU_DEP_4)
	v_fma_f32 v17, -v59, v43, v17
	v_fmac_f32_e32 v15, v59, v42
	s_delay_alu instid0(VALU_DEP_2) | instskip(NEXT) | instid1(VALU_DEP_2)
	v_fmac_f32_e32 v17, v64, v44
	v_fmac_f32_e32 v15, v58, v43
	s_delay_alu instid0(VALU_DEP_2) | instskip(NEXT) | instid1(VALU_DEP_2)
	v_fma_f32 v17, -v65, v45, v17
	v_fmac_f32_e32 v15, v65, v44
	s_delay_alu instid0(VALU_DEP_2) | instskip(NEXT) | instid1(VALU_DEP_2)
	v_fmac_f32_e32 v17, v70, v46
	v_fmac_f32_e32 v15, v64, v45
	s_delay_alu instid0(VALU_DEP_2) | instskip(NEXT) | instid1(VALU_DEP_2)
	v_fma_f32 v17, -v71, v47, v17
	v_fmac_f32_e32 v15, v71, v46
	s_delay_alu instid0(VALU_DEP_2) | instskip(NEXT) | instid1(VALU_DEP_2)
	v_fmac_f32_e32 v17, v72, v48
	v_fmac_f32_e32 v15, v70, v47
	s_delay_alu instid0(VALU_DEP_2) | instskip(SKIP_1) | instid1(VALU_DEP_3)
	v_fma_f32 v19, -v73, v49, v17
	v_fma_f32 v17, -v81, v51, v8
	v_fmac_f32_e32 v15, v73, v48
	s_delay_alu instid0(VALU_DEP_3) | instskip(NEXT) | instid1(VALU_DEP_2)
	v_fmac_f32_e32 v19, v4, v50
	v_fmac_f32_e32 v15, v72, v49
	s_delay_alu instid0(VALU_DEP_2) | instskip(NEXT) | instid1(VALU_DEP_2)
	v_fma_f32 v19, -v5, v51, v19
	v_fmac_f32_e32 v15, v5, v50
	s_delay_alu instid0(VALU_DEP_1)
	v_fmac_f32_e32 v15, v4, v51
	s_and_not1_b32 exec_lo, exec_lo, s5
	s_cbranch_execnz .LBB107_12
; %bb.13:
	s_or_b32 exec_lo, exec_lo, s5
.LBB107_14:
	s_delay_alu instid0(SALU_CYCLE_1) | instskip(NEXT) | instid1(SALU_CYCLE_1)
	s_or_b32 exec_lo, exec_lo, s4
	s_and_not1_b32 vcc_lo, exec_lo, s3
	s_cbranch_vccz .LBB107_19
	s_branch .LBB107_24
.LBB107_15:
	v_dual_mov_b32 v1, s4 :: v_dual_mov_b32 v2, s5
	flat_load_b32 v9, v[1:2]
	v_cndmask_b32_e64 v1, 0, 1, s6
	v_mov_b32_e32 v10, s5
	s_and_not1_b32 vcc_lo, exec_lo, s6
	s_cbranch_vccnz .LBB107_2
.LBB107_16:
	v_dual_mov_b32 v2, s4 :: v_dual_mov_b32 v3, s5
	flat_load_b32 v10, v[2:3] offset:4
	v_cmp_ne_u32_e32 vcc_lo, 1, v1
	v_mov_b32_e32 v11, s2
	s_cbranch_vccnz .LBB107_3
.LBB107_17:
	v_dual_mov_b32 v2, s2 :: v_dual_mov_b32 v3, s3
	flat_load_b32 v11, v[2:3]
	v_cmp_ne_u32_e32 vcc_lo, 1, v1
	v_mov_b32_e32 v12, s3
	s_cbranch_vccz .LBB107_4
	s_branch .LBB107_5
.LBB107_18:
                                        ; implicit-def: $vgpr13
                                        ; implicit-def: $vgpr17
                                        ; implicit-def: $vgpr18
                                        ; implicit-def: $vgpr14
                                        ; implicit-def: $vgpr19
                                        ; implicit-def: $vgpr15
.LBB107_19:
	v_dual_mov_b32 v13, 0 :: v_dual_mov_b32 v18, 0
	v_dual_mov_b32 v17, 0 :: v_dual_mov_b32 v14, 0
	v_mov_b32_e32 v19, 0
	v_mov_b32_e32 v15, 0
	s_and_saveexec_b32 s3, s2
	s_cbranch_execz .LBB107_23
; %bb.20:
	v_mad_u64_u32 v[4:5], null, v2, 24, 23
	v_dual_mov_b32 v7, 0 :: v_dual_mov_b32 v18, 0
	v_dual_mov_b32 v13, 0 :: v_dual_mov_b32 v14, 0
	v_mov_b32_e32 v17, 0
	v_mov_b32_e32 v19, 0
	;; [unrolled: 1-line block ×3, first 2 shown]
	s_mov_b32 s4, 0
.LBB107_21:                             ; =>This Inner Loop Header: Depth=1
	v_ashrrev_i32_e32 v3, 31, v2
	v_dual_mov_b32 v37, v7 :: v_dual_add_nc_u32 v20, -15, v4
	v_dual_mov_b32 v21, v7 :: v_dual_add_nc_u32 v22, -7, v4
	s_delay_alu instid0(VALU_DEP_3) | instskip(SKIP_1) | instid1(VALU_DEP_3)
	v_lshlrev_b64 v[5:6], 2, v[2:3]
	v_mov_b32_e32 v23, v7
	v_lshlrev_b64 v[20:21], 3, v[20:21]
	s_delay_alu instid0(VALU_DEP_3) | instskip(NEXT) | instid1(VALU_DEP_4)
	v_add_co_u32 v5, vcc_lo, s6, v5
	v_add_co_ci_u32_e32 v6, vcc_lo, s7, v6, vcc_lo
	global_load_b32 v3, v[5:6], off
	v_subrev_nc_u32_e32 v6, 23, v4
	v_mov_b32_e32 v5, v7
	s_delay_alu instid0(VALU_DEP_2) | instskip(SKIP_2) | instid1(VALU_DEP_2)
	v_lshlrev_b64 v[24:25], 3, v[6:7]
	v_add_nc_u32_e32 v6, -14, v4
	v_lshlrev_b64 v[22:23], 3, v[22:23]
	v_lshlrev_b64 v[38:39], 3, v[6:7]
	v_add_nc_u32_e32 v6, -6, v4
	v_add_co_u32 v32, vcc_lo, s8, v24
	v_add_co_ci_u32_e32 v33, vcc_lo, s9, v25, vcc_lo
	v_lshlrev_b64 v[26:27], 3, v[4:5]
	v_add_co_u32 v40, vcc_lo, s8, v20
	v_add_co_ci_u32_e32 v41, vcc_lo, s9, v21, vcc_lo
	v_add_co_u32 v42, vcc_lo, s8, v22
	v_add_co_ci_u32_e32 v43, vcc_lo, s9, v23, vcc_lo
	;; [unrolled: 2-line block ×3, first 2 shown]
	v_lshlrev_b64 v[44:45], 3, v[6:7]
	s_clause 0x3
	global_load_b128 v[20:23], v[32:33], off offset:48
	global_load_b128 v[24:27], v[32:33], off offset:32
	;; [unrolled: 1-line block ×3, first 2 shown]
	global_load_b128 v[32:35], v[32:33], off
	v_add_nc_u32_e32 v6, -13, v4
	v_add_co_u32 v38, vcc_lo, s8, v38
	v_add_co_ci_u32_e32 v39, vcc_lo, s9, v39, vcc_lo
	s_clause 0x1
	global_load_b64 v[54:55], v[40:41], off
	global_load_b64 v[56:57], v[42:43], off
	v_lshlrev_b64 v[40:41], 3, v[6:7]
	v_add_nc_u32_e32 v6, -5, v4
	global_load_b64 v[58:59], v[38:39], off
	v_add_co_u32 v38, vcc_lo, s8, v44
	v_add_co_ci_u32_e32 v39, vcc_lo, s9, v45, vcc_lo
	v_add_co_u32 v40, vcc_lo, s8, v40
	v_lshlrev_b64 v[42:43], 3, v[6:7]
	v_add_nc_u32_e32 v6, -12, v4
	v_add_co_ci_u32_e32 v41, vcc_lo, s9, v41, vcc_lo
	s_clause 0x1
	global_load_b64 v[60:61], v[38:39], off
	global_load_b64 v[62:63], v[40:41], off
	v_lshlrev_b64 v[38:39], 3, v[6:7]
	v_add_nc_u32_e32 v6, -4, v4
	v_add_co_u32 v40, vcc_lo, s8, v42
	v_add_co_ci_u32_e32 v41, vcc_lo, s9, v43, vcc_lo
	s_delay_alu instid0(VALU_DEP_3)
	v_lshlrev_b64 v[42:43], 3, v[6:7]
	v_add_co_u32 v38, vcc_lo, s8, v38
	v_add_co_ci_u32_e32 v39, vcc_lo, s9, v39, vcc_lo
	global_load_b64 v[64:65], v[40:41], off
	v_add_co_u32 v46, vcc_lo, s8, v42
	global_load_b64 v[66:67], v[38:39], off
	v_add_co_ci_u32_e32 v47, vcc_lo, s9, v43, vcc_lo
	s_waitcnt vmcnt(11)
	v_subrev_nc_u32_e32 v3, s12, v3
	s_delay_alu instid0(VALU_DEP_1) | instskip(NEXT) | instid1(VALU_DEP_1)
	v_lshlrev_b32_e32 v36, 3, v3
	v_lshlrev_b64 v[36:37], 3, v[36:37]
	s_delay_alu instid0(VALU_DEP_1) | instskip(NEXT) | instid1(VALU_DEP_1)
	v_add_co_u32 v50, s2, s10, v36
	v_add_co_ci_u32_e64 v51, s2, s11, v37, s2
	s_clause 0x1
	global_load_b128 v[36:39], v[50:51], off
	global_load_b128 v[40:43], v[50:51], off offset:16
	global_load_b64 v[68:69], v[46:47], off
	s_waitcnt vmcnt(2)
	v_dual_fmac_f32 v17, v32, v36 :: v_dual_add_nc_u32 v2, 32, v2
	v_fmac_f32_e32 v14, v57, v36
	v_fmac_f32_e32 v13, v33, v36
	;; [unrolled: 1-line block ×3, first 2 shown]
	s_delay_alu instid0(VALU_DEP_4) | instskip(NEXT) | instid1(VALU_DEP_4)
	v_fma_f32 v3, -v33, v37, v17
	v_dual_fmac_f32 v14, v56, v37 :: v_dual_fmac_f32 v19, v54, v36
	s_delay_alu instid0(VALU_DEP_4) | instskip(NEXT) | instid1(VALU_DEP_4)
	v_fmac_f32_e32 v13, v32, v37
	v_fma_f32 v17, -v57, v37, v18
	s_delay_alu instid0(VALU_DEP_4) | instskip(NEXT) | instid1(VALU_DEP_4)
	v_fmac_f32_e32 v3, v34, v38
	v_fmac_f32_e32 v14, v61, v38
	v_fma_f32 v8, -v55, v37, v19
	v_fmac_f32_e32 v15, v55, v36
	v_fmac_f32_e32 v13, v35, v38
	v_fma_f32 v3, -v35, v39, v3
	v_fmac_f32_e32 v17, v60, v38
	v_fmac_f32_e32 v8, v58, v38
	v_dual_fmac_f32 v15, v54, v37 :: v_dual_add_nc_u32 v6, -11, v4
	s_waitcnt vmcnt(1)
	v_fmac_f32_e32 v3, v28, v40
	v_fmac_f32_e32 v13, v34, v39
	s_delay_alu instid0(VALU_DEP_3)
	v_dual_fmac_f32 v14, v60, v39 :: v_dual_fmac_f32 v15, v59, v38
	v_lshlrev_b64 v[44:45], 3, v[6:7]
	v_add_nc_u32_e32 v6, -3, v4
	v_fma_f32 v3, -v29, v41, v3
	v_fma_f32 v8, -v59, v39, v8
	;; [unrolled: 1-line block ×3, first 2 shown]
	v_fmac_f32_e32 v13, v29, v40
	v_add_co_u32 v44, vcc_lo, s8, v44
	v_lshlrev_b64 v[48:49], 3, v[6:7]
	v_add_nc_u32_e32 v6, -10, v4
	v_add_co_ci_u32_e32 v45, vcc_lo, s9, v45, vcc_lo
	v_dual_fmac_f32 v15, v58, v39 :: v_dual_fmac_f32 v14, v65, v40
	v_fmac_f32_e32 v13, v28, v41
	global_load_b64 v[70:71], v[44:45], off
	v_lshlrev_b64 v[46:47], 3, v[6:7]
	v_add_nc_u32_e32 v6, -2, v4
	v_add_co_u32 v44, vcc_lo, s8, v48
	v_add_co_ci_u32_e32 v45, vcc_lo, s9, v49, vcc_lo
	s_delay_alu instid0(VALU_DEP_3)
	v_lshlrev_b64 v[48:49], 3, v[6:7]
	v_add_co_u32 v46, vcc_lo, s8, v46
	v_add_co_ci_u32_e32 v47, vcc_lo, s9, v47, vcc_lo
	global_load_b64 v[72:73], v[44:45], off
	v_add_co_u32 v78, vcc_lo, s8, v48
	global_load_b64 v[76:77], v[46:47], off
	v_add_co_ci_u32_e32 v79, vcc_lo, s9, v49, vcc_lo
	s_clause 0x1
	global_load_b128 v[44:47], v[50:51], off offset:32
	global_load_b128 v[48:51], v[50:51], off offset:48
	v_add_nc_u32_e32 v6, -9, v4
	v_dual_fmac_f32 v15, v63, v40 :: v_dual_fmac_f32 v14, v64, v41
	global_load_b64 v[78:79], v[78:79], off
	v_fmac_f32_e32 v3, v30, v42
	v_lshlrev_b64 v[74:75], 3, v[6:7]
	v_dual_fmac_f32 v15, v62, v41 :: v_dual_add_nc_u32 v6, -1, v4
	v_fmac_f32_e32 v13, v31, v42
	s_delay_alu instid0(VALU_DEP_4) | instskip(NEXT) | instid1(VALU_DEP_3)
	v_fma_f32 v3, -v31, v43, v3
	v_lshlrev_b64 v[80:81], 3, v[6:7]
	v_add_co_u32 v74, vcc_lo, s8, v74
	v_add_co_ci_u32_e32 v75, vcc_lo, s9, v75, vcc_lo
	v_add_nc_u32_e32 v6, -8, v4
	s_delay_alu instid0(VALU_DEP_4)
	v_add_co_u32 v80, vcc_lo, s8, v80
	v_add_co_ci_u32_e32 v81, vcc_lo, s9, v81, vcc_lo
	s_clause 0x1
	global_load_b64 v[74:75], v[74:75], off
	global_load_b64 v[80:81], v[80:81], off
	v_lshlrev_b64 v[5:6], 3, v[6:7]
	v_dual_fmac_f32 v15, v67, v42 :: v_dual_add_nc_u32 v4, 0x300, v4
	s_waitcnt vmcnt(8)
	v_dual_fmac_f32 v14, v69, v42 :: v_dual_fmac_f32 v13, v30, v43
	s_delay_alu instid0(VALU_DEP_3) | instskip(NEXT) | instid1(VALU_DEP_3)
	v_add_co_u32 v5, vcc_lo, s8, v5
	v_fmac_f32_e32 v15, v66, v43
	v_add_co_ci_u32_e32 v6, vcc_lo, s9, v6, vcc_lo
	s_clause 0x1
	global_load_b64 v[5:6], v[5:6], off
	global_load_b64 v[52:53], v[52:53], off
	v_fmac_f32_e32 v14, v68, v43
	v_cmp_ge_i32_e32 vcc_lo, v2, v16
	s_or_b32 s4, vcc_lo, s4
	s_waitcnt vmcnt(6)
	v_fmac_f32_e32 v13, v25, v44
	v_fmac_f32_e32 v8, v62, v40
	;; [unrolled: 1-line block ×4, first 2 shown]
	s_delay_alu instid0(VALU_DEP_4) | instskip(NEXT) | instid1(VALU_DEP_4)
	v_fmac_f32_e32 v13, v24, v45
	v_fma_f32 v8, -v63, v41, v8
	s_delay_alu instid0(VALU_DEP_4)
	v_fmac_f32_e32 v14, v72, v45
	v_fmac_f32_e32 v17, v64, v40
	;; [unrolled: 1-line block ×5, first 2 shown]
	s_waitcnt vmcnt(4)
	v_fmac_f32_e32 v14, v79, v46
	v_fma_f32 v17, -v65, v41, v17
	v_fma_f32 v3, -v25, v45, v3
	v_fmac_f32_e32 v15, v70, v45
	v_fma_f32 v8, -v67, v43, v8
	s_delay_alu instid0(VALU_DEP_4) | instskip(NEXT) | instid1(VALU_DEP_4)
	v_dual_fmac_f32 v14, v78, v47 :: v_dual_fmac_f32 v17, v68, v42
	v_fmac_f32_e32 v3, v26, v46
	v_fmac_f32_e32 v13, v26, v47
	s_delay_alu instid0(VALU_DEP_4) | instskip(NEXT) | instid1(VALU_DEP_4)
	v_fmac_f32_e32 v8, v70, v44
	v_fma_f32 v17, -v69, v43, v17
	s_waitcnt vmcnt(2)
	v_fmac_f32_e32 v14, v81, v48
	s_delay_alu instid0(VALU_DEP_3) | instskip(SKIP_2) | instid1(VALU_DEP_4)
	v_fma_f32 v8, -v71, v45, v8
	v_fma_f32 v3, -v27, v47, v3
	v_fmac_f32_e32 v17, v72, v44
	v_fmac_f32_e32 v14, v80, v49
	s_delay_alu instid0(VALU_DEP_4) | instskip(NEXT) | instid1(VALU_DEP_4)
	v_fmac_f32_e32 v8, v76, v46
	v_fmac_f32_e32 v3, v20, v48
	s_delay_alu instid0(VALU_DEP_4) | instskip(NEXT) | instid1(VALU_DEP_3)
	v_fma_f32 v17, -v73, v45, v17
	v_fma_f32 v8, -v77, v47, v8
	v_fmac_f32_e32 v15, v77, v46
	s_delay_alu instid0(VALU_DEP_3)
	v_fmac_f32_e32 v17, v78, v46
	s_waitcnt vmcnt(0)
	v_fmac_f32_e32 v14, v53, v50
	v_fmac_f32_e32 v8, v74, v48
	v_fma_f32 v3, -v21, v49, v3
	v_fma_f32 v17, -v79, v47, v17
	s_delay_alu instid0(VALU_DEP_4) | instskip(NEXT) | instid1(VALU_DEP_4)
	v_fmac_f32_e32 v14, v52, v51
	v_fma_f32 v8, -v75, v49, v8
	v_fmac_f32_e32 v15, v76, v47
	s_delay_alu instid0(VALU_DEP_4) | instskip(SKIP_1) | instid1(VALU_DEP_3)
	v_fmac_f32_e32 v17, v80, v48
	v_fmac_f32_e32 v3, v22, v50
	v_dual_fmac_f32 v8, v5, v50 :: v_dual_fmac_f32 v15, v75, v48
	s_delay_alu instid0(VALU_DEP_3) | instskip(SKIP_1) | instid1(VALU_DEP_4)
	v_fma_f32 v18, -v81, v49, v17
	v_fmac_f32_e32 v13, v21, v48
	v_fma_f32 v17, -v23, v51, v3
	s_delay_alu instid0(VALU_DEP_4) | instskip(NEXT) | instid1(VALU_DEP_4)
	v_fma_f32 v19, -v6, v51, v8
	v_dual_fmac_f32 v15, v74, v49 :: v_dual_fmac_f32 v18, v52, v50
	s_delay_alu instid0(VALU_DEP_4) | instskip(NEXT) | instid1(VALU_DEP_2)
	v_fmac_f32_e32 v13, v20, v49
	v_fmac_f32_e32 v15, v6, v50
	s_delay_alu instid0(VALU_DEP_3) | instskip(NEXT) | instid1(VALU_DEP_3)
	v_fma_f32 v18, -v53, v51, v18
	v_fmac_f32_e32 v13, v23, v50
	s_delay_alu instid0(VALU_DEP_3) | instskip(NEXT) | instid1(VALU_DEP_2)
	v_fmac_f32_e32 v15, v5, v51
	v_fmac_f32_e32 v13, v22, v51
	s_and_not1_b32 exec_lo, exec_lo, s4
	s_cbranch_execnz .LBB107_21
; %bb.22:
	s_or_b32 exec_lo, exec_lo, s4
.LBB107_23:
	s_delay_alu instid0(SALU_CYCLE_1)
	s_or_b32 exec_lo, exec_lo, s3
.LBB107_24:
	v_mbcnt_lo_u32_b32 v2, -1, 0
	s_delay_alu instid0(VALU_DEP_1) | instskip(SKIP_1) | instid1(VALU_DEP_2)
	v_xor_b32_e32 v3, 16, v2
	v_xor_b32_e32 v16, 8, v2
	v_cmp_gt_i32_e32 vcc_lo, 32, v3
	v_cndmask_b32_e32 v3, v2, v3, vcc_lo
	s_delay_alu instid0(VALU_DEP_3) | instskip(SKIP_1) | instid1(VALU_DEP_1)
	v_cmp_gt_i32_e32 vcc_lo, 32, v16
	v_cndmask_b32_e32 v16, v2, v16, vcc_lo
	v_lshlrev_b32_e32 v16, 2, v16
	s_delay_alu instid0(VALU_DEP_4)
	v_lshlrev_b32_e32 v3, 2, v3
	ds_bpermute_b32 v4, v3, v17
	s_waitcnt lgkmcnt(0)
	v_add_f32_e32 v4, v17, v4
	ds_bpermute_b32 v5, v3, v13
	ds_bpermute_b32 v6, v3, v19
	;; [unrolled: 1-line block ×5, first 2 shown]
	s_waitcnt lgkmcnt(3)
	v_dual_add_f32 v5, v13, v5 :: v_dual_add_f32 v6, v19, v6
	s_waitcnt lgkmcnt(1)
	v_dual_add_f32 v7, v15, v7 :: v_dual_add_f32 v8, v18, v8
	s_waitcnt lgkmcnt(0)
	v_add_f32_e32 v3, v14, v3
	ds_bpermute_b32 v13, v16, v4
	ds_bpermute_b32 v14, v16, v5
	;; [unrolled: 1-line block ×4, first 2 shown]
	v_xor_b32_e32 v19, 4, v2
	ds_bpermute_b32 v17, v16, v7
	ds_bpermute_b32 v16, v16, v3
	v_cmp_gt_i32_e32 vcc_lo, 32, v19
	s_waitcnt lgkmcnt(5)
	v_dual_cndmask_b32 v19, v2, v19 :: v_dual_add_f32 v4, v4, v13
	s_delay_alu instid0(VALU_DEP_1)
	v_lshlrev_b32_e32 v19, 2, v19
	s_waitcnt lgkmcnt(3)
	v_dual_add_f32 v5, v5, v14 :: v_dual_add_f32 v6, v6, v15
	s_waitcnt lgkmcnt(2)
	v_add_f32_e32 v8, v8, v18
	ds_bpermute_b32 v13, v19, v4
	s_waitcnt lgkmcnt(1)
	v_add_f32_e32 v3, v3, v16
	ds_bpermute_b32 v15, v19, v6
	v_add_f32_e32 v7, v7, v17
	ds_bpermute_b32 v14, v19, v5
	ds_bpermute_b32 v17, v19, v8
	s_waitcnt lgkmcnt(3)
	v_add_f32_e32 v4, v4, v13
	ds_bpermute_b32 v18, v19, v3
	s_waitcnt lgkmcnt(3)
	v_add_f32_e32 v6, v6, v15
	ds_bpermute_b32 v16, v19, v7
	v_xor_b32_e32 v19, 2, v2
	s_waitcnt lgkmcnt(2)
	v_dual_add_f32 v5, v5, v14 :: v_dual_add_f32 v14, v8, v17
	s_delay_alu instid0(VALU_DEP_2)
	v_cmp_gt_i32_e32 vcc_lo, 32, v19
	v_cndmask_b32_e32 v19, v2, v19, vcc_lo
	s_waitcnt lgkmcnt(1)
	v_add_f32_e32 v15, v3, v18
	s_waitcnt lgkmcnt(0)
	v_add_f32_e32 v13, v7, v16
	v_lshlrev_b32_e32 v19, 2, v19
	ds_bpermute_b32 v7, v19, v5
	ds_bpermute_b32 v8, v19, v6
	;; [unrolled: 1-line block ×3, first 2 shown]
	s_waitcnt lgkmcnt(2)
	v_add_f32_e32 v5, v5, v7
	s_waitcnt lgkmcnt(1)
	v_add_f32_e32 v7, v6, v8
	;; [unrolled: 2-line block ×3, first 2 shown]
	ds_bpermute_b32 v3, v19, v4
	ds_bpermute_b32 v17, v19, v14
	;; [unrolled: 1-line block ×3, first 2 shown]
	v_xor_b32_e32 v19, 1, v2
	s_delay_alu instid0(VALU_DEP_1) | instskip(SKIP_3) | instid1(VALU_DEP_2)
	v_cmp_gt_i32_e32 vcc_lo, 32, v19
	v_cndmask_b32_e32 v2, v2, v19, vcc_lo
	v_cmp_eq_u32_e32 vcc_lo, 31, v0
	s_waitcnt lgkmcnt(2)
	v_dual_add_f32 v2, v4, v3 :: v_dual_lshlrev_b32 v19, 2, v2
	s_waitcnt lgkmcnt(0)
	v_dual_add_f32 v3, v14, v17 :: v_dual_add_f32 v4, v15, v18
	ds_bpermute_b32 v15, v19, v5
	ds_bpermute_b32 v16, v19, v7
	;; [unrolled: 1-line block ×6, first 2 shown]
	s_and_b32 exec_lo, exec_lo, vcc_lo
	s_cbranch_execz .LBB107_29
; %bb.25:
	s_load_b64 s[2:3], s[0:1], 0x38
	v_cmp_eq_f32_e32 vcc_lo, 0, v11
	v_cmp_eq_f32_e64 s0, 0, v12
	s_waitcnt lgkmcnt(0)
	v_add_f32_e32 v0, v2, v6
	v_dual_add_f32 v6, v5, v15 :: v_dual_add_f32 v3, v3, v13
	v_dual_add_f32 v2, v7, v16 :: v_dual_add_f32 v5, v8, v17
	v_add_f32_e32 v4, v4, v14
	s_and_b32 s0, vcc_lo, s0
	s_delay_alu instid0(SALU_CYCLE_1) | instskip(NEXT) | instid1(SALU_CYCLE_1)
	s_and_saveexec_b32 s1, s0
	s_xor_b32 s0, exec_lo, s1
	s_cbranch_execz .LBB107_27
; %bb.26:
	v_lshl_add_u32 v7, v1, 1, v1
	v_mul_f32_e64 v11, v6, -v10
	v_mul_f32_e32 v12, v6, v9
	v_mul_f32_e64 v13, v5, -v10
	v_mul_f32_e32 v14, v5, v9
	v_ashrrev_i32_e32 v8, 31, v7
	v_fmac_f32_e32 v11, v9, v0
	v_mul_f32_e64 v5, v4, -v10
	v_dual_mul_f32 v6, v4, v9 :: v_dual_fmac_f32 v13, v9, v2
	s_delay_alu instid0(VALU_DEP_4) | instskip(NEXT) | instid1(VALU_DEP_3)
	v_lshlrev_b64 v[7:8], 3, v[7:8]
	v_dual_fmac_f32 v12, v10, v0 :: v_dual_fmac_f32 v5, v9, v3
	v_fmac_f32_e32 v14, v10, v2
	s_delay_alu instid0(VALU_DEP_4) | instskip(NEXT) | instid1(VALU_DEP_4)
	v_fmac_f32_e32 v6, v10, v3
                                        ; implicit-def: $vgpr9
                                        ; implicit-def: $vgpr10
                                        ; implicit-def: $vgpr2
                                        ; implicit-def: $vgpr3
                                        ; implicit-def: $vgpr4
	v_add_co_u32 v0, vcc_lo, s2, v7
	v_add_co_ci_u32_e32 v1, vcc_lo, s3, v8, vcc_lo
	s_clause 0x1
	global_store_b128 v[0:1], v[11:14], off
	global_store_b64 v[0:1], v[5:6], off offset:16
                                        ; implicit-def: $vgpr11
                                        ; implicit-def: $vgpr12
                                        ; implicit-def: $vgpr1
                                        ; implicit-def: $vgpr0
                                        ; implicit-def: $vgpr6
                                        ; implicit-def: $vgpr5
.LBB107_27:
	s_and_not1_saveexec_b32 s0, s0
	s_cbranch_execz .LBB107_29
; %bb.28:
	v_lshl_add_u32 v7, v1, 1, v1
	v_mul_f32_e64 v21, v5, -v10
	v_mul_f32_e64 v22, v4, -v10
	s_delay_alu instid0(VALU_DEP_3) | instskip(NEXT) | instid1(VALU_DEP_1)
	v_ashrrev_i32_e32 v8, 31, v7
	v_lshlrev_b64 v[7:8], 3, v[7:8]
	s_delay_alu instid0(VALU_DEP_1) | instskip(NEXT) | instid1(VALU_DEP_2)
	v_add_co_u32 v17, vcc_lo, s2, v7
	v_add_co_ci_u32_e32 v18, vcc_lo, s3, v8, vcc_lo
	v_mul_f32_e64 v7, v6, -v10
	v_mul_f32_e32 v6, v6, v9
	s_clause 0x1
	global_load_b128 v[13:16], v[17:18], off
	global_load_b64 v[19:20], v[17:18], off offset:16
	v_fmac_f32_e32 v7, v9, v0
	v_dual_mul_f32 v1, v4, v9 :: v_dual_fmac_f32 v6, v10, v0
	v_mul_f32_e32 v8, v5, v9
	v_fmac_f32_e32 v21, v9, v2
	s_delay_alu instid0(VALU_DEP_3) | instskip(SKIP_1) | instid1(VALU_DEP_3)
	v_fmac_f32_e32 v1, v10, v3
	s_waitcnt vmcnt(1)
	v_dual_fmac_f32 v8, v10, v2 :: v_dual_fmac_f32 v7, v11, v13
	v_fmac_f32_e32 v6, v12, v13
	s_waitcnt vmcnt(0)
	v_fmac_f32_e32 v1, v12, v19
	v_fmac_f32_e32 v21, v11, v15
	;; [unrolled: 1-line block ×3, first 2 shown]
	v_fma_f32 v5, -v12, v14, v7
	v_fmac_f32_e32 v6, v11, v14
	v_dual_fmac_f32 v22, v9, v3 :: v_dual_fmac_f32 v1, v11, v20
	v_fma_f32 v7, -v12, v16, v21
	v_fmac_f32_e32 v8, v11, v16
	s_delay_alu instid0(VALU_DEP_3) | instskip(NEXT) | instid1(VALU_DEP_1)
	v_fmac_f32_e32 v22, v11, v19
	v_fma_f32 v0, -v12, v20, v22
	s_clause 0x1
	global_store_b128 v[17:18], v[5:8], off
	global_store_b64 v[17:18], v[0:1], off offset:16
.LBB107_29:
	s_nop 0
	s_sendmsg sendmsg(MSG_DEALLOC_VGPRS)
	s_endpgm
	.section	.rodata,"a",@progbits
	.p2align	6, 0x0
	.amdhsa_kernel _ZN9rocsparseL19gebsrmvn_3xn_kernelILj128ELj8ELj32E21rocsparse_complex_numIfEEEvi20rocsparse_direction_NS_24const_host_device_scalarIT2_EEPKiS8_PKS5_SA_S6_PS5_21rocsparse_index_base_b
		.amdhsa_group_segment_fixed_size 0
		.amdhsa_private_segment_fixed_size 0
		.amdhsa_kernarg_size 72
		.amdhsa_user_sgpr_count 15
		.amdhsa_user_sgpr_dispatch_ptr 0
		.amdhsa_user_sgpr_queue_ptr 0
		.amdhsa_user_sgpr_kernarg_segment_ptr 1
		.amdhsa_user_sgpr_dispatch_id 0
		.amdhsa_user_sgpr_private_segment_size 0
		.amdhsa_wavefront_size32 1
		.amdhsa_uses_dynamic_stack 0
		.amdhsa_enable_private_segment 0
		.amdhsa_system_sgpr_workgroup_id_x 1
		.amdhsa_system_sgpr_workgroup_id_y 0
		.amdhsa_system_sgpr_workgroup_id_z 0
		.amdhsa_system_sgpr_workgroup_info 0
		.amdhsa_system_vgpr_workitem_id 0
		.amdhsa_next_free_vgpr 82
		.amdhsa_next_free_sgpr 16
		.amdhsa_reserve_vcc 1
		.amdhsa_float_round_mode_32 0
		.amdhsa_float_round_mode_16_64 0
		.amdhsa_float_denorm_mode_32 3
		.amdhsa_float_denorm_mode_16_64 3
		.amdhsa_dx10_clamp 1
		.amdhsa_ieee_mode 1
		.amdhsa_fp16_overflow 0
		.amdhsa_workgroup_processor_mode 1
		.amdhsa_memory_ordered 1
		.amdhsa_forward_progress 0
		.amdhsa_shared_vgpr_count 0
		.amdhsa_exception_fp_ieee_invalid_op 0
		.amdhsa_exception_fp_denorm_src 0
		.amdhsa_exception_fp_ieee_div_zero 0
		.amdhsa_exception_fp_ieee_overflow 0
		.amdhsa_exception_fp_ieee_underflow 0
		.amdhsa_exception_fp_ieee_inexact 0
		.amdhsa_exception_int_div_zero 0
	.end_amdhsa_kernel
	.section	.text._ZN9rocsparseL19gebsrmvn_3xn_kernelILj128ELj8ELj32E21rocsparse_complex_numIfEEEvi20rocsparse_direction_NS_24const_host_device_scalarIT2_EEPKiS8_PKS5_SA_S6_PS5_21rocsparse_index_base_b,"axG",@progbits,_ZN9rocsparseL19gebsrmvn_3xn_kernelILj128ELj8ELj32E21rocsparse_complex_numIfEEEvi20rocsparse_direction_NS_24const_host_device_scalarIT2_EEPKiS8_PKS5_SA_S6_PS5_21rocsparse_index_base_b,comdat
.Lfunc_end107:
	.size	_ZN9rocsparseL19gebsrmvn_3xn_kernelILj128ELj8ELj32E21rocsparse_complex_numIfEEEvi20rocsparse_direction_NS_24const_host_device_scalarIT2_EEPKiS8_PKS5_SA_S6_PS5_21rocsparse_index_base_b, .Lfunc_end107-_ZN9rocsparseL19gebsrmvn_3xn_kernelILj128ELj8ELj32E21rocsparse_complex_numIfEEEvi20rocsparse_direction_NS_24const_host_device_scalarIT2_EEPKiS8_PKS5_SA_S6_PS5_21rocsparse_index_base_b
                                        ; -- End function
	.section	.AMDGPU.csdata,"",@progbits
; Kernel info:
; codeLenInByte = 4328
; NumSgprs: 18
; NumVgprs: 82
; ScratchSize: 0
; MemoryBound: 0
; FloatMode: 240
; IeeeMode: 1
; LDSByteSize: 0 bytes/workgroup (compile time only)
; SGPRBlocks: 2
; VGPRBlocks: 10
; NumSGPRsForWavesPerEU: 18
; NumVGPRsForWavesPerEU: 82
; Occupancy: 16
; WaveLimiterHint : 1
; COMPUTE_PGM_RSRC2:SCRATCH_EN: 0
; COMPUTE_PGM_RSRC2:USER_SGPR: 15
; COMPUTE_PGM_RSRC2:TRAP_HANDLER: 0
; COMPUTE_PGM_RSRC2:TGID_X_EN: 1
; COMPUTE_PGM_RSRC2:TGID_Y_EN: 0
; COMPUTE_PGM_RSRC2:TGID_Z_EN: 0
; COMPUTE_PGM_RSRC2:TIDIG_COMP_CNT: 0
	.section	.text._ZN9rocsparseL19gebsrmvn_3xn_kernelILj128ELj8ELj64E21rocsparse_complex_numIfEEEvi20rocsparse_direction_NS_24const_host_device_scalarIT2_EEPKiS8_PKS5_SA_S6_PS5_21rocsparse_index_base_b,"axG",@progbits,_ZN9rocsparseL19gebsrmvn_3xn_kernelILj128ELj8ELj64E21rocsparse_complex_numIfEEEvi20rocsparse_direction_NS_24const_host_device_scalarIT2_EEPKiS8_PKS5_SA_S6_PS5_21rocsparse_index_base_b,comdat
	.globl	_ZN9rocsparseL19gebsrmvn_3xn_kernelILj128ELj8ELj64E21rocsparse_complex_numIfEEEvi20rocsparse_direction_NS_24const_host_device_scalarIT2_EEPKiS8_PKS5_SA_S6_PS5_21rocsparse_index_base_b ; -- Begin function _ZN9rocsparseL19gebsrmvn_3xn_kernelILj128ELj8ELj64E21rocsparse_complex_numIfEEEvi20rocsparse_direction_NS_24const_host_device_scalarIT2_EEPKiS8_PKS5_SA_S6_PS5_21rocsparse_index_base_b
	.p2align	8
	.type	_ZN9rocsparseL19gebsrmvn_3xn_kernelILj128ELj8ELj64E21rocsparse_complex_numIfEEEvi20rocsparse_direction_NS_24const_host_device_scalarIT2_EEPKiS8_PKS5_SA_S6_PS5_21rocsparse_index_base_b,@function
_ZN9rocsparseL19gebsrmvn_3xn_kernelILj128ELj8ELj64E21rocsparse_complex_numIfEEEvi20rocsparse_direction_NS_24const_host_device_scalarIT2_EEPKiS8_PKS5_SA_S6_PS5_21rocsparse_index_base_b: ; @_ZN9rocsparseL19gebsrmvn_3xn_kernelILj128ELj8ELj64E21rocsparse_complex_numIfEEEvi20rocsparse_direction_NS_24const_host_device_scalarIT2_EEPKiS8_PKS5_SA_S6_PS5_21rocsparse_index_base_b
; %bb.0:
	s_clause 0x2
	s_load_b64 s[12:13], s[0:1], 0x40
	s_load_b64 s[4:5], s[0:1], 0x8
	;; [unrolled: 1-line block ×3, first 2 shown]
	s_waitcnt lgkmcnt(0)
	s_bitcmp1_b32 s13, 0
	v_mov_b32_e32 v9, s4
	s_cselect_b32 s6, -1, 0
	s_delay_alu instid0(SALU_CYCLE_1)
	s_and_b32 vcc_lo, exec_lo, s6
	s_xor_b32 s6, s6, -1
	s_cbranch_vccz .LBB108_15
; %bb.1:
	v_cndmask_b32_e64 v1, 0, 1, s6
	v_mov_b32_e32 v10, s5
	s_and_not1_b32 vcc_lo, exec_lo, s6
	s_cbranch_vccz .LBB108_16
.LBB108_2:
	s_delay_alu instid0(VALU_DEP_2)
	v_cmp_ne_u32_e32 vcc_lo, 1, v1
	v_mov_b32_e32 v11, s2
	s_cbranch_vccz .LBB108_17
.LBB108_3:
	v_cmp_ne_u32_e32 vcc_lo, 1, v1
	v_mov_b32_e32 v12, s3
	s_cbranch_vccnz .LBB108_5
.LBB108_4:
	v_dual_mov_b32 v1, s2 :: v_dual_mov_b32 v2, s3
	flat_load_b32 v12, v[1:2] offset:4
.LBB108_5:
	s_waitcnt vmcnt(0) lgkmcnt(0)
	v_cmp_eq_f32_e32 vcc_lo, 0, v9
	v_cmp_eq_f32_e64 s2, 0, v10
	s_delay_alu instid0(VALU_DEP_1)
	s_and_b32 s4, vcc_lo, s2
	s_mov_b32 s2, -1
	s_and_saveexec_b32 s3, s4
; %bb.6:
	v_cmp_neq_f32_e32 vcc_lo, 1.0, v11
	v_cmp_neq_f32_e64 s2, 0, v12
	s_delay_alu instid0(VALU_DEP_1) | instskip(NEXT) | instid1(SALU_CYCLE_1)
	s_or_b32 s2, vcc_lo, s2
	s_or_not1_b32 s2, s2, exec_lo
; %bb.7:
	s_or_b32 exec_lo, exec_lo, s3
	s_and_saveexec_b32 s3, s2
	s_cbranch_execz .LBB108_29
; %bb.8:
	s_load_b64 s[2:3], s[0:1], 0x0
	v_lshrrev_b32_e32 v1, 6, v0
	s_delay_alu instid0(VALU_DEP_1) | instskip(SKIP_1) | instid1(VALU_DEP_1)
	v_lshl_or_b32 v1, s15, 1, v1
	s_waitcnt lgkmcnt(0)
	v_cmp_gt_i32_e32 vcc_lo, s2, v1
	s_and_b32 exec_lo, exec_lo, vcc_lo
	s_cbranch_execz .LBB108_29
; %bb.9:
	s_load_b256 s[4:11], s[0:1], 0x10
	v_ashrrev_i32_e32 v2, 31, v1
	v_and_b32_e32 v0, 63, v0
	s_cmp_lg_u32 s3, 0
	s_delay_alu instid0(VALU_DEP_2) | instskip(SKIP_1) | instid1(VALU_DEP_1)
	v_lshlrev_b64 v[2:3], 2, v[1:2]
	s_waitcnt lgkmcnt(0)
	v_add_co_u32 v2, vcc_lo, s4, v2
	s_delay_alu instid0(VALU_DEP_2) | instskip(SKIP_4) | instid1(VALU_DEP_2)
	v_add_co_ci_u32_e32 v3, vcc_lo, s5, v3, vcc_lo
	global_load_b64 v[2:3], v[2:3], off
	s_waitcnt vmcnt(0)
	v_subrev_nc_u32_e32 v2, s12, v2
	v_subrev_nc_u32_e32 v16, s12, v3
	v_add_nc_u32_e32 v2, v2, v0
	s_delay_alu instid0(VALU_DEP_1)
	v_cmp_lt_i32_e64 s2, v2, v16
	s_cbranch_scc0 .LBB108_18
; %bb.10:
	v_dual_mov_b32 v13, 0 :: v_dual_mov_b32 v18, 0
	v_dual_mov_b32 v17, 0 :: v_dual_mov_b32 v14, 0
	v_mov_b32_e32 v19, 0
	v_mov_b32_e32 v15, 0
	s_mov_b32 s3, 0
	s_and_saveexec_b32 s4, s2
	s_cbranch_execz .LBB108_14
; %bb.11:
	v_mad_u64_u32 v[3:4], null, v2, 24, 23
	v_dual_mov_b32 v6, 0 :: v_dual_mov_b32 v7, v2
	v_dual_mov_b32 v13, 0 :: v_dual_mov_b32 v18, 0
	;; [unrolled: 1-line block ×3, first 2 shown]
	v_mov_b32_e32 v19, 0
	v_mov_b32_e32 v15, 0
	s_mov_b32 s5, 0
.LBB108_12:                             ; =>This Inner Loop Header: Depth=1
	v_ashrrev_i32_e32 v8, 31, v7
	s_delay_alu instid0(VALU_DEP_1) | instskip(NEXT) | instid1(VALU_DEP_1)
	v_lshlrev_b64 v[4:5], 2, v[7:8]
	v_add_co_u32 v4, vcc_lo, s6, v4
	s_delay_alu instid0(VALU_DEP_2) | instskip(SKIP_3) | instid1(VALU_DEP_2)
	v_add_co_ci_u32_e32 v5, vcc_lo, s7, v5, vcc_lo
	global_load_b32 v8, v[4:5], off
	v_subrev_nc_u32_e32 v5, 23, v3
	v_mov_b32_e32 v4, v6
	v_lshlrev_b64 v[20:21], 3, v[5:6]
	v_add_nc_u32_e32 v5, -15, v3
	s_delay_alu instid0(VALU_DEP_3) | instskip(NEXT) | instid1(VALU_DEP_2)
	v_lshlrev_b64 v[22:23], 3, v[3:4]
	v_lshlrev_b64 v[28:29], 3, v[5:6]
	s_delay_alu instid0(VALU_DEP_4) | instskip(SKIP_1) | instid1(VALU_DEP_4)
	v_add_co_u32 v32, vcc_lo, s8, v20
	v_add_co_ci_u32_e32 v33, vcc_lo, s9, v21, vcc_lo
	v_add_co_u32 v52, vcc_lo, s8, v22
	v_add_co_ci_u32_e32 v53, vcc_lo, s9, v23, vcc_lo
	v_add_co_u32 v40, vcc_lo, s8, v28
	s_clause 0x1
	global_load_b128 v[20:23], v[32:33], off offset:48
	global_load_b128 v[24:27], v[32:33], off offset:32
	v_add_co_ci_u32_e32 v41, vcc_lo, s9, v29, vcc_lo
	s_clause 0x1
	global_load_b128 v[28:31], v[32:33], off offset:16
	global_load_b128 v[32:35], v[32:33], off
	v_add_nc_u32_e32 v5, -14, v3
	global_load_b64 v[54:55], v[40:41], off
	v_lshlrev_b64 v[38:39], 3, v[5:6]
	v_add_nc_u32_e32 v5, -13, v3
	s_delay_alu instid0(VALU_DEP_1) | instskip(NEXT) | instid1(VALU_DEP_3)
	v_lshlrev_b64 v[42:43], 3, v[5:6]
	v_add_co_u32 v38, vcc_lo, s8, v38
	s_delay_alu instid0(VALU_DEP_4) | instskip(SKIP_1) | instid1(VALU_DEP_4)
	v_add_co_ci_u32_e32 v39, vcc_lo, s9, v39, vcc_lo
	v_add_nc_u32_e32 v5, -12, v3
	v_add_co_u32 v42, vcc_lo, s8, v42
	v_add_co_ci_u32_e32 v43, vcc_lo, s9, v43, vcc_lo
	s_clause 0x1
	global_load_b64 v[58:59], v[42:43], off
	global_load_b64 v[56:57], v[38:39], off
	v_lshlrev_b64 v[40:41], 3, v[5:6]
	v_add_nc_u32_e32 v5, -11, v3
	s_delay_alu instid0(VALU_DEP_1) | instskip(SKIP_1) | instid1(VALU_DEP_4)
	v_lshlrev_b64 v[38:39], 3, v[5:6]
	v_add_nc_u32_e32 v5, -10, v3
	v_add_co_u32 v40, vcc_lo, s8, v40
	v_add_co_ci_u32_e32 v41, vcc_lo, s9, v41, vcc_lo
	s_delay_alu instid0(VALU_DEP_4) | instskip(NEXT) | instid1(VALU_DEP_4)
	v_add_co_u32 v38, vcc_lo, s8, v38
	v_lshlrev_b64 v[42:43], 3, v[5:6]
	v_add_nc_u32_e32 v5, -9, v3
	v_add_co_ci_u32_e32 v39, vcc_lo, s9, v39, vcc_lo
	s_clause 0x1
	global_load_b64 v[60:61], v[40:41], off
	global_load_b64 v[62:63], v[38:39], off
	v_lshlrev_b64 v[40:41], 3, v[5:6]
	v_add_nc_u32_e32 v5, -8, v3
	v_add_co_u32 v38, vcc_lo, s8, v42
	v_add_co_ci_u32_e32 v39, vcc_lo, s9, v43, vcc_lo
	s_delay_alu instid0(VALU_DEP_3) | instskip(SKIP_3) | instid1(VALU_DEP_3)
	v_lshlrev_b64 v[42:43], 3, v[5:6]
	v_add_nc_u32_e32 v5, -7, v3
	v_add_co_u32 v40, vcc_lo, s8, v40
	v_add_co_ci_u32_e32 v41, vcc_lo, s9, v41, vcc_lo
	v_lshlrev_b64 v[44:45], 3, v[5:6]
	v_add_nc_u32_e32 v5, -6, v3
	v_add_co_u32 v46, vcc_lo, s8, v42
	v_add_co_ci_u32_e32 v47, vcc_lo, s9, v43, vcc_lo
	s_delay_alu instid0(VALU_DEP_3)
	v_lshlrev_b64 v[48:49], 3, v[5:6]
	s_clause 0x1
	global_load_b64 v[64:65], v[38:39], off
	global_load_b64 v[66:67], v[40:41], off
	s_waitcnt vmcnt(11)
	v_subrev_nc_u32_e32 v4, s12, v8
	s_delay_alu instid0(VALU_DEP_1) | instskip(NEXT) | instid1(VALU_DEP_1)
	v_dual_mov_b32 v37, v6 :: v_dual_lshlrev_b32 v36, 3, v4
	v_lshlrev_b64 v[4:5], 3, v[36:37]
	s_delay_alu instid0(VALU_DEP_1) | instskip(NEXT) | instid1(VALU_DEP_2)
	v_add_co_u32 v50, vcc_lo, s10, v4
	v_add_co_ci_u32_e32 v51, vcc_lo, s11, v5, vcc_lo
	v_add_co_u32 v44, vcc_lo, s8, v44
	v_add_co_ci_u32_e32 v45, vcc_lo, s9, v45, vcc_lo
	s_clause 0x1
	global_load_b128 v[36:39], v[50:51], off
	global_load_b128 v[40:43], v[50:51], off offset:16
	s_clause 0x1
	global_load_b64 v[68:69], v[46:47], off
	global_load_b64 v[70:71], v[44:45], off
	v_add_co_u32 v44, vcc_lo, s8, v48
	v_add_co_ci_u32_e32 v45, vcc_lo, s9, v49, vcc_lo
	global_load_b64 v[74:75], v[44:45], off
	s_waitcnt vmcnt(4)
	v_fmac_f32_e32 v14, v29, v36
	v_fmac_f32_e32 v18, v28, v36
	s_delay_alu instid0(VALU_DEP_2) | instskip(NEXT) | instid1(VALU_DEP_2)
	v_fmac_f32_e32 v14, v28, v37
	v_fma_f32 v18, -v29, v37, v18
	s_delay_alu instid0(VALU_DEP_2) | instskip(NEXT) | instid1(VALU_DEP_2)
	v_dual_fmac_f32 v14, v27, v38 :: v_dual_fmac_f32 v17, v32, v36
	v_fmac_f32_e32 v18, v26, v38
	s_delay_alu instid0(VALU_DEP_2) | instskip(NEXT) | instid1(VALU_DEP_3)
	v_fmac_f32_e32 v14, v26, v39
	v_fma_f32 v8, -v33, v37, v17
	s_delay_alu instid0(VALU_DEP_3) | instskip(SKIP_1) | instid1(VALU_DEP_3)
	v_fma_f32 v18, -v27, v39, v18
	s_waitcnt vmcnt(3)
	v_dual_fmac_f32 v14, v55, v40 :: v_dual_add_nc_u32 v5, -5, v3
	s_delay_alu instid0(VALU_DEP_3) | instskip(NEXT) | instid1(VALU_DEP_3)
	v_fmac_f32_e32 v8, v30, v38
	v_fmac_f32_e32 v18, v54, v40
	s_delay_alu instid0(VALU_DEP_3) | instskip(NEXT) | instid1(VALU_DEP_4)
	v_fmac_f32_e32 v14, v54, v41
	v_lshlrev_b64 v[46:47], 3, v[5:6]
	s_delay_alu instid0(VALU_DEP_4) | instskip(NEXT) | instid1(VALU_DEP_4)
	v_fma_f32 v8, -v31, v39, v8
	v_fma_f32 v18, -v55, v41, v18
	s_delay_alu instid0(VALU_DEP_4) | instskip(SKIP_3) | instid1(VALU_DEP_4)
	v_fmac_f32_e32 v14, v61, v42
	v_fmac_f32_e32 v13, v33, v36
	v_add_co_u32 v46, vcc_lo, s8, v46
	v_add_co_ci_u32_e32 v47, vcc_lo, s9, v47, vcc_lo
	v_fmac_f32_e32 v14, v60, v43
	v_fmac_f32_e32 v8, v20, v40
	v_fmac_f32_e32 v18, v60, v42
	global_load_b64 v[78:79], v[46:47], off
	s_clause 0x1
	global_load_b128 v[44:47], v[50:51], off offset:32
	global_load_b128 v[48:51], v[50:51], off offset:48
	v_fma_f32 v8, -v21, v41, v8
	v_add_nc_u32_e32 v5, -4, v3
	v_fma_f32 v18, -v61, v43, v18
	s_delay_alu instid0(VALU_DEP_3) | instskip(NEXT) | instid1(VALU_DEP_3)
	v_dual_fmac_f32 v8, v56, v42 :: v_dual_add_nc_u32 v7, 64, v7
	v_lshlrev_b64 v[72:73], 3, v[5:6]
	v_add_nc_u32_e32 v5, -3, v3
	s_delay_alu instid0(VALU_DEP_3) | instskip(NEXT) | instid1(VALU_DEP_2)
	v_fma_f32 v8, -v57, v43, v8
	v_lshlrev_b64 v[76:77], 3, v[5:6]
	v_add_nc_u32_e32 v5, -2, v3
	v_add_co_u32 v72, vcc_lo, s8, v72
	v_add_co_ci_u32_e32 v73, vcc_lo, s9, v73, vcc_lo
	s_delay_alu instid0(VALU_DEP_3)
	v_lshlrev_b64 v[80:81], 3, v[5:6]
	v_add_nc_u32_e32 v5, -1, v3
	v_add_co_u32 v76, vcc_lo, s8, v76
	v_add_co_ci_u32_e32 v77, vcc_lo, s9, v77, vcc_lo
	global_load_b64 v[72:73], v[72:73], off
	v_add_co_u32 v80, vcc_lo, s8, v80
	global_load_b64 v[76:77], v[76:77], off
	v_add_co_ci_u32_e32 v81, vcc_lo, s9, v81, vcc_lo
	s_waitcnt vmcnt(3)
	v_dual_fmac_f32 v14, v67, v44 :: v_dual_add_nc_u32 v3, 0x600, v3
	v_fmac_f32_e32 v8, v62, v44
	v_lshlrev_b64 v[4:5], 3, v[5:6]
	v_fmac_f32_e32 v15, v35, v36
	v_fmac_f32_e32 v18, v66, v44
	;; [unrolled: 1-line block ×3, first 2 shown]
	v_fma_f32 v8, -v63, v45, v8
	v_fmac_f32_e32 v19, v34, v36
	v_add_co_u32 v4, vcc_lo, s8, v4
	v_add_co_ci_u32_e32 v5, vcc_lo, s9, v5, vcc_lo
	s_delay_alu instid0(VALU_DEP_4)
	v_fmac_f32_e32 v8, v68, v46
	s_clause 0x2
	global_load_b64 v[80:81], v[80:81], off
	global_load_b64 v[4:5], v[4:5], off
	;; [unrolled: 1-line block ×3, first 2 shown]
	v_dual_fmac_f32 v15, v34, v37 :: v_dual_fmac_f32 v14, v75, v46
	v_fma_f32 v18, -v67, v45, v18
	v_fmac_f32_e32 v13, v32, v37
	v_fma_f32 v17, -v35, v37, v19
	v_fma_f32 v8, -v69, v47, v8
	v_fmac_f32_e32 v14, v74, v47
	v_fmac_f32_e32 v18, v74, v46
	;; [unrolled: 1-line block ×3, first 2 shown]
	s_waitcnt vmcnt(5)
	v_dual_fmac_f32 v17, v24, v38 :: v_dual_fmac_f32 v8, v78, v48
	v_cmp_ge_i32_e32 vcc_lo, v7, v16
	v_fma_f32 v18, -v75, v47, v18
	v_fmac_f32_e32 v15, v25, v38
	s_waitcnt vmcnt(3)
	v_dual_fmac_f32 v13, v30, v39 :: v_dual_fmac_f32 v14, v77, v48
	v_fma_f32 v17, -v25, v39, v17
	v_fmac_f32_e32 v18, v76, v48
	v_fma_f32 v8, -v79, v49, v8
	s_delay_alu instid0(VALU_DEP_4) | instskip(SKIP_3) | instid1(VALU_DEP_4)
	v_dual_fmac_f32 v13, v21, v40 :: v_dual_fmac_f32 v14, v76, v49
	v_fmac_f32_e32 v15, v24, v39
	v_fmac_f32_e32 v17, v22, v40
	v_fma_f32 v18, -v77, v49, v18
	v_fmac_f32_e32 v13, v20, v41
	s_or_b32 s5, vcc_lo, s5
	s_delay_alu instid0(VALU_DEP_1) | instskip(NEXT) | instid1(VALU_DEP_1)
	v_fmac_f32_e32 v13, v57, v42
	v_fmac_f32_e32 v13, v56, v43
	s_delay_alu instid0(VALU_DEP_1) | instskip(NEXT) | instid1(VALU_DEP_1)
	v_fmac_f32_e32 v13, v63, v44
	v_fmac_f32_e32 v13, v62, v45
	;; [unrolled: 3-line block ×3, first 2 shown]
	s_delay_alu instid0(VALU_DEP_1) | instskip(SKIP_1) | instid1(VALU_DEP_1)
	v_fmac_f32_e32 v13, v79, v48
	s_waitcnt vmcnt(2)
	v_dual_fmac_f32 v13, v78, v49 :: v_dual_fmac_f32 v8, v80, v50
	v_fma_f32 v17, -v23, v41, v17
	s_waitcnt vmcnt(0)
	v_dual_fmac_f32 v14, v53, v50 :: v_dual_fmac_f32 v15, v23, v40
	v_fmac_f32_e32 v18, v52, v50
	v_fmac_f32_e32 v13, v81, v50
	s_delay_alu instid0(VALU_DEP_3) | instskip(NEXT) | instid1(VALU_DEP_4)
	v_dual_fmac_f32 v17, v58, v42 :: v_dual_fmac_f32 v14, v52, v51
	v_fmac_f32_e32 v15, v22, v41
	s_delay_alu instid0(VALU_DEP_4) | instskip(NEXT) | instid1(VALU_DEP_4)
	v_fma_f32 v18, -v53, v51, v18
	v_fmac_f32_e32 v13, v80, v51
	s_delay_alu instid0(VALU_DEP_4) | instskip(NEXT) | instid1(VALU_DEP_4)
	v_fma_f32 v17, -v59, v43, v17
	v_fmac_f32_e32 v15, v59, v42
	s_delay_alu instid0(VALU_DEP_2) | instskip(NEXT) | instid1(VALU_DEP_2)
	v_fmac_f32_e32 v17, v64, v44
	v_fmac_f32_e32 v15, v58, v43
	s_delay_alu instid0(VALU_DEP_2) | instskip(NEXT) | instid1(VALU_DEP_2)
	v_fma_f32 v17, -v65, v45, v17
	v_fmac_f32_e32 v15, v65, v44
	s_delay_alu instid0(VALU_DEP_2) | instskip(NEXT) | instid1(VALU_DEP_2)
	v_fmac_f32_e32 v17, v70, v46
	v_fmac_f32_e32 v15, v64, v45
	s_delay_alu instid0(VALU_DEP_2) | instskip(NEXT) | instid1(VALU_DEP_2)
	v_fma_f32 v17, -v71, v47, v17
	v_fmac_f32_e32 v15, v71, v46
	s_delay_alu instid0(VALU_DEP_2) | instskip(NEXT) | instid1(VALU_DEP_2)
	v_fmac_f32_e32 v17, v72, v48
	v_fmac_f32_e32 v15, v70, v47
	s_delay_alu instid0(VALU_DEP_2) | instskip(SKIP_1) | instid1(VALU_DEP_3)
	v_fma_f32 v19, -v73, v49, v17
	v_fma_f32 v17, -v81, v51, v8
	v_fmac_f32_e32 v15, v73, v48
	s_delay_alu instid0(VALU_DEP_3) | instskip(NEXT) | instid1(VALU_DEP_2)
	v_fmac_f32_e32 v19, v4, v50
	v_fmac_f32_e32 v15, v72, v49
	s_delay_alu instid0(VALU_DEP_2) | instskip(NEXT) | instid1(VALU_DEP_2)
	v_fma_f32 v19, -v5, v51, v19
	v_fmac_f32_e32 v15, v5, v50
	s_delay_alu instid0(VALU_DEP_1)
	v_fmac_f32_e32 v15, v4, v51
	s_and_not1_b32 exec_lo, exec_lo, s5
	s_cbranch_execnz .LBB108_12
; %bb.13:
	s_or_b32 exec_lo, exec_lo, s5
.LBB108_14:
	s_delay_alu instid0(SALU_CYCLE_1) | instskip(NEXT) | instid1(SALU_CYCLE_1)
	s_or_b32 exec_lo, exec_lo, s4
	s_and_not1_b32 vcc_lo, exec_lo, s3
	s_cbranch_vccz .LBB108_19
	s_branch .LBB108_24
.LBB108_15:
	v_dual_mov_b32 v1, s4 :: v_dual_mov_b32 v2, s5
	flat_load_b32 v9, v[1:2]
	v_cndmask_b32_e64 v1, 0, 1, s6
	v_mov_b32_e32 v10, s5
	s_and_not1_b32 vcc_lo, exec_lo, s6
	s_cbranch_vccnz .LBB108_2
.LBB108_16:
	v_dual_mov_b32 v2, s4 :: v_dual_mov_b32 v3, s5
	flat_load_b32 v10, v[2:3] offset:4
	v_cmp_ne_u32_e32 vcc_lo, 1, v1
	v_mov_b32_e32 v11, s2
	s_cbranch_vccnz .LBB108_3
.LBB108_17:
	v_dual_mov_b32 v2, s2 :: v_dual_mov_b32 v3, s3
	flat_load_b32 v11, v[2:3]
	v_cmp_ne_u32_e32 vcc_lo, 1, v1
	v_mov_b32_e32 v12, s3
	s_cbranch_vccz .LBB108_4
	s_branch .LBB108_5
.LBB108_18:
                                        ; implicit-def: $vgpr13
                                        ; implicit-def: $vgpr17
                                        ; implicit-def: $vgpr18
                                        ; implicit-def: $vgpr14
                                        ; implicit-def: $vgpr19
                                        ; implicit-def: $vgpr15
.LBB108_19:
	v_dual_mov_b32 v13, 0 :: v_dual_mov_b32 v18, 0
	v_dual_mov_b32 v17, 0 :: v_dual_mov_b32 v14, 0
	v_mov_b32_e32 v19, 0
	v_mov_b32_e32 v15, 0
	s_and_saveexec_b32 s3, s2
	s_cbranch_execz .LBB108_23
; %bb.20:
	v_mad_u64_u32 v[4:5], null, v2, 24, 23
	v_dual_mov_b32 v7, 0 :: v_dual_mov_b32 v18, 0
	v_dual_mov_b32 v13, 0 :: v_dual_mov_b32 v14, 0
	v_mov_b32_e32 v17, 0
	v_mov_b32_e32 v19, 0
	;; [unrolled: 1-line block ×3, first 2 shown]
	s_mov_b32 s4, 0
.LBB108_21:                             ; =>This Inner Loop Header: Depth=1
	v_ashrrev_i32_e32 v3, 31, v2
	v_dual_mov_b32 v37, v7 :: v_dual_add_nc_u32 v20, -15, v4
	v_dual_mov_b32 v21, v7 :: v_dual_add_nc_u32 v22, -7, v4
	s_delay_alu instid0(VALU_DEP_3) | instskip(SKIP_1) | instid1(VALU_DEP_3)
	v_lshlrev_b64 v[5:6], 2, v[2:3]
	v_mov_b32_e32 v23, v7
	v_lshlrev_b64 v[20:21], 3, v[20:21]
	s_delay_alu instid0(VALU_DEP_3) | instskip(NEXT) | instid1(VALU_DEP_4)
	v_add_co_u32 v5, vcc_lo, s6, v5
	v_add_co_ci_u32_e32 v6, vcc_lo, s7, v6, vcc_lo
	global_load_b32 v3, v[5:6], off
	v_subrev_nc_u32_e32 v6, 23, v4
	v_mov_b32_e32 v5, v7
	s_delay_alu instid0(VALU_DEP_2) | instskip(SKIP_2) | instid1(VALU_DEP_2)
	v_lshlrev_b64 v[24:25], 3, v[6:7]
	v_add_nc_u32_e32 v6, -14, v4
	v_lshlrev_b64 v[22:23], 3, v[22:23]
	v_lshlrev_b64 v[38:39], 3, v[6:7]
	v_add_nc_u32_e32 v6, -6, v4
	v_add_co_u32 v32, vcc_lo, s8, v24
	v_add_co_ci_u32_e32 v33, vcc_lo, s9, v25, vcc_lo
	v_lshlrev_b64 v[26:27], 3, v[4:5]
	v_add_co_u32 v40, vcc_lo, s8, v20
	v_add_co_ci_u32_e32 v41, vcc_lo, s9, v21, vcc_lo
	v_add_co_u32 v42, vcc_lo, s8, v22
	v_add_co_ci_u32_e32 v43, vcc_lo, s9, v23, vcc_lo
	;; [unrolled: 2-line block ×3, first 2 shown]
	v_lshlrev_b64 v[44:45], 3, v[6:7]
	s_clause 0x3
	global_load_b128 v[20:23], v[32:33], off offset:48
	global_load_b128 v[24:27], v[32:33], off offset:32
	;; [unrolled: 1-line block ×3, first 2 shown]
	global_load_b128 v[32:35], v[32:33], off
	v_add_nc_u32_e32 v6, -13, v4
	v_add_co_u32 v38, vcc_lo, s8, v38
	v_add_co_ci_u32_e32 v39, vcc_lo, s9, v39, vcc_lo
	s_clause 0x1
	global_load_b64 v[54:55], v[40:41], off
	global_load_b64 v[56:57], v[42:43], off
	v_lshlrev_b64 v[40:41], 3, v[6:7]
	v_add_nc_u32_e32 v6, -5, v4
	global_load_b64 v[58:59], v[38:39], off
	v_add_co_u32 v38, vcc_lo, s8, v44
	v_add_co_ci_u32_e32 v39, vcc_lo, s9, v45, vcc_lo
	v_add_co_u32 v40, vcc_lo, s8, v40
	v_lshlrev_b64 v[42:43], 3, v[6:7]
	v_add_nc_u32_e32 v6, -12, v4
	v_add_co_ci_u32_e32 v41, vcc_lo, s9, v41, vcc_lo
	s_clause 0x1
	global_load_b64 v[60:61], v[38:39], off
	global_load_b64 v[62:63], v[40:41], off
	v_lshlrev_b64 v[38:39], 3, v[6:7]
	v_add_nc_u32_e32 v6, -4, v4
	v_add_co_u32 v40, vcc_lo, s8, v42
	v_add_co_ci_u32_e32 v41, vcc_lo, s9, v43, vcc_lo
	s_delay_alu instid0(VALU_DEP_3)
	v_lshlrev_b64 v[42:43], 3, v[6:7]
	v_add_co_u32 v38, vcc_lo, s8, v38
	v_add_co_ci_u32_e32 v39, vcc_lo, s9, v39, vcc_lo
	global_load_b64 v[64:65], v[40:41], off
	v_add_co_u32 v46, vcc_lo, s8, v42
	global_load_b64 v[66:67], v[38:39], off
	v_add_co_ci_u32_e32 v47, vcc_lo, s9, v43, vcc_lo
	s_waitcnt vmcnt(11)
	v_subrev_nc_u32_e32 v3, s12, v3
	s_delay_alu instid0(VALU_DEP_1) | instskip(NEXT) | instid1(VALU_DEP_1)
	v_lshlrev_b32_e32 v36, 3, v3
	v_lshlrev_b64 v[36:37], 3, v[36:37]
	s_delay_alu instid0(VALU_DEP_1) | instskip(NEXT) | instid1(VALU_DEP_1)
	v_add_co_u32 v50, s2, s10, v36
	v_add_co_ci_u32_e64 v51, s2, s11, v37, s2
	s_clause 0x1
	global_load_b128 v[36:39], v[50:51], off
	global_load_b128 v[40:43], v[50:51], off offset:16
	global_load_b64 v[68:69], v[46:47], off
	s_waitcnt vmcnt(2)
	v_dual_fmac_f32 v17, v32, v36 :: v_dual_add_nc_u32 v2, 64, v2
	v_fmac_f32_e32 v14, v57, v36
	v_fmac_f32_e32 v13, v33, v36
	;; [unrolled: 1-line block ×3, first 2 shown]
	s_delay_alu instid0(VALU_DEP_4) | instskip(NEXT) | instid1(VALU_DEP_4)
	v_fma_f32 v3, -v33, v37, v17
	v_dual_fmac_f32 v14, v56, v37 :: v_dual_fmac_f32 v19, v54, v36
	s_delay_alu instid0(VALU_DEP_4) | instskip(NEXT) | instid1(VALU_DEP_4)
	v_fmac_f32_e32 v13, v32, v37
	v_fma_f32 v17, -v57, v37, v18
	s_delay_alu instid0(VALU_DEP_4) | instskip(NEXT) | instid1(VALU_DEP_4)
	v_fmac_f32_e32 v3, v34, v38
	v_fmac_f32_e32 v14, v61, v38
	v_fma_f32 v8, -v55, v37, v19
	v_fmac_f32_e32 v15, v55, v36
	v_fmac_f32_e32 v13, v35, v38
	v_fma_f32 v3, -v35, v39, v3
	v_fmac_f32_e32 v17, v60, v38
	v_fmac_f32_e32 v8, v58, v38
	v_dual_fmac_f32 v15, v54, v37 :: v_dual_add_nc_u32 v6, -11, v4
	s_waitcnt vmcnt(1)
	v_fmac_f32_e32 v3, v28, v40
	v_fmac_f32_e32 v13, v34, v39
	s_delay_alu instid0(VALU_DEP_3)
	v_dual_fmac_f32 v14, v60, v39 :: v_dual_fmac_f32 v15, v59, v38
	v_lshlrev_b64 v[44:45], 3, v[6:7]
	v_add_nc_u32_e32 v6, -3, v4
	v_fma_f32 v3, -v29, v41, v3
	v_fma_f32 v8, -v59, v39, v8
	;; [unrolled: 1-line block ×3, first 2 shown]
	v_fmac_f32_e32 v13, v29, v40
	v_add_co_u32 v44, vcc_lo, s8, v44
	v_lshlrev_b64 v[48:49], 3, v[6:7]
	v_add_nc_u32_e32 v6, -10, v4
	v_add_co_ci_u32_e32 v45, vcc_lo, s9, v45, vcc_lo
	v_dual_fmac_f32 v15, v58, v39 :: v_dual_fmac_f32 v14, v65, v40
	v_fmac_f32_e32 v13, v28, v41
	global_load_b64 v[70:71], v[44:45], off
	v_lshlrev_b64 v[46:47], 3, v[6:7]
	v_add_nc_u32_e32 v6, -2, v4
	v_add_co_u32 v44, vcc_lo, s8, v48
	v_add_co_ci_u32_e32 v45, vcc_lo, s9, v49, vcc_lo
	s_delay_alu instid0(VALU_DEP_3)
	v_lshlrev_b64 v[48:49], 3, v[6:7]
	v_add_co_u32 v46, vcc_lo, s8, v46
	v_add_co_ci_u32_e32 v47, vcc_lo, s9, v47, vcc_lo
	global_load_b64 v[72:73], v[44:45], off
	v_add_co_u32 v78, vcc_lo, s8, v48
	global_load_b64 v[76:77], v[46:47], off
	v_add_co_ci_u32_e32 v79, vcc_lo, s9, v49, vcc_lo
	s_clause 0x1
	global_load_b128 v[44:47], v[50:51], off offset:32
	global_load_b128 v[48:51], v[50:51], off offset:48
	v_add_nc_u32_e32 v6, -9, v4
	v_dual_fmac_f32 v15, v63, v40 :: v_dual_fmac_f32 v14, v64, v41
	global_load_b64 v[78:79], v[78:79], off
	v_fmac_f32_e32 v3, v30, v42
	v_lshlrev_b64 v[74:75], 3, v[6:7]
	v_dual_fmac_f32 v15, v62, v41 :: v_dual_add_nc_u32 v6, -1, v4
	v_fmac_f32_e32 v13, v31, v42
	s_delay_alu instid0(VALU_DEP_4) | instskip(NEXT) | instid1(VALU_DEP_3)
	v_fma_f32 v3, -v31, v43, v3
	v_lshlrev_b64 v[80:81], 3, v[6:7]
	v_add_co_u32 v74, vcc_lo, s8, v74
	v_add_co_ci_u32_e32 v75, vcc_lo, s9, v75, vcc_lo
	v_add_nc_u32_e32 v6, -8, v4
	s_delay_alu instid0(VALU_DEP_4)
	v_add_co_u32 v80, vcc_lo, s8, v80
	v_add_co_ci_u32_e32 v81, vcc_lo, s9, v81, vcc_lo
	s_clause 0x1
	global_load_b64 v[74:75], v[74:75], off
	global_load_b64 v[80:81], v[80:81], off
	v_lshlrev_b64 v[5:6], 3, v[6:7]
	v_dual_fmac_f32 v15, v67, v42 :: v_dual_add_nc_u32 v4, 0x600, v4
	s_waitcnt vmcnt(8)
	v_dual_fmac_f32 v14, v69, v42 :: v_dual_fmac_f32 v13, v30, v43
	s_delay_alu instid0(VALU_DEP_3) | instskip(NEXT) | instid1(VALU_DEP_3)
	v_add_co_u32 v5, vcc_lo, s8, v5
	v_fmac_f32_e32 v15, v66, v43
	v_add_co_ci_u32_e32 v6, vcc_lo, s9, v6, vcc_lo
	s_clause 0x1
	global_load_b64 v[5:6], v[5:6], off
	global_load_b64 v[52:53], v[52:53], off
	v_fmac_f32_e32 v14, v68, v43
	v_cmp_ge_i32_e32 vcc_lo, v2, v16
	s_or_b32 s4, vcc_lo, s4
	s_waitcnt vmcnt(6)
	v_fmac_f32_e32 v13, v25, v44
	v_fmac_f32_e32 v8, v62, v40
	;; [unrolled: 1-line block ×4, first 2 shown]
	s_delay_alu instid0(VALU_DEP_4) | instskip(NEXT) | instid1(VALU_DEP_4)
	v_fmac_f32_e32 v13, v24, v45
	v_fma_f32 v8, -v63, v41, v8
	s_delay_alu instid0(VALU_DEP_4)
	v_fmac_f32_e32 v14, v72, v45
	v_fmac_f32_e32 v17, v64, v40
	;; [unrolled: 1-line block ×5, first 2 shown]
	s_waitcnt vmcnt(4)
	v_fmac_f32_e32 v14, v79, v46
	v_fma_f32 v17, -v65, v41, v17
	v_fma_f32 v3, -v25, v45, v3
	v_fmac_f32_e32 v15, v70, v45
	v_fma_f32 v8, -v67, v43, v8
	s_delay_alu instid0(VALU_DEP_4) | instskip(NEXT) | instid1(VALU_DEP_4)
	v_dual_fmac_f32 v14, v78, v47 :: v_dual_fmac_f32 v17, v68, v42
	v_fmac_f32_e32 v3, v26, v46
	v_fmac_f32_e32 v13, v26, v47
	s_delay_alu instid0(VALU_DEP_4) | instskip(NEXT) | instid1(VALU_DEP_4)
	v_fmac_f32_e32 v8, v70, v44
	v_fma_f32 v17, -v69, v43, v17
	s_waitcnt vmcnt(2)
	v_fmac_f32_e32 v14, v81, v48
	s_delay_alu instid0(VALU_DEP_3) | instskip(SKIP_2) | instid1(VALU_DEP_4)
	v_fma_f32 v8, -v71, v45, v8
	v_fma_f32 v3, -v27, v47, v3
	v_fmac_f32_e32 v17, v72, v44
	v_fmac_f32_e32 v14, v80, v49
	s_delay_alu instid0(VALU_DEP_4) | instskip(NEXT) | instid1(VALU_DEP_4)
	v_fmac_f32_e32 v8, v76, v46
	v_fmac_f32_e32 v3, v20, v48
	s_delay_alu instid0(VALU_DEP_4) | instskip(NEXT) | instid1(VALU_DEP_3)
	v_fma_f32 v17, -v73, v45, v17
	v_fma_f32 v8, -v77, v47, v8
	v_fmac_f32_e32 v15, v77, v46
	s_delay_alu instid0(VALU_DEP_3)
	v_fmac_f32_e32 v17, v78, v46
	s_waitcnt vmcnt(0)
	v_fmac_f32_e32 v14, v53, v50
	v_fmac_f32_e32 v8, v74, v48
	v_fma_f32 v3, -v21, v49, v3
	v_fma_f32 v17, -v79, v47, v17
	s_delay_alu instid0(VALU_DEP_4) | instskip(NEXT) | instid1(VALU_DEP_4)
	v_fmac_f32_e32 v14, v52, v51
	v_fma_f32 v8, -v75, v49, v8
	v_fmac_f32_e32 v15, v76, v47
	s_delay_alu instid0(VALU_DEP_4) | instskip(SKIP_1) | instid1(VALU_DEP_3)
	v_fmac_f32_e32 v17, v80, v48
	v_fmac_f32_e32 v3, v22, v50
	v_dual_fmac_f32 v8, v5, v50 :: v_dual_fmac_f32 v15, v75, v48
	s_delay_alu instid0(VALU_DEP_3) | instskip(SKIP_1) | instid1(VALU_DEP_4)
	v_fma_f32 v18, -v81, v49, v17
	v_fmac_f32_e32 v13, v21, v48
	v_fma_f32 v17, -v23, v51, v3
	s_delay_alu instid0(VALU_DEP_4) | instskip(NEXT) | instid1(VALU_DEP_4)
	v_fma_f32 v19, -v6, v51, v8
	v_dual_fmac_f32 v15, v74, v49 :: v_dual_fmac_f32 v18, v52, v50
	s_delay_alu instid0(VALU_DEP_4) | instskip(NEXT) | instid1(VALU_DEP_2)
	v_fmac_f32_e32 v13, v20, v49
	v_fmac_f32_e32 v15, v6, v50
	s_delay_alu instid0(VALU_DEP_3) | instskip(NEXT) | instid1(VALU_DEP_3)
	v_fma_f32 v18, -v53, v51, v18
	v_fmac_f32_e32 v13, v23, v50
	s_delay_alu instid0(VALU_DEP_3) | instskip(NEXT) | instid1(VALU_DEP_2)
	v_fmac_f32_e32 v15, v5, v51
	v_fmac_f32_e32 v13, v22, v51
	s_and_not1_b32 exec_lo, exec_lo, s4
	s_cbranch_execnz .LBB108_21
; %bb.22:
	s_or_b32 exec_lo, exec_lo, s4
.LBB108_23:
	s_delay_alu instid0(SALU_CYCLE_1)
	s_or_b32 exec_lo, exec_lo, s3
.LBB108_24:
	v_mbcnt_lo_u32_b32 v2, -1, 0
	s_delay_alu instid0(VALU_DEP_1) | instskip(SKIP_1) | instid1(VALU_DEP_2)
	v_or_b32_e32 v3, 32, v2
	v_xor_b32_e32 v16, 16, v2
	v_cmp_gt_i32_e32 vcc_lo, 32, v3
	v_cndmask_b32_e32 v3, v2, v3, vcc_lo
	s_delay_alu instid0(VALU_DEP_3) | instskip(SKIP_1) | instid1(VALU_DEP_1)
	v_cmp_gt_i32_e32 vcc_lo, 32, v16
	v_cndmask_b32_e32 v16, v2, v16, vcc_lo
	v_lshlrev_b32_e32 v16, 2, v16
	s_delay_alu instid0(VALU_DEP_4)
	v_lshlrev_b32_e32 v3, 2, v3
	ds_bpermute_b32 v4, v3, v17
	s_waitcnt lgkmcnt(0)
	v_add_f32_e32 v4, v17, v4
	ds_bpermute_b32 v5, v3, v13
	ds_bpermute_b32 v6, v3, v19
	;; [unrolled: 1-line block ×5, first 2 shown]
	s_waitcnt lgkmcnt(3)
	v_dual_add_f32 v5, v13, v5 :: v_dual_add_f32 v6, v19, v6
	s_waitcnt lgkmcnt(1)
	v_dual_add_f32 v7, v15, v7 :: v_dual_add_f32 v8, v18, v8
	s_waitcnt lgkmcnt(0)
	v_add_f32_e32 v3, v14, v3
	ds_bpermute_b32 v13, v16, v4
	ds_bpermute_b32 v14, v16, v5
	;; [unrolled: 1-line block ×4, first 2 shown]
	v_xor_b32_e32 v19, 8, v2
	ds_bpermute_b32 v17, v16, v7
	ds_bpermute_b32 v16, v16, v3
	v_cmp_gt_i32_e32 vcc_lo, 32, v19
	s_waitcnt lgkmcnt(5)
	v_dual_cndmask_b32 v19, v2, v19 :: v_dual_add_f32 v4, v4, v13
	s_delay_alu instid0(VALU_DEP_1)
	v_lshlrev_b32_e32 v19, 2, v19
	s_waitcnt lgkmcnt(3)
	v_dual_add_f32 v5, v5, v14 :: v_dual_add_f32 v6, v6, v15
	s_waitcnt lgkmcnt(2)
	v_add_f32_e32 v8, v8, v18
	ds_bpermute_b32 v13, v19, v4
	s_waitcnt lgkmcnt(1)
	v_add_f32_e32 v3, v3, v16
	ds_bpermute_b32 v15, v19, v6
	v_add_f32_e32 v7, v7, v17
	ds_bpermute_b32 v17, v19, v8
	ds_bpermute_b32 v14, v19, v5
	s_waitcnt lgkmcnt(3)
	v_add_f32_e32 v4, v4, v13
	ds_bpermute_b32 v18, v19, v3
	s_waitcnt lgkmcnt(3)
	v_add_f32_e32 v6, v6, v15
	ds_bpermute_b32 v16, v19, v7
	v_xor_b32_e32 v19, 4, v2
	s_waitcnt lgkmcnt(3)
	v_add_f32_e32 v8, v8, v17
	s_delay_alu instid0(VALU_DEP_2) | instskip(SKIP_1) | instid1(VALU_DEP_1)
	v_cmp_gt_i32_e32 vcc_lo, 32, v19
	v_cndmask_b32_e32 v19, v2, v19, vcc_lo
	v_lshlrev_b32_e32 v19, 2, v19
	s_waitcnt lgkmcnt(1)
	v_add_f32_e32 v3, v3, v18
	ds_bpermute_b32 v13, v19, v4
	s_waitcnt lgkmcnt(0)
	v_add_f32_e32 v4, v4, v13
	ds_bpermute_b32 v15, v19, v6
	v_add_f32_e32 v5, v5, v14
	ds_bpermute_b32 v17, v19, v8
	;; [unrolled: 2-line block ×3, first 2 shown]
	s_waitcnt lgkmcnt(2)
	v_add_f32_e32 v6, v6, v15
	ds_bpermute_b32 v14, v19, v5
	s_waitcnt lgkmcnt(1)
	v_add_f32_e32 v15, v3, v18
	s_waitcnt lgkmcnt(0)
	v_dual_add_f32 v5, v5, v14 :: v_dual_add_f32 v14, v8, v17
	ds_bpermute_b32 v16, v19, v7
	v_xor_b32_e32 v19, 2, v2
	s_delay_alu instid0(VALU_DEP_1) | instskip(SKIP_3) | instid1(VALU_DEP_1)
	v_cmp_gt_i32_e32 vcc_lo, 32, v19
	s_waitcnt lgkmcnt(0)
	v_add_f32_e32 v13, v7, v16
	v_cndmask_b32_e32 v19, v2, v19, vcc_lo
	v_lshlrev_b32_e32 v19, 2, v19
	ds_bpermute_b32 v3, v19, v4
	ds_bpermute_b32 v7, v19, v5
	ds_bpermute_b32 v8, v19, v6
	ds_bpermute_b32 v16, v19, v13
	ds_bpermute_b32 v17, v19, v14
	ds_bpermute_b32 v18, v19, v15
	v_xor_b32_e32 v19, 1, v2
	s_delay_alu instid0(VALU_DEP_1) | instskip(SKIP_3) | instid1(VALU_DEP_2)
	v_cmp_gt_i32_e32 vcc_lo, 32, v19
	v_cndmask_b32_e32 v2, v2, v19, vcc_lo
	v_cmp_eq_u32_e32 vcc_lo, 63, v0
	s_waitcnt lgkmcnt(5)
	v_dual_add_f32 v2, v4, v3 :: v_dual_lshlrev_b32 v19, 2, v2
	s_waitcnt lgkmcnt(4)
	v_add_f32_e32 v5, v5, v7
	s_waitcnt lgkmcnt(0)
	v_dual_add_f32 v7, v6, v8 :: v_dual_add_f32 v4, v15, v18
	v_dual_add_f32 v8, v13, v16 :: v_dual_add_f32 v3, v14, v17
	ds_bpermute_b32 v6, v19, v2
	ds_bpermute_b32 v15, v19, v5
	;; [unrolled: 1-line block ×6, first 2 shown]
	s_and_b32 exec_lo, exec_lo, vcc_lo
	s_cbranch_execz .LBB108_29
; %bb.25:
	s_load_b64 s[2:3], s[0:1], 0x38
	v_cmp_eq_f32_e32 vcc_lo, 0, v11
	v_cmp_eq_f32_e64 s0, 0, v12
	s_waitcnt lgkmcnt(0)
	v_add_f32_e32 v0, v2, v6
	v_dual_add_f32 v6, v5, v15 :: v_dual_add_f32 v3, v3, v13
	v_dual_add_f32 v2, v7, v16 :: v_dual_add_f32 v5, v8, v17
	v_add_f32_e32 v4, v4, v14
	s_and_b32 s0, vcc_lo, s0
	s_delay_alu instid0(SALU_CYCLE_1) | instskip(NEXT) | instid1(SALU_CYCLE_1)
	s_and_saveexec_b32 s1, s0
	s_xor_b32 s0, exec_lo, s1
	s_cbranch_execz .LBB108_27
; %bb.26:
	v_lshl_add_u32 v7, v1, 1, v1
	v_mul_f32_e64 v11, v6, -v10
	v_mul_f32_e32 v12, v6, v9
	v_mul_f32_e64 v13, v5, -v10
	v_mul_f32_e32 v14, v5, v9
	v_ashrrev_i32_e32 v8, 31, v7
	v_fmac_f32_e32 v11, v9, v0
	v_mul_f32_e64 v5, v4, -v10
	v_dual_mul_f32 v6, v4, v9 :: v_dual_fmac_f32 v13, v9, v2
	s_delay_alu instid0(VALU_DEP_4) | instskip(NEXT) | instid1(VALU_DEP_3)
	v_lshlrev_b64 v[7:8], 3, v[7:8]
	v_dual_fmac_f32 v12, v10, v0 :: v_dual_fmac_f32 v5, v9, v3
	v_fmac_f32_e32 v14, v10, v2
	s_delay_alu instid0(VALU_DEP_4) | instskip(NEXT) | instid1(VALU_DEP_4)
	v_fmac_f32_e32 v6, v10, v3
                                        ; implicit-def: $vgpr9
                                        ; implicit-def: $vgpr10
                                        ; implicit-def: $vgpr2
                                        ; implicit-def: $vgpr3
                                        ; implicit-def: $vgpr4
	v_add_co_u32 v0, vcc_lo, s2, v7
	v_add_co_ci_u32_e32 v1, vcc_lo, s3, v8, vcc_lo
	s_clause 0x1
	global_store_b128 v[0:1], v[11:14], off
	global_store_b64 v[0:1], v[5:6], off offset:16
                                        ; implicit-def: $vgpr11
                                        ; implicit-def: $vgpr12
                                        ; implicit-def: $vgpr1
                                        ; implicit-def: $vgpr0
                                        ; implicit-def: $vgpr6
                                        ; implicit-def: $vgpr5
.LBB108_27:
	s_and_not1_saveexec_b32 s0, s0
	s_cbranch_execz .LBB108_29
; %bb.28:
	v_lshl_add_u32 v7, v1, 1, v1
	v_mul_f32_e64 v21, v5, -v10
	v_mul_f32_e64 v22, v4, -v10
	s_delay_alu instid0(VALU_DEP_3) | instskip(NEXT) | instid1(VALU_DEP_1)
	v_ashrrev_i32_e32 v8, 31, v7
	v_lshlrev_b64 v[7:8], 3, v[7:8]
	s_delay_alu instid0(VALU_DEP_1) | instskip(NEXT) | instid1(VALU_DEP_2)
	v_add_co_u32 v17, vcc_lo, s2, v7
	v_add_co_ci_u32_e32 v18, vcc_lo, s3, v8, vcc_lo
	v_mul_f32_e64 v7, v6, -v10
	v_mul_f32_e32 v6, v6, v9
	s_clause 0x1
	global_load_b128 v[13:16], v[17:18], off
	global_load_b64 v[19:20], v[17:18], off offset:16
	v_fmac_f32_e32 v7, v9, v0
	v_dual_mul_f32 v1, v4, v9 :: v_dual_fmac_f32 v6, v10, v0
	v_mul_f32_e32 v8, v5, v9
	v_fmac_f32_e32 v21, v9, v2
	s_delay_alu instid0(VALU_DEP_3) | instskip(SKIP_1) | instid1(VALU_DEP_3)
	v_fmac_f32_e32 v1, v10, v3
	s_waitcnt vmcnt(1)
	v_dual_fmac_f32 v8, v10, v2 :: v_dual_fmac_f32 v7, v11, v13
	v_fmac_f32_e32 v6, v12, v13
	s_waitcnt vmcnt(0)
	v_fmac_f32_e32 v1, v12, v19
	v_fmac_f32_e32 v21, v11, v15
	;; [unrolled: 1-line block ×3, first 2 shown]
	v_fma_f32 v5, -v12, v14, v7
	v_fmac_f32_e32 v6, v11, v14
	v_dual_fmac_f32 v22, v9, v3 :: v_dual_fmac_f32 v1, v11, v20
	v_fma_f32 v7, -v12, v16, v21
	v_fmac_f32_e32 v8, v11, v16
	s_delay_alu instid0(VALU_DEP_3) | instskip(NEXT) | instid1(VALU_DEP_1)
	v_fmac_f32_e32 v22, v11, v19
	v_fma_f32 v0, -v12, v20, v22
	s_clause 0x1
	global_store_b128 v[17:18], v[5:8], off
	global_store_b64 v[17:18], v[0:1], off offset:16
.LBB108_29:
	s_nop 0
	s_sendmsg sendmsg(MSG_DEALLOC_VGPRS)
	s_endpgm
	.section	.rodata,"a",@progbits
	.p2align	6, 0x0
	.amdhsa_kernel _ZN9rocsparseL19gebsrmvn_3xn_kernelILj128ELj8ELj64E21rocsparse_complex_numIfEEEvi20rocsparse_direction_NS_24const_host_device_scalarIT2_EEPKiS8_PKS5_SA_S6_PS5_21rocsparse_index_base_b
		.amdhsa_group_segment_fixed_size 0
		.amdhsa_private_segment_fixed_size 0
		.amdhsa_kernarg_size 72
		.amdhsa_user_sgpr_count 15
		.amdhsa_user_sgpr_dispatch_ptr 0
		.amdhsa_user_sgpr_queue_ptr 0
		.amdhsa_user_sgpr_kernarg_segment_ptr 1
		.amdhsa_user_sgpr_dispatch_id 0
		.amdhsa_user_sgpr_private_segment_size 0
		.amdhsa_wavefront_size32 1
		.amdhsa_uses_dynamic_stack 0
		.amdhsa_enable_private_segment 0
		.amdhsa_system_sgpr_workgroup_id_x 1
		.amdhsa_system_sgpr_workgroup_id_y 0
		.amdhsa_system_sgpr_workgroup_id_z 0
		.amdhsa_system_sgpr_workgroup_info 0
		.amdhsa_system_vgpr_workitem_id 0
		.amdhsa_next_free_vgpr 82
		.amdhsa_next_free_sgpr 16
		.amdhsa_reserve_vcc 1
		.amdhsa_float_round_mode_32 0
		.amdhsa_float_round_mode_16_64 0
		.amdhsa_float_denorm_mode_32 3
		.amdhsa_float_denorm_mode_16_64 3
		.amdhsa_dx10_clamp 1
		.amdhsa_ieee_mode 1
		.amdhsa_fp16_overflow 0
		.amdhsa_workgroup_processor_mode 1
		.amdhsa_memory_ordered 1
		.amdhsa_forward_progress 0
		.amdhsa_shared_vgpr_count 0
		.amdhsa_exception_fp_ieee_invalid_op 0
		.amdhsa_exception_fp_denorm_src 0
		.amdhsa_exception_fp_ieee_div_zero 0
		.amdhsa_exception_fp_ieee_overflow 0
		.amdhsa_exception_fp_ieee_underflow 0
		.amdhsa_exception_fp_ieee_inexact 0
		.amdhsa_exception_int_div_zero 0
	.end_amdhsa_kernel
	.section	.text._ZN9rocsparseL19gebsrmvn_3xn_kernelILj128ELj8ELj64E21rocsparse_complex_numIfEEEvi20rocsparse_direction_NS_24const_host_device_scalarIT2_EEPKiS8_PKS5_SA_S6_PS5_21rocsparse_index_base_b,"axG",@progbits,_ZN9rocsparseL19gebsrmvn_3xn_kernelILj128ELj8ELj64E21rocsparse_complex_numIfEEEvi20rocsparse_direction_NS_24const_host_device_scalarIT2_EEPKiS8_PKS5_SA_S6_PS5_21rocsparse_index_base_b,comdat
.Lfunc_end108:
	.size	_ZN9rocsparseL19gebsrmvn_3xn_kernelILj128ELj8ELj64E21rocsparse_complex_numIfEEEvi20rocsparse_direction_NS_24const_host_device_scalarIT2_EEPKiS8_PKS5_SA_S6_PS5_21rocsparse_index_base_b, .Lfunc_end108-_ZN9rocsparseL19gebsrmvn_3xn_kernelILj128ELj8ELj64E21rocsparse_complex_numIfEEEvi20rocsparse_direction_NS_24const_host_device_scalarIT2_EEPKiS8_PKS5_SA_S6_PS5_21rocsparse_index_base_b
                                        ; -- End function
	.section	.AMDGPU.csdata,"",@progbits
; Kernel info:
; codeLenInByte = 4428
; NumSgprs: 18
; NumVgprs: 82
; ScratchSize: 0
; MemoryBound: 0
; FloatMode: 240
; IeeeMode: 1
; LDSByteSize: 0 bytes/workgroup (compile time only)
; SGPRBlocks: 2
; VGPRBlocks: 10
; NumSGPRsForWavesPerEU: 18
; NumVGPRsForWavesPerEU: 82
; Occupancy: 16
; WaveLimiterHint : 1
; COMPUTE_PGM_RSRC2:SCRATCH_EN: 0
; COMPUTE_PGM_RSRC2:USER_SGPR: 15
; COMPUTE_PGM_RSRC2:TRAP_HANDLER: 0
; COMPUTE_PGM_RSRC2:TGID_X_EN: 1
; COMPUTE_PGM_RSRC2:TGID_Y_EN: 0
; COMPUTE_PGM_RSRC2:TGID_Z_EN: 0
; COMPUTE_PGM_RSRC2:TIDIG_COMP_CNT: 0
	.section	.text._ZN9rocsparseL23gebsrmvn_general_kernelILj48ELj16E21rocsparse_complex_numIfEEEvi20rocsparse_direction_NS_24const_host_device_scalarIT1_EEPKiS8_PKS5_iiSA_S6_PS5_21rocsparse_index_base_b,"axG",@progbits,_ZN9rocsparseL23gebsrmvn_general_kernelILj48ELj16E21rocsparse_complex_numIfEEEvi20rocsparse_direction_NS_24const_host_device_scalarIT1_EEPKiS8_PKS5_iiSA_S6_PS5_21rocsparse_index_base_b,comdat
	.globl	_ZN9rocsparseL23gebsrmvn_general_kernelILj48ELj16E21rocsparse_complex_numIfEEEvi20rocsparse_direction_NS_24const_host_device_scalarIT1_EEPKiS8_PKS5_iiSA_S6_PS5_21rocsparse_index_base_b ; -- Begin function _ZN9rocsparseL23gebsrmvn_general_kernelILj48ELj16E21rocsparse_complex_numIfEEEvi20rocsparse_direction_NS_24const_host_device_scalarIT1_EEPKiS8_PKS5_iiSA_S6_PS5_21rocsparse_index_base_b
	.p2align	8
	.type	_ZN9rocsparseL23gebsrmvn_general_kernelILj48ELj16E21rocsparse_complex_numIfEEEvi20rocsparse_direction_NS_24const_host_device_scalarIT1_EEPKiS8_PKS5_iiSA_S6_PS5_21rocsparse_index_base_b,@function
_ZN9rocsparseL23gebsrmvn_general_kernelILj48ELj16E21rocsparse_complex_numIfEEEvi20rocsparse_direction_NS_24const_host_device_scalarIT1_EEPKiS8_PKS5_iiSA_S6_PS5_21rocsparse_index_base_b: ; @_ZN9rocsparseL23gebsrmvn_general_kernelILj48ELj16E21rocsparse_complex_numIfEEEvi20rocsparse_direction_NS_24const_host_device_scalarIT1_EEPKiS8_PKS5_iiSA_S6_PS5_21rocsparse_index_base_b
; %bb.0:
	s_clause 0x2
	s_load_b64 s[8:9], s[0:1], 0x48
	s_load_b64 s[4:5], s[0:1], 0x8
	;; [unrolled: 1-line block ×3, first 2 shown]
	s_mov_b32 s16, s15
	s_waitcnt lgkmcnt(0)
	s_bitcmp1_b32 s9, 0
	v_mov_b32_e32 v6, s4
	s_cselect_b32 s6, -1, 0
	s_delay_alu instid0(SALU_CYCLE_1)
	s_and_b32 vcc_lo, exec_lo, s6
	s_xor_b32 s6, s6, -1
	s_cbranch_vccz .LBB109_28
; %bb.1:
	v_cndmask_b32_e64 v1, 0, 1, s6
	v_mov_b32_e32 v7, s5
	s_and_not1_b32 vcc_lo, exec_lo, s6
	s_cbranch_vccz .LBB109_29
.LBB109_2:
	s_delay_alu instid0(VALU_DEP_2)
	v_cmp_ne_u32_e32 vcc_lo, 1, v1
	v_mov_b32_e32 v8, s2
	s_cbranch_vccz .LBB109_30
.LBB109_3:
	v_cmp_ne_u32_e32 vcc_lo, 1, v1
	v_mov_b32_e32 v9, s3
	s_cbranch_vccnz .LBB109_5
.LBB109_4:
	v_dual_mov_b32 v1, s2 :: v_dual_mov_b32 v2, s3
	flat_load_b32 v9, v[1:2] offset:4
.LBB109_5:
	s_waitcnt vmcnt(0) lgkmcnt(0)
	v_cmp_eq_f32_e32 vcc_lo, 0, v6
	v_cmp_eq_f32_e64 s2, 0, v7
	s_delay_alu instid0(VALU_DEP_1)
	s_and_b32 s4, vcc_lo, s2
	s_mov_b32 s2, -1
	s_and_saveexec_b32 s3, s4
; %bb.6:
	v_cmp_neq_f32_e32 vcc_lo, 1.0, v8
	v_cmp_neq_f32_e64 s2, 0, v9
	s_delay_alu instid0(VALU_DEP_1) | instskip(NEXT) | instid1(SALU_CYCLE_1)
	s_or_b32 s2, vcc_lo, s2
	s_or_not1_b32 s2, s2, exec_lo
; %bb.7:
	s_or_b32 exec_lo, exec_lo, s3
	s_and_saveexec_b32 s3, s2
	s_cbranch_execz .LBB109_27
; %bb.8:
	s_load_b64 s[10:11], s[0:1], 0x28
	v_lshrrev_b32_e32 v1, 4, v0
	s_waitcnt lgkmcnt(0)
	s_delay_alu instid0(VALU_DEP_1)
	v_cmp_gt_i32_e32 vcc_lo, s10, v1
	s_and_b32 exec_lo, exec_lo, vcc_lo
	s_cbranch_execz .LBB109_27
; %bb.9:
	s_clause 0x1
	s_load_b128 s[4:7], s[0:1], 0x10
	s_load_b32 s20, s[0:1], 0x4
	v_mbcnt_lo_u32_b32 v2, -1, 0
	s_ashr_i32 s17, s16, 31
	s_mov_b32 s9, 0
	s_lshl_b64 s[2:3], s[16:17], 2
	s_mul_i32 s16, s16, s10
	v_xor_b32_e32 v3, 8, v2
	v_xor_b32_e32 v4, 4, v2
	;; [unrolled: 1-line block ×4, first 2 shown]
	s_mul_i32 s22, s11, 3
	v_cmp_gt_i32_e32 vcc_lo, 32, v3
	v_and_b32_e32 v0, 15, v0
	s_mul_i32 s23, s11, s10
	v_cndmask_b32_e32 v11, v2, v3, vcc_lo
	v_cmp_gt_i32_e32 vcc_lo, 32, v4
	s_waitcnt lgkmcnt(0)
	s_add_u32 s2, s4, s2
	s_addc_u32 s3, s5, s3
	v_cndmask_b32_e32 v4, v2, v4, vcc_lo
	s_load_b64 s[2:3], s[2:3], 0x0
	v_cmp_gt_i32_e32 vcc_lo, 32, v5
	s_clause 0x2
	s_load_b64 s[4:5], s[0:1], 0x20
	s_load_b64 s[12:13], s[0:1], 0x30
	;; [unrolled: 1-line block ×3, first 2 shown]
	v_cmp_gt_i32_e64 s0, s11, v0
	v_cmp_eq_u32_e64 s1, 15, v0
	v_cndmask_b32_e32 v5, v2, v5, vcc_lo
	v_cmp_gt_i32_e32 vcc_lo, 32, v10
	v_cndmask_b32_e32 v13, v2, v10, vcc_lo
	v_cmp_eq_f32_e32 vcc_lo, 0, v8
	v_lshlrev_b32_e32 v10, 2, v11
	v_lshlrev_b32_e32 v12, 2, v5
	s_delay_alu instid0(VALU_DEP_4)
	v_lshlrev_b32_e32 v13, 2, v13
	v_lshlrev_b32_e32 v11, 2, v4
	s_waitcnt lgkmcnt(0)
	s_sub_i32 s17, s2, s8
	s_sub_i32 s18, s3, s8
	v_mad_u64_u32 v[2:3], null, s10, s17, v[1:2]
	s_cmp_lt_i32 s2, s3
	v_cmp_eq_f32_e64 s2, 0, v9
	s_cselect_b32 s19, -1, 0
	s_cmp_lg_u32 s20, 0
	s_cselect_b32 s20, -1, 0
	s_delay_alu instid0(VALU_DEP_2)
	v_mul_lo_u32 v14, s11, v2
	s_and_b32 s21, vcc_lo, s2
	s_branch .LBB109_11
.LBB109_10:                             ;   in Loop: Header=BB109_11 Depth=1
	s_or_b32 exec_lo, exec_lo, s2
	v_add_nc_u32_e32 v1, 3, v1
	v_add_nc_u32_e32 v14, s22, v14
	s_delay_alu instid0(VALU_DEP_2) | instskip(SKIP_1) | instid1(SALU_CYCLE_1)
	v_cmp_le_i32_e32 vcc_lo, s10, v1
	s_or_b32 s9, vcc_lo, s9
	s_and_not1_b32 exec_lo, exec_lo, s9
	s_cbranch_execz .LBB109_27
.LBB109_11:                             ; =>This Loop Header: Depth=1
                                        ;     Child Loop BB109_15 Depth 2
                                        ;       Child Loop BB109_18 Depth 3
	s_waitcnt lgkmcnt(0)
	v_dual_mov_b32 v4, 0 :: v_dual_mov_b32 v5, 0
	s_and_not1_b32 vcc_lo, exec_lo, s19
	s_cbranch_vccnz .LBB109_22
; %bb.12:                               ;   in Loop: Header=BB109_11 Depth=1
	s_delay_alu instid0(VALU_DEP_2)
	v_dual_mov_b32 v4, 0 :: v_dual_mov_b32 v15, v14
	v_mov_b32_e32 v5, 0
	s_mov_b32 s2, s17
	s_branch .LBB109_15
.LBB109_13:                             ;   in Loop: Header=BB109_15 Depth=2
	s_set_inst_prefetch_distance 0x2
	s_or_b32 exec_lo, exec_lo, s25
.LBB109_14:                             ;   in Loop: Header=BB109_15 Depth=2
	s_delay_alu instid0(SALU_CYCLE_1) | instskip(SKIP_2) | instid1(SALU_CYCLE_1)
	s_or_b32 exec_lo, exec_lo, s24
	v_add_nc_u32_e32 v15, s23, v15
	s_add_i32 s2, s2, 1
	s_cmp_ge_i32 s2, s18
	s_cbranch_scc1 .LBB109_22
.LBB109_15:                             ;   Parent Loop BB109_11 Depth=1
                                        ; =>  This Loop Header: Depth=2
                                        ;       Child Loop BB109_18 Depth 3
	s_and_saveexec_b32 s24, s0
	s_cbranch_execz .LBB109_14
; %bb.16:                               ;   in Loop: Header=BB109_15 Depth=2
	s_ashr_i32 s3, s2, 31
	v_mov_b32_e32 v16, v0
	s_lshl_b64 s[26:27], s[2:3], 2
	s_mov_b32 s25, 0
	s_add_u32 s26, s6, s26
	s_addc_u32 s27, s7, s27
	s_load_b32 s3, s[26:27], 0x0
	s_waitcnt lgkmcnt(0)
	s_sub_i32 s26, s3, s8
	s_mul_i32 s3, s2, s11
	s_mul_i32 s26, s26, s11
	s_set_inst_prefetch_distance 0x1
	s_branch .LBB109_18
	.p2align	6
.LBB109_17:                             ;   in Loop: Header=BB109_18 Depth=3
	v_add_nc_u32_e32 v17, s26, v16
	s_delay_alu instid0(VALU_DEP_2) | instskip(NEXT) | instid1(VALU_DEP_2)
	v_ashrrev_i32_e32 v3, 31, v2
	v_ashrrev_i32_e32 v18, 31, v17
	s_delay_alu instid0(VALU_DEP_2) | instskip(NEXT) | instid1(VALU_DEP_2)
	v_lshlrev_b64 v[2:3], 3, v[2:3]
	v_lshlrev_b64 v[17:18], 3, v[17:18]
	s_delay_alu instid0(VALU_DEP_2) | instskip(NEXT) | instid1(VALU_DEP_3)
	v_add_co_u32 v2, vcc_lo, s4, v2
	v_add_co_ci_u32_e32 v3, vcc_lo, s5, v3, vcc_lo
	s_delay_alu instid0(VALU_DEP_3) | instskip(NEXT) | instid1(VALU_DEP_4)
	v_add_co_u32 v17, vcc_lo, s12, v17
	v_add_co_ci_u32_e32 v18, vcc_lo, s13, v18, vcc_lo
	global_load_b64 v[2:3], v[2:3], off
	global_load_b64 v[17:18], v[17:18], off
	s_waitcnt vmcnt(0)
	v_dual_fmac_f32 v5, v2, v17 :: v_dual_add_nc_u32 v16, 16, v16
	v_fmac_f32_e32 v4, v3, v17
	s_delay_alu instid0(VALU_DEP_2) | instskip(NEXT) | instid1(VALU_DEP_3)
	v_cmp_le_i32_e32 vcc_lo, s11, v16
	v_fma_f32 v5, -v3, v18, v5
	s_delay_alu instid0(VALU_DEP_3) | instskip(SKIP_1) | instid1(SALU_CYCLE_1)
	v_fmac_f32_e32 v4, v2, v18
	s_or_b32 s25, vcc_lo, s25
	s_and_not1_b32 exec_lo, exec_lo, s25
	s_cbranch_execz .LBB109_13
.LBB109_18:                             ;   Parent Loop BB109_11 Depth=1
                                        ;     Parent Loop BB109_15 Depth=2
                                        ; =>    This Inner Loop Header: Depth=3
	s_and_b32 vcc_lo, exec_lo, s20
	s_cbranch_vccz .LBB109_20
; %bb.19:                               ;   in Loop: Header=BB109_18 Depth=3
	v_add_nc_u32_e32 v17, s3, v16
	s_delay_alu instid0(VALU_DEP_1)
	v_mad_u64_u32 v[2:3], null, v17, s10, v[1:2]
	s_cbranch_execnz .LBB109_17
	s_branch .LBB109_21
.LBB109_20:                             ;   in Loop: Header=BB109_18 Depth=3
                                        ; implicit-def: $vgpr2
.LBB109_21:                             ;   in Loop: Header=BB109_18 Depth=3
	v_add_nc_u32_e32 v2, v15, v16
	s_branch .LBB109_17
.LBB109_22:                             ;   in Loop: Header=BB109_11 Depth=1
	ds_bpermute_b32 v2, v10, v5
	ds_bpermute_b32 v3, v10, v4
	s_waitcnt lgkmcnt(0)
	v_dual_add_f32 v2, v5, v2 :: v_dual_add_f32 v3, v4, v3
	ds_bpermute_b32 v4, v11, v2
	ds_bpermute_b32 v5, v11, v3
	s_waitcnt lgkmcnt(0)
	v_dual_add_f32 v2, v2, v4 :: v_dual_add_f32 v3, v3, v5
	ds_bpermute_b32 v4, v12, v2
	ds_bpermute_b32 v5, v12, v3
	s_waitcnt lgkmcnt(1)
	v_add_f32_e32 v2, v2, v4
	s_waitcnt lgkmcnt(0)
	v_add_f32_e32 v4, v3, v5
	ds_bpermute_b32 v3, v13, v2
	ds_bpermute_b32 v5, v13, v4
	s_and_saveexec_b32 s2, s1
	s_cbranch_execz .LBB109_10
; %bb.23:                               ;   in Loop: Header=BB109_11 Depth=1
	s_waitcnt lgkmcnt(0)
	v_dual_add_f32 v4, v4, v5 :: v_dual_add_f32 v5, v2, v3
	s_delay_alu instid0(VALU_DEP_1) | instskip(SKIP_1) | instid1(VALU_DEP_2)
	v_mul_f32_e64 v2, v4, -v7
	v_dual_mul_f32 v3, v4, v6 :: v_dual_add_nc_u32 v4, s16, v1
	v_fmac_f32_e32 v2, v6, v5
	s_delay_alu instid0(VALU_DEP_2) | instskip(NEXT) | instid1(VALU_DEP_3)
	v_fmac_f32_e32 v3, v7, v5
	v_ashrrev_i32_e32 v5, 31, v4
	s_and_saveexec_b32 s3, s21
	s_delay_alu instid0(SALU_CYCLE_1)
	s_xor_b32 s3, exec_lo, s3
	s_cbranch_execz .LBB109_25
; %bb.24:                               ;   in Loop: Header=BB109_11 Depth=1
	s_delay_alu instid0(VALU_DEP_1) | instskip(NEXT) | instid1(VALU_DEP_1)
	v_lshlrev_b64 v[4:5], 3, v[4:5]
	v_add_co_u32 v4, vcc_lo, s14, v4
	s_delay_alu instid0(VALU_DEP_2)
	v_add_co_ci_u32_e32 v5, vcc_lo, s15, v5, vcc_lo
	global_store_b64 v[4:5], v[2:3], off
                                        ; implicit-def: $vgpr4
                                        ; implicit-def: $vgpr2
.LBB109_25:                             ;   in Loop: Header=BB109_11 Depth=1
	s_and_not1_saveexec_b32 s3, s3
	s_cbranch_execz .LBB109_10
; %bb.26:                               ;   in Loop: Header=BB109_11 Depth=1
	v_lshlrev_b64 v[4:5], 3, v[4:5]
	s_delay_alu instid0(VALU_DEP_1) | instskip(NEXT) | instid1(VALU_DEP_2)
	v_add_co_u32 v4, vcc_lo, s14, v4
	v_add_co_ci_u32_e32 v5, vcc_lo, s15, v5, vcc_lo
	global_load_b64 v[15:16], v[4:5], off
	s_waitcnt vmcnt(0)
	v_fmac_f32_e32 v2, v8, v15
	v_fmac_f32_e32 v3, v9, v15
	s_delay_alu instid0(VALU_DEP_2) | instskip(NEXT) | instid1(VALU_DEP_2)
	v_fma_f32 v2, -v9, v16, v2
	v_fmac_f32_e32 v3, v8, v16
	global_store_b64 v[4:5], v[2:3], off
	s_branch .LBB109_10
.LBB109_27:
	s_nop 0
	s_sendmsg sendmsg(MSG_DEALLOC_VGPRS)
	s_endpgm
.LBB109_28:
	v_dual_mov_b32 v1, s4 :: v_dual_mov_b32 v2, s5
	flat_load_b32 v6, v[1:2]
	v_cndmask_b32_e64 v1, 0, 1, s6
	v_mov_b32_e32 v7, s5
	s_and_not1_b32 vcc_lo, exec_lo, s6
	s_cbranch_vccnz .LBB109_2
.LBB109_29:
	v_dual_mov_b32 v2, s4 :: v_dual_mov_b32 v3, s5
	flat_load_b32 v7, v[2:3] offset:4
	v_cmp_ne_u32_e32 vcc_lo, 1, v1
	v_mov_b32_e32 v8, s2
	s_cbranch_vccnz .LBB109_3
.LBB109_30:
	v_dual_mov_b32 v2, s2 :: v_dual_mov_b32 v3, s3
	flat_load_b32 v8, v[2:3]
	v_cmp_ne_u32_e32 vcc_lo, 1, v1
	v_mov_b32_e32 v9, s3
	s_cbranch_vccz .LBB109_4
	s_branch .LBB109_5
	.section	.rodata,"a",@progbits
	.p2align	6, 0x0
	.amdhsa_kernel _ZN9rocsparseL23gebsrmvn_general_kernelILj48ELj16E21rocsparse_complex_numIfEEEvi20rocsparse_direction_NS_24const_host_device_scalarIT1_EEPKiS8_PKS5_iiSA_S6_PS5_21rocsparse_index_base_b
		.amdhsa_group_segment_fixed_size 0
		.amdhsa_private_segment_fixed_size 0
		.amdhsa_kernarg_size 80
		.amdhsa_user_sgpr_count 15
		.amdhsa_user_sgpr_dispatch_ptr 0
		.amdhsa_user_sgpr_queue_ptr 0
		.amdhsa_user_sgpr_kernarg_segment_ptr 1
		.amdhsa_user_sgpr_dispatch_id 0
		.amdhsa_user_sgpr_private_segment_size 0
		.amdhsa_wavefront_size32 1
		.amdhsa_uses_dynamic_stack 0
		.amdhsa_enable_private_segment 0
		.amdhsa_system_sgpr_workgroup_id_x 1
		.amdhsa_system_sgpr_workgroup_id_y 0
		.amdhsa_system_sgpr_workgroup_id_z 0
		.amdhsa_system_sgpr_workgroup_info 0
		.amdhsa_system_vgpr_workitem_id 0
		.amdhsa_next_free_vgpr 19
		.amdhsa_next_free_sgpr 28
		.amdhsa_reserve_vcc 1
		.amdhsa_float_round_mode_32 0
		.amdhsa_float_round_mode_16_64 0
		.amdhsa_float_denorm_mode_32 3
		.amdhsa_float_denorm_mode_16_64 3
		.amdhsa_dx10_clamp 1
		.amdhsa_ieee_mode 1
		.amdhsa_fp16_overflow 0
		.amdhsa_workgroup_processor_mode 1
		.amdhsa_memory_ordered 1
		.amdhsa_forward_progress 0
		.amdhsa_shared_vgpr_count 0
		.amdhsa_exception_fp_ieee_invalid_op 0
		.amdhsa_exception_fp_denorm_src 0
		.amdhsa_exception_fp_ieee_div_zero 0
		.amdhsa_exception_fp_ieee_overflow 0
		.amdhsa_exception_fp_ieee_underflow 0
		.amdhsa_exception_fp_ieee_inexact 0
		.amdhsa_exception_int_div_zero 0
	.end_amdhsa_kernel
	.section	.text._ZN9rocsparseL23gebsrmvn_general_kernelILj48ELj16E21rocsparse_complex_numIfEEEvi20rocsparse_direction_NS_24const_host_device_scalarIT1_EEPKiS8_PKS5_iiSA_S6_PS5_21rocsparse_index_base_b,"axG",@progbits,_ZN9rocsparseL23gebsrmvn_general_kernelILj48ELj16E21rocsparse_complex_numIfEEEvi20rocsparse_direction_NS_24const_host_device_scalarIT1_EEPKiS8_PKS5_iiSA_S6_PS5_21rocsparse_index_base_b,comdat
.Lfunc_end109:
	.size	_ZN9rocsparseL23gebsrmvn_general_kernelILj48ELj16E21rocsparse_complex_numIfEEEvi20rocsparse_direction_NS_24const_host_device_scalarIT1_EEPKiS8_PKS5_iiSA_S6_PS5_21rocsparse_index_base_b, .Lfunc_end109-_ZN9rocsparseL23gebsrmvn_general_kernelILj48ELj16E21rocsparse_complex_numIfEEEvi20rocsparse_direction_NS_24const_host_device_scalarIT1_EEPKiS8_PKS5_iiSA_S6_PS5_21rocsparse_index_base_b
                                        ; -- End function
	.section	.AMDGPU.csdata,"",@progbits
; Kernel info:
; codeLenInByte = 1232
; NumSgprs: 30
; NumVgprs: 19
; ScratchSize: 0
; MemoryBound: 0
; FloatMode: 240
; IeeeMode: 1
; LDSByteSize: 0 bytes/workgroup (compile time only)
; SGPRBlocks: 3
; VGPRBlocks: 2
; NumSGPRsForWavesPerEU: 30
; NumVGPRsForWavesPerEU: 19
; Occupancy: 16
; WaveLimiterHint : 1
; COMPUTE_PGM_RSRC2:SCRATCH_EN: 0
; COMPUTE_PGM_RSRC2:USER_SGPR: 15
; COMPUTE_PGM_RSRC2:TRAP_HANDLER: 0
; COMPUTE_PGM_RSRC2:TGID_X_EN: 1
; COMPUTE_PGM_RSRC2:TGID_Y_EN: 0
; COMPUTE_PGM_RSRC2:TGID_Z_EN: 0
; COMPUTE_PGM_RSRC2:TIDIG_COMP_CNT: 0
	.section	.text._ZN9rocsparseL23gebsrmvn_general_kernelILj96ELj32E21rocsparse_complex_numIfEEEvi20rocsparse_direction_NS_24const_host_device_scalarIT1_EEPKiS8_PKS5_iiSA_S6_PS5_21rocsparse_index_base_b,"axG",@progbits,_ZN9rocsparseL23gebsrmvn_general_kernelILj96ELj32E21rocsparse_complex_numIfEEEvi20rocsparse_direction_NS_24const_host_device_scalarIT1_EEPKiS8_PKS5_iiSA_S6_PS5_21rocsparse_index_base_b,comdat
	.globl	_ZN9rocsparseL23gebsrmvn_general_kernelILj96ELj32E21rocsparse_complex_numIfEEEvi20rocsparse_direction_NS_24const_host_device_scalarIT1_EEPKiS8_PKS5_iiSA_S6_PS5_21rocsparse_index_base_b ; -- Begin function _ZN9rocsparseL23gebsrmvn_general_kernelILj96ELj32E21rocsparse_complex_numIfEEEvi20rocsparse_direction_NS_24const_host_device_scalarIT1_EEPKiS8_PKS5_iiSA_S6_PS5_21rocsparse_index_base_b
	.p2align	8
	.type	_ZN9rocsparseL23gebsrmvn_general_kernelILj96ELj32E21rocsparse_complex_numIfEEEvi20rocsparse_direction_NS_24const_host_device_scalarIT1_EEPKiS8_PKS5_iiSA_S6_PS5_21rocsparse_index_base_b,@function
_ZN9rocsparseL23gebsrmvn_general_kernelILj96ELj32E21rocsparse_complex_numIfEEEvi20rocsparse_direction_NS_24const_host_device_scalarIT1_EEPKiS8_PKS5_iiSA_S6_PS5_21rocsparse_index_base_b: ; @_ZN9rocsparseL23gebsrmvn_general_kernelILj96ELj32E21rocsparse_complex_numIfEEEvi20rocsparse_direction_NS_24const_host_device_scalarIT1_EEPKiS8_PKS5_iiSA_S6_PS5_21rocsparse_index_base_b
; %bb.0:
	s_clause 0x2
	s_load_b64 s[8:9], s[0:1], 0x48
	s_load_b64 s[4:5], s[0:1], 0x8
	;; [unrolled: 1-line block ×3, first 2 shown]
	s_mov_b32 s16, s15
	s_waitcnt lgkmcnt(0)
	s_bitcmp1_b32 s9, 0
	v_mov_b32_e32 v6, s4
	s_cselect_b32 s6, -1, 0
	s_delay_alu instid0(SALU_CYCLE_1)
	s_and_b32 vcc_lo, exec_lo, s6
	s_xor_b32 s6, s6, -1
	s_cbranch_vccz .LBB110_28
; %bb.1:
	v_cndmask_b32_e64 v1, 0, 1, s6
	v_mov_b32_e32 v7, s5
	s_and_not1_b32 vcc_lo, exec_lo, s6
	s_cbranch_vccz .LBB110_29
.LBB110_2:
	s_delay_alu instid0(VALU_DEP_2)
	v_cmp_ne_u32_e32 vcc_lo, 1, v1
	v_mov_b32_e32 v8, s2
	s_cbranch_vccz .LBB110_30
.LBB110_3:
	v_cmp_ne_u32_e32 vcc_lo, 1, v1
	v_mov_b32_e32 v9, s3
	s_cbranch_vccnz .LBB110_5
.LBB110_4:
	v_dual_mov_b32 v1, s2 :: v_dual_mov_b32 v2, s3
	flat_load_b32 v9, v[1:2] offset:4
.LBB110_5:
	s_waitcnt vmcnt(0) lgkmcnt(0)
	v_cmp_eq_f32_e32 vcc_lo, 0, v6
	v_cmp_eq_f32_e64 s2, 0, v7
	s_delay_alu instid0(VALU_DEP_1)
	s_and_b32 s4, vcc_lo, s2
	s_mov_b32 s2, -1
	s_and_saveexec_b32 s3, s4
; %bb.6:
	v_cmp_neq_f32_e32 vcc_lo, 1.0, v8
	v_cmp_neq_f32_e64 s2, 0, v9
	s_delay_alu instid0(VALU_DEP_1) | instskip(NEXT) | instid1(SALU_CYCLE_1)
	s_or_b32 s2, vcc_lo, s2
	s_or_not1_b32 s2, s2, exec_lo
; %bb.7:
	s_or_b32 exec_lo, exec_lo, s3
	s_and_saveexec_b32 s3, s2
	s_cbranch_execz .LBB110_27
; %bb.8:
	s_load_b64 s[10:11], s[0:1], 0x28
	v_lshrrev_b32_e32 v1, 5, v0
	s_waitcnt lgkmcnt(0)
	s_delay_alu instid0(VALU_DEP_1)
	v_cmp_gt_i32_e32 vcc_lo, s10, v1
	s_and_b32 exec_lo, exec_lo, vcc_lo
	s_cbranch_execz .LBB110_27
; %bb.9:
	s_clause 0x1
	s_load_b128 s[4:7], s[0:1], 0x10
	s_load_b32 s20, s[0:1], 0x4
	v_mbcnt_lo_u32_b32 v2, -1, 0
	s_ashr_i32 s17, s16, 31
	s_mov_b32 s9, 0
	s_lshl_b64 s[2:3], s[16:17], 2
	s_mul_i32 s16, s16, s10
	v_xor_b32_e32 v3, 16, v2
	v_xor_b32_e32 v4, 8, v2
	;; [unrolled: 1-line block ×5, first 2 shown]
	v_cmp_gt_i32_e32 vcc_lo, 32, v3
	v_and_b32_e32 v0, 31, v0
	s_mul_i32 s22, s11, 3
	s_mul_i32 s23, s11, s10
	v_cndmask_b32_e32 v3, v2, v3, vcc_lo
	v_cmp_gt_i32_e32 vcc_lo, 32, v4
	s_waitcnt lgkmcnt(0)
	s_add_u32 s2, s4, s2
	s_addc_u32 s3, s5, s3
	s_load_b64 s[2:3], s[2:3], 0x0
	s_clause 0x2
	s_load_b64 s[4:5], s[0:1], 0x20
	s_load_b64 s[12:13], s[0:1], 0x30
	s_load_b64 s[14:15], s[0:1], 0x40
	v_cndmask_b32_e32 v4, v2, v4, vcc_lo
	v_cmp_gt_i32_e32 vcc_lo, 32, v5
	v_cmp_gt_i32_e64 s0, s11, v0
	v_cmp_eq_u32_e64 s1, 31, v0
	v_cndmask_b32_e32 v5, v2, v5, vcc_lo
	v_cmp_gt_i32_e32 vcc_lo, 32, v10
	v_cndmask_b32_e32 v13, v2, v10, vcc_lo
	v_cmp_gt_i32_e32 vcc_lo, 32, v11
	v_lshlrev_b32_e32 v10, 2, v3
	v_lshlrev_b32_e32 v12, 2, v5
	s_waitcnt lgkmcnt(0)
	s_sub_i32 s17, s2, s8
	v_dual_cndmask_b32 v14, v2, v11 :: v_dual_lshlrev_b32 v13, 2, v13
	v_lshlrev_b32_e32 v11, 2, v4
	v_mad_u64_u32 v[2:3], null, s10, s17, v[1:2]
	s_sub_i32 s18, s3, s8
	s_cmp_lt_i32 s2, s3
	v_cmp_eq_f32_e32 vcc_lo, 0, v8
	v_cmp_eq_f32_e64 s2, 0, v9
	v_lshlrev_b32_e32 v14, 2, v14
	s_cselect_b32 s19, -1, 0
	s_delay_alu instid0(VALU_DEP_4)
	v_mul_lo_u32 v15, s11, v2
	s_cmp_lg_u32 s20, 0
	s_cselect_b32 s20, -1, 0
	s_and_b32 s21, vcc_lo, s2
	s_branch .LBB110_11
.LBB110_10:                             ;   in Loop: Header=BB110_11 Depth=1
	s_or_b32 exec_lo, exec_lo, s2
	v_add_nc_u32_e32 v1, 3, v1
	v_add_nc_u32_e32 v15, s22, v15
	s_delay_alu instid0(VALU_DEP_2) | instskip(SKIP_1) | instid1(SALU_CYCLE_1)
	v_cmp_le_i32_e32 vcc_lo, s10, v1
	s_or_b32 s9, vcc_lo, s9
	s_and_not1_b32 exec_lo, exec_lo, s9
	s_cbranch_execz .LBB110_27
.LBB110_11:                             ; =>This Loop Header: Depth=1
                                        ;     Child Loop BB110_15 Depth 2
                                        ;       Child Loop BB110_18 Depth 3
	s_waitcnt lgkmcnt(0)
	v_dual_mov_b32 v4, 0 :: v_dual_mov_b32 v5, 0
	s_and_not1_b32 vcc_lo, exec_lo, s19
	s_cbranch_vccnz .LBB110_22
; %bb.12:                               ;   in Loop: Header=BB110_11 Depth=1
	v_dual_mov_b32 v4, 0 :: v_dual_mov_b32 v5, 0
	v_mov_b32_e32 v16, v15
	s_mov_b32 s2, s17
	s_branch .LBB110_15
.LBB110_13:                             ;   in Loop: Header=BB110_15 Depth=2
	s_set_inst_prefetch_distance 0x2
	s_or_b32 exec_lo, exec_lo, s25
.LBB110_14:                             ;   in Loop: Header=BB110_15 Depth=2
	s_delay_alu instid0(SALU_CYCLE_1) | instskip(SKIP_2) | instid1(SALU_CYCLE_1)
	s_or_b32 exec_lo, exec_lo, s24
	v_add_nc_u32_e32 v16, s23, v16
	s_add_i32 s2, s2, 1
	s_cmp_ge_i32 s2, s18
	s_cbranch_scc1 .LBB110_22
.LBB110_15:                             ;   Parent Loop BB110_11 Depth=1
                                        ; =>  This Loop Header: Depth=2
                                        ;       Child Loop BB110_18 Depth 3
	s_and_saveexec_b32 s24, s0
	s_cbranch_execz .LBB110_14
; %bb.16:                               ;   in Loop: Header=BB110_15 Depth=2
	s_ashr_i32 s3, s2, 31
	v_mov_b32_e32 v17, v0
	s_lshl_b64 s[26:27], s[2:3], 2
	s_mov_b32 s25, 0
	s_add_u32 s26, s6, s26
	s_addc_u32 s27, s7, s27
	s_load_b32 s3, s[26:27], 0x0
	s_waitcnt lgkmcnt(0)
	s_sub_i32 s26, s3, s8
	s_mul_i32 s3, s2, s11
	s_mul_i32 s26, s26, s11
	s_set_inst_prefetch_distance 0x1
	s_branch .LBB110_18
	.p2align	6
.LBB110_17:                             ;   in Loop: Header=BB110_18 Depth=3
	v_add_nc_u32_e32 v18, s26, v17
	s_delay_alu instid0(VALU_DEP_2) | instskip(NEXT) | instid1(VALU_DEP_2)
	v_ashrrev_i32_e32 v3, 31, v2
	v_ashrrev_i32_e32 v19, 31, v18
	s_delay_alu instid0(VALU_DEP_2) | instskip(NEXT) | instid1(VALU_DEP_2)
	v_lshlrev_b64 v[2:3], 3, v[2:3]
	v_lshlrev_b64 v[18:19], 3, v[18:19]
	s_delay_alu instid0(VALU_DEP_2) | instskip(NEXT) | instid1(VALU_DEP_3)
	v_add_co_u32 v2, vcc_lo, s4, v2
	v_add_co_ci_u32_e32 v3, vcc_lo, s5, v3, vcc_lo
	s_delay_alu instid0(VALU_DEP_3) | instskip(NEXT) | instid1(VALU_DEP_4)
	v_add_co_u32 v18, vcc_lo, s12, v18
	v_add_co_ci_u32_e32 v19, vcc_lo, s13, v19, vcc_lo
	global_load_b64 v[2:3], v[2:3], off
	global_load_b64 v[18:19], v[18:19], off
	s_waitcnt vmcnt(0)
	v_dual_fmac_f32 v4, v3, v18 :: v_dual_add_nc_u32 v17, 32, v17
	v_fmac_f32_e32 v5, v2, v18
	s_delay_alu instid0(VALU_DEP_2) | instskip(NEXT) | instid1(VALU_DEP_3)
	v_cmp_le_i32_e32 vcc_lo, s11, v17
	v_fmac_f32_e32 v4, v2, v19
	s_delay_alu instid0(VALU_DEP_3) | instskip(SKIP_1) | instid1(SALU_CYCLE_1)
	v_fma_f32 v5, -v3, v19, v5
	s_or_b32 s25, vcc_lo, s25
	s_and_not1_b32 exec_lo, exec_lo, s25
	s_cbranch_execz .LBB110_13
.LBB110_18:                             ;   Parent Loop BB110_11 Depth=1
                                        ;     Parent Loop BB110_15 Depth=2
                                        ; =>    This Inner Loop Header: Depth=3
	s_and_b32 vcc_lo, exec_lo, s20
	s_cbranch_vccz .LBB110_20
; %bb.19:                               ;   in Loop: Header=BB110_18 Depth=3
	v_add_nc_u32_e32 v18, s3, v17
	s_delay_alu instid0(VALU_DEP_1)
	v_mad_u64_u32 v[2:3], null, v18, s10, v[1:2]
	s_cbranch_execnz .LBB110_17
	s_branch .LBB110_21
.LBB110_20:                             ;   in Loop: Header=BB110_18 Depth=3
                                        ; implicit-def: $vgpr2
.LBB110_21:                             ;   in Loop: Header=BB110_18 Depth=3
	v_add_nc_u32_e32 v2, v16, v17
	s_branch .LBB110_17
.LBB110_22:                             ;   in Loop: Header=BB110_11 Depth=1
	ds_bpermute_b32 v2, v10, v5
	ds_bpermute_b32 v3, v10, v4
	s_waitcnt lgkmcnt(0)
	v_dual_add_f32 v2, v5, v2 :: v_dual_add_f32 v3, v4, v3
	ds_bpermute_b32 v4, v11, v2
	ds_bpermute_b32 v5, v11, v3
	s_waitcnt lgkmcnt(0)
	v_dual_add_f32 v2, v2, v4 :: v_dual_add_f32 v3, v3, v5
	;; [unrolled: 4-line block ×3, first 2 shown]
	ds_bpermute_b32 v4, v13, v2
	ds_bpermute_b32 v5, v13, v3
	s_waitcnt lgkmcnt(1)
	v_add_f32_e32 v2, v2, v4
	s_waitcnt lgkmcnt(0)
	v_add_f32_e32 v4, v3, v5
	ds_bpermute_b32 v3, v14, v2
	ds_bpermute_b32 v5, v14, v4
	s_and_saveexec_b32 s2, s1
	s_cbranch_execz .LBB110_10
; %bb.23:                               ;   in Loop: Header=BB110_11 Depth=1
	s_waitcnt lgkmcnt(0)
	v_dual_add_f32 v4, v4, v5 :: v_dual_add_f32 v5, v2, v3
	s_delay_alu instid0(VALU_DEP_1) | instskip(SKIP_1) | instid1(VALU_DEP_2)
	v_mul_f32_e64 v2, v4, -v7
	v_dual_mul_f32 v3, v4, v6 :: v_dual_add_nc_u32 v4, s16, v1
	v_fmac_f32_e32 v2, v6, v5
	s_delay_alu instid0(VALU_DEP_2) | instskip(NEXT) | instid1(VALU_DEP_3)
	v_fmac_f32_e32 v3, v7, v5
	v_ashrrev_i32_e32 v5, 31, v4
	s_and_saveexec_b32 s3, s21
	s_delay_alu instid0(SALU_CYCLE_1)
	s_xor_b32 s3, exec_lo, s3
	s_cbranch_execz .LBB110_25
; %bb.24:                               ;   in Loop: Header=BB110_11 Depth=1
	s_delay_alu instid0(VALU_DEP_1) | instskip(NEXT) | instid1(VALU_DEP_1)
	v_lshlrev_b64 v[4:5], 3, v[4:5]
	v_add_co_u32 v4, vcc_lo, s14, v4
	s_delay_alu instid0(VALU_DEP_2)
	v_add_co_ci_u32_e32 v5, vcc_lo, s15, v5, vcc_lo
	global_store_b64 v[4:5], v[2:3], off
                                        ; implicit-def: $vgpr4
                                        ; implicit-def: $vgpr2
.LBB110_25:                             ;   in Loop: Header=BB110_11 Depth=1
	s_and_not1_saveexec_b32 s3, s3
	s_cbranch_execz .LBB110_10
; %bb.26:                               ;   in Loop: Header=BB110_11 Depth=1
	v_lshlrev_b64 v[4:5], 3, v[4:5]
	s_delay_alu instid0(VALU_DEP_1) | instskip(NEXT) | instid1(VALU_DEP_2)
	v_add_co_u32 v4, vcc_lo, s14, v4
	v_add_co_ci_u32_e32 v5, vcc_lo, s15, v5, vcc_lo
	global_load_b64 v[16:17], v[4:5], off
	s_waitcnt vmcnt(0)
	v_fmac_f32_e32 v2, v8, v16
	v_fmac_f32_e32 v3, v9, v16
	s_delay_alu instid0(VALU_DEP_2) | instskip(NEXT) | instid1(VALU_DEP_2)
	v_fma_f32 v2, -v9, v17, v2
	v_fmac_f32_e32 v3, v8, v17
	global_store_b64 v[4:5], v[2:3], off
	s_branch .LBB110_10
.LBB110_27:
	s_nop 0
	s_sendmsg sendmsg(MSG_DEALLOC_VGPRS)
	s_endpgm
.LBB110_28:
	v_dual_mov_b32 v1, s4 :: v_dual_mov_b32 v2, s5
	flat_load_b32 v6, v[1:2]
	v_cndmask_b32_e64 v1, 0, 1, s6
	v_mov_b32_e32 v7, s5
	s_and_not1_b32 vcc_lo, exec_lo, s6
	s_cbranch_vccnz .LBB110_2
.LBB110_29:
	v_dual_mov_b32 v2, s4 :: v_dual_mov_b32 v3, s5
	flat_load_b32 v7, v[2:3] offset:4
	v_cmp_ne_u32_e32 vcc_lo, 1, v1
	v_mov_b32_e32 v8, s2
	s_cbranch_vccnz .LBB110_3
.LBB110_30:
	v_dual_mov_b32 v2, s2 :: v_dual_mov_b32 v3, s3
	flat_load_b32 v8, v[2:3]
	v_cmp_ne_u32_e32 vcc_lo, 1, v1
	v_mov_b32_e32 v9, s3
	s_cbranch_vccz .LBB110_4
	s_branch .LBB110_5
	.section	.rodata,"a",@progbits
	.p2align	6, 0x0
	.amdhsa_kernel _ZN9rocsparseL23gebsrmvn_general_kernelILj96ELj32E21rocsparse_complex_numIfEEEvi20rocsparse_direction_NS_24const_host_device_scalarIT1_EEPKiS8_PKS5_iiSA_S6_PS5_21rocsparse_index_base_b
		.amdhsa_group_segment_fixed_size 0
		.amdhsa_private_segment_fixed_size 0
		.amdhsa_kernarg_size 80
		.amdhsa_user_sgpr_count 15
		.amdhsa_user_sgpr_dispatch_ptr 0
		.amdhsa_user_sgpr_queue_ptr 0
		.amdhsa_user_sgpr_kernarg_segment_ptr 1
		.amdhsa_user_sgpr_dispatch_id 0
		.amdhsa_user_sgpr_private_segment_size 0
		.amdhsa_wavefront_size32 1
		.amdhsa_uses_dynamic_stack 0
		.amdhsa_enable_private_segment 0
		.amdhsa_system_sgpr_workgroup_id_x 1
		.amdhsa_system_sgpr_workgroup_id_y 0
		.amdhsa_system_sgpr_workgroup_id_z 0
		.amdhsa_system_sgpr_workgroup_info 0
		.amdhsa_system_vgpr_workitem_id 0
		.amdhsa_next_free_vgpr 20
		.amdhsa_next_free_sgpr 28
		.amdhsa_reserve_vcc 1
		.amdhsa_float_round_mode_32 0
		.amdhsa_float_round_mode_16_64 0
		.amdhsa_float_denorm_mode_32 3
		.amdhsa_float_denorm_mode_16_64 3
		.amdhsa_dx10_clamp 1
		.amdhsa_ieee_mode 1
		.amdhsa_fp16_overflow 0
		.amdhsa_workgroup_processor_mode 1
		.amdhsa_memory_ordered 1
		.amdhsa_forward_progress 0
		.amdhsa_shared_vgpr_count 0
		.amdhsa_exception_fp_ieee_invalid_op 0
		.amdhsa_exception_fp_denorm_src 0
		.amdhsa_exception_fp_ieee_div_zero 0
		.amdhsa_exception_fp_ieee_overflow 0
		.amdhsa_exception_fp_ieee_underflow 0
		.amdhsa_exception_fp_ieee_inexact 0
		.amdhsa_exception_int_div_zero 0
	.end_amdhsa_kernel
	.section	.text._ZN9rocsparseL23gebsrmvn_general_kernelILj96ELj32E21rocsparse_complex_numIfEEEvi20rocsparse_direction_NS_24const_host_device_scalarIT1_EEPKiS8_PKS5_iiSA_S6_PS5_21rocsparse_index_base_b,"axG",@progbits,_ZN9rocsparseL23gebsrmvn_general_kernelILj96ELj32E21rocsparse_complex_numIfEEEvi20rocsparse_direction_NS_24const_host_device_scalarIT1_EEPKiS8_PKS5_iiSA_S6_PS5_21rocsparse_index_base_b,comdat
.Lfunc_end110:
	.size	_ZN9rocsparseL23gebsrmvn_general_kernelILj96ELj32E21rocsparse_complex_numIfEEEvi20rocsparse_direction_NS_24const_host_device_scalarIT1_EEPKiS8_PKS5_iiSA_S6_PS5_21rocsparse_index_base_b, .Lfunc_end110-_ZN9rocsparseL23gebsrmvn_general_kernelILj96ELj32E21rocsparse_complex_numIfEEEvi20rocsparse_direction_NS_24const_host_device_scalarIT1_EEPKiS8_PKS5_iiSA_S6_PS5_21rocsparse_index_base_b
                                        ; -- End function
	.section	.AMDGPU.csdata,"",@progbits
; Kernel info:
; codeLenInByte = 1268
; NumSgprs: 30
; NumVgprs: 20
; ScratchSize: 0
; MemoryBound: 0
; FloatMode: 240
; IeeeMode: 1
; LDSByteSize: 0 bytes/workgroup (compile time only)
; SGPRBlocks: 3
; VGPRBlocks: 2
; NumSGPRsForWavesPerEU: 30
; NumVGPRsForWavesPerEU: 20
; Occupancy: 16
; WaveLimiterHint : 1
; COMPUTE_PGM_RSRC2:SCRATCH_EN: 0
; COMPUTE_PGM_RSRC2:USER_SGPR: 15
; COMPUTE_PGM_RSRC2:TRAP_HANDLER: 0
; COMPUTE_PGM_RSRC2:TGID_X_EN: 1
; COMPUTE_PGM_RSRC2:TGID_Y_EN: 0
; COMPUTE_PGM_RSRC2:TGID_Z_EN: 0
; COMPUTE_PGM_RSRC2:TIDIG_COMP_CNT: 0
	.section	.text._ZN9rocsparseL19gebsrmvn_3xn_kernelILj128ELj1ELj4E21rocsparse_complex_numIdEEEvi20rocsparse_direction_NS_24const_host_device_scalarIT2_EEPKiS8_PKS5_SA_S6_PS5_21rocsparse_index_base_b,"axG",@progbits,_ZN9rocsparseL19gebsrmvn_3xn_kernelILj128ELj1ELj4E21rocsparse_complex_numIdEEEvi20rocsparse_direction_NS_24const_host_device_scalarIT2_EEPKiS8_PKS5_SA_S6_PS5_21rocsparse_index_base_b,comdat
	.globl	_ZN9rocsparseL19gebsrmvn_3xn_kernelILj128ELj1ELj4E21rocsparse_complex_numIdEEEvi20rocsparse_direction_NS_24const_host_device_scalarIT2_EEPKiS8_PKS5_SA_S6_PS5_21rocsparse_index_base_b ; -- Begin function _ZN9rocsparseL19gebsrmvn_3xn_kernelILj128ELj1ELj4E21rocsparse_complex_numIdEEEvi20rocsparse_direction_NS_24const_host_device_scalarIT2_EEPKiS8_PKS5_SA_S6_PS5_21rocsparse_index_base_b
	.p2align	8
	.type	_ZN9rocsparseL19gebsrmvn_3xn_kernelILj128ELj1ELj4E21rocsparse_complex_numIdEEEvi20rocsparse_direction_NS_24const_host_device_scalarIT2_EEPKiS8_PKS5_SA_S6_PS5_21rocsparse_index_base_b,@function
_ZN9rocsparseL19gebsrmvn_3xn_kernelILj128ELj1ELj4E21rocsparse_complex_numIdEEEvi20rocsparse_direction_NS_24const_host_device_scalarIT2_EEPKiS8_PKS5_SA_S6_PS5_21rocsparse_index_base_b: ; @_ZN9rocsparseL19gebsrmvn_3xn_kernelILj128ELj1ELj4E21rocsparse_complex_numIdEEEvi20rocsparse_direction_NS_24const_host_device_scalarIT2_EEPKiS8_PKS5_SA_S6_PS5_21rocsparse_index_base_b
; %bb.0:
	s_load_b64 s[12:13], s[2:3], 0x50
	s_load_b64 s[16:17], s[0:1], 0x4
	s_load_b128 s[8:11], s[2:3], 0x8
	v_bfe_u32 v1, v0, 10, 10
	s_mov_b64 s[0:1], src_shared_base
	s_load_b128 s[4:7], s[2:3], 0x38
	v_and_b32_e32 v10, 0x3ff, v0
	v_bfe_u32 v0, v0, 20, 10
	s_waitcnt lgkmcnt(0)
	s_bitcmp1_b32 s13, 0
	v_mul_u32_u24_e32 v1, s17, v1
	s_cselect_b32 s0, -1, 0
	s_delay_alu instid0(SALU_CYCLE_1)
	s_and_b32 vcc_lo, s0, exec_lo
	s_cselect_b32 s13, s1, s9
	s_lshr_b32 s14, s16, 16
	v_dual_mov_b32 v2, s4 :: v_dual_mov_b32 v3, s5
	s_mul_i32 s14, s14, s17
	v_mov_b32_e32 v6, s13
	v_mad_u32_u24 v1, s14, v10, v1
	s_delay_alu instid0(VALU_DEP_1) | instskip(SKIP_1) | instid1(VALU_DEP_2)
	v_add_lshl_u32 v4, v1, v0, 3
	v_dual_mov_b32 v0, s8 :: v_dual_mov_b32 v1, s9
	v_add_nc_u32_e32 v5, 0x400, v4
	ds_store_2addr_stride64_b64 v4, v[2:3], v[0:1] offset1:2
	v_dual_mov_b32 v2, s10 :: v_dual_mov_b32 v3, s11
	v_cndmask_b32_e64 v5, s8, v5, s0
	s_xor_b32 s10, s0, -1
	flat_load_b64 v[0:1], v[5:6]
	s_cbranch_vccnz .LBB111_2
; %bb.1:
	v_dual_mov_b32 v2, s8 :: v_dual_mov_b32 v3, s9
	flat_load_b64 v[2:3], v[2:3] offset:8
.LBB111_2:
	s_and_b32 s8, s0, exec_lo
	s_cselect_b32 s1, s1, s5
	v_cndmask_b32_e64 v4, s4, v4, s0
	v_dual_mov_b32 v5, s1 :: v_dual_mov_b32 v6, s6
	v_mov_b32_e32 v7, s7
	s_and_not1_b32 vcc_lo, exec_lo, s10
	flat_load_b64 v[4:5], v[4:5]
	s_cbranch_vccnz .LBB111_4
; %bb.3:
	v_dual_mov_b32 v7, s5 :: v_dual_mov_b32 v6, s4
	flat_load_b64 v[6:7], v[6:7] offset:8
.LBB111_4:
	s_waitcnt vmcnt(1) lgkmcnt(1)
	v_cmp_eq_f64_e32 vcc_lo, 0, v[0:1]
	v_cmp_eq_f64_e64 s0, 0, v[2:3]
	s_delay_alu instid0(VALU_DEP_1)
	s_and_b32 s4, vcc_lo, s0
	s_mov_b32 s0, -1
	s_and_saveexec_b32 s1, s4
	s_cbranch_execz .LBB111_6
; %bb.5:
	s_waitcnt vmcnt(0) lgkmcnt(0)
	v_cmp_neq_f64_e32 vcc_lo, 1.0, v[4:5]
	v_cmp_neq_f64_e64 s0, 0, v[6:7]
	s_delay_alu instid0(VALU_DEP_1) | instskip(NEXT) | instid1(SALU_CYCLE_1)
	s_or_b32 s0, vcc_lo, s0
	s_or_not1_b32 s0, s0, exec_lo
.LBB111_6:
	s_or_b32 exec_lo, exec_lo, s1
	s_and_saveexec_b32 s1, s0
	s_cbranch_execz .LBB111_25
; %bb.7:
	s_load_b64 s[0:1], s[2:3], 0x0
	v_lshrrev_b32_e32 v8, 2, v10
	s_delay_alu instid0(VALU_DEP_1) | instskip(SKIP_1) | instid1(VALU_DEP_1)
	v_lshl_or_b32 v8, s15, 5, v8
	s_waitcnt lgkmcnt(0)
	v_cmp_gt_i32_e32 vcc_lo, s0, v8
	s_and_b32 exec_lo, exec_lo, vcc_lo
	s_cbranch_execz .LBB111_25
; %bb.8:
	s_load_b256 s[4:11], s[2:3], 0x18
	v_ashrrev_i32_e32 v9, 31, v8
	v_and_b32_e32 v33, 3, v10
	s_cmp_lg_u32 s1, 0
	s_delay_alu instid0(VALU_DEP_2) | instskip(SKIP_1) | instid1(VALU_DEP_1)
	v_lshlrev_b64 v[11:12], 2, v[8:9]
	s_waitcnt lgkmcnt(0)
	v_add_co_u32 v11, vcc_lo, s4, v11
	s_delay_alu instid0(VALU_DEP_2) | instskip(SKIP_4) | instid1(VALU_DEP_2)
	v_add_co_ci_u32_e32 v12, vcc_lo, s5, v12, vcc_lo
	global_load_b64 v[11:12], v[11:12], off
	s_waitcnt vmcnt(0)
	v_subrev_nc_u32_e32 v9, s12, v11
	v_subrev_nc_u32_e32 v27, s12, v12
	v_add_nc_u32_e32 v19, v9, v33
	s_delay_alu instid0(VALU_DEP_1)
	v_cmp_lt_i32_e64 s0, v19, v27
	s_cbranch_scc0 .LBB111_14
; %bb.9:
	v_mov_b32_e32 v9, 0
	v_mov_b32_e32 v10, 0
	s_delay_alu instid0(VALU_DEP_1)
	v_dual_mov_b32 v16, v10 :: v_dual_mov_b32 v15, v9
	v_dual_mov_b32 v12, v10 :: v_dual_mov_b32 v11, v9
	;; [unrolled: 1-line block ×5, first 2 shown]
	s_and_saveexec_b32 s1, s0
	s_cbranch_execz .LBB111_13
; %bb.10:
	v_dual_mov_b32 v9, 0 :: v_dual_mov_b32 v24, 0
	v_dual_mov_b32 v10, 0 :: v_dual_mov_b32 v25, v19
	v_lshl_add_u32 v23, v19, 1, v19
	s_mov_b32 s4, 0
	s_delay_alu instid0(VALU_DEP_2)
	v_dual_mov_b32 v16, v10 :: v_dual_mov_b32 v15, v9
	v_dual_mov_b32 v12, v10 :: v_dual_mov_b32 v11, v9
	;; [unrolled: 1-line block ×5, first 2 shown]
.LBB111_11:                             ; =>This Inner Loop Header: Depth=1
	v_ashrrev_i32_e32 v26, 31, v25
	v_lshlrev_b64 v[34:35], 4, v[23:24]
	v_dual_mov_b32 v31, v24 :: v_dual_add_nc_u32 v30, 2, v23
	v_mov_b32_e32 v43, v24
	s_delay_alu instid0(VALU_DEP_4) | instskip(SKIP_1) | instid1(VALU_DEP_4)
	v_lshlrev_b64 v[28:29], 2, v[25:26]
	v_add_nc_u32_e32 v25, 4, v25
	v_lshlrev_b64 v[30:31], 4, v[30:31]
	s_delay_alu instid0(VALU_DEP_3) | instskip(NEXT) | instid1(VALU_DEP_4)
	v_add_co_u32 v28, vcc_lo, s6, v28
	v_add_co_ci_u32_e32 v29, vcc_lo, s7, v29, vcc_lo
	v_add_co_u32 v34, vcc_lo, s8, v34
	v_add_co_ci_u32_e32 v35, vcc_lo, s9, v35, vcc_lo
	global_load_b32 v20, v[28:29], off
	v_dual_mov_b32 v29, v24 :: v_dual_add_nc_u32 v28, 1, v23
	v_add_nc_u32_e32 v23, 12, v23
	s_delay_alu instid0(VALU_DEP_2) | instskip(NEXT) | instid1(VALU_DEP_1)
	v_lshlrev_b64 v[28:29], 4, v[28:29]
	v_add_co_u32 v36, vcc_lo, s8, v28
	s_delay_alu instid0(VALU_DEP_2)
	v_add_co_ci_u32_e32 v37, vcc_lo, s9, v29, vcc_lo
	v_add_co_u32 v38, vcc_lo, s8, v30
	v_add_co_ci_u32_e32 v39, vcc_lo, s9, v31, vcc_lo
	s_clause 0x2
	global_load_b128 v[28:31], v[34:35], off
	global_load_b128 v[34:37], v[36:37], off
	;; [unrolled: 1-line block ×3, first 2 shown]
	s_waitcnt vmcnt(3)
	v_subrev_nc_u32_e32 v42, s12, v20
	s_delay_alu instid0(VALU_DEP_1) | instskip(NEXT) | instid1(VALU_DEP_1)
	v_lshlrev_b64 v[42:43], 4, v[42:43]
	v_add_co_u32 v42, vcc_lo, s10, v42
	s_delay_alu instid0(VALU_DEP_2)
	v_add_co_ci_u32_e32 v43, vcc_lo, s11, v43, vcc_lo
	v_cmp_ge_i32_e32 vcc_lo, v25, v27
	global_load_b128 v[42:45], v[42:43], off
	s_or_b32 s4, vcc_lo, s4
	s_waitcnt vmcnt(0)
	v_fma_f64 v[15:16], v[28:29], v[42:43], v[15:16]
	v_fma_f64 v[9:10], v[30:31], v[42:43], v[9:10]
	;; [unrolled: 1-line block ×6, first 2 shown]
	v_fma_f64 v[15:16], -v[30:31], v[44:45], v[15:16]
	v_fma_f64 v[9:10], v[28:29], v[44:45], v[9:10]
	v_fma_f64 v[17:18], -v[36:37], v[44:45], v[17:18]
	v_fma_f64 v[21:22], v[34:35], v[44:45], v[20:21]
	;; [unrolled: 2-line block ×3, first 2 shown]
	s_and_not1_b32 exec_lo, exec_lo, s4
	s_cbranch_execnz .LBB111_11
; %bb.12:
	s_or_b32 exec_lo, exec_lo, s4
.LBB111_13:
	s_delay_alu instid0(SALU_CYCLE_1)
	s_or_b32 exec_lo, exec_lo, s1
	s_cbranch_execz .LBB111_15
	s_branch .LBB111_20
.LBB111_14:
                                        ; implicit-def: $vgpr9_vgpr10
                                        ; implicit-def: $vgpr15_vgpr16
                                        ; implicit-def: $vgpr11_vgpr12
                                        ; implicit-def: $vgpr13_vgpr14
                                        ; implicit-def: $vgpr17_vgpr18
                                        ; implicit-def: $vgpr21_vgpr22
.LBB111_15:
	v_mov_b32_e32 v9, 0
	v_mov_b32_e32 v10, 0
	s_delay_alu instid0(VALU_DEP_1)
	v_dual_mov_b32 v16, v10 :: v_dual_mov_b32 v15, v9
	v_dual_mov_b32 v12, v10 :: v_dual_mov_b32 v11, v9
	;; [unrolled: 1-line block ×5, first 2 shown]
	s_and_saveexec_b32 s1, s0
	s_cbranch_execz .LBB111_19
; %bb.16:
	v_dual_mov_b32 v9, 0 :: v_dual_mov_b32 v24, 0
	v_mov_b32_e32 v10, 0
	v_lshl_add_u32 v23, v19, 1, v19
	s_mov_b32 s0, 0
	s_delay_alu instid0(VALU_DEP_2)
	v_dual_mov_b32 v16, v10 :: v_dual_mov_b32 v15, v9
	v_dual_mov_b32 v12, v10 :: v_dual_mov_b32 v11, v9
	;; [unrolled: 1-line block ×5, first 2 shown]
.LBB111_17:                             ; =>This Inner Loop Header: Depth=1
	v_ashrrev_i32_e32 v20, 31, v19
	v_lshlrev_b64 v[30:31], 4, v[23:24]
	v_dual_mov_b32 v29, v24 :: v_dual_add_nc_u32 v28, 2, v23
	v_mov_b32_e32 v43, v24
	s_delay_alu instid0(VALU_DEP_4) | instskip(SKIP_1) | instid1(VALU_DEP_4)
	v_lshlrev_b64 v[25:26], 2, v[19:20]
	v_add_nc_u32_e32 v19, 4, v19
	v_lshlrev_b64 v[28:29], 4, v[28:29]
	s_delay_alu instid0(VALU_DEP_3) | instskip(NEXT) | instid1(VALU_DEP_4)
	v_add_co_u32 v25, vcc_lo, s6, v25
	v_add_co_ci_u32_e32 v26, vcc_lo, s7, v26, vcc_lo
	v_add_co_u32 v30, vcc_lo, s8, v30
	v_add_co_ci_u32_e32 v31, vcc_lo, s9, v31, vcc_lo
	global_load_b32 v20, v[25:26], off
	v_dual_mov_b32 v26, v24 :: v_dual_add_nc_u32 v25, 1, v23
	v_add_nc_u32_e32 v23, 12, v23
	s_delay_alu instid0(VALU_DEP_2) | instskip(NEXT) | instid1(VALU_DEP_1)
	v_lshlrev_b64 v[25:26], 4, v[25:26]
	v_add_co_u32 v25, vcc_lo, s8, v25
	s_delay_alu instid0(VALU_DEP_2)
	v_add_co_ci_u32_e32 v26, vcc_lo, s9, v26, vcc_lo
	v_add_co_u32 v38, vcc_lo, s8, v28
	v_add_co_ci_u32_e32 v39, vcc_lo, s9, v29, vcc_lo
	s_clause 0x2
	global_load_b128 v[28:31], v[30:31], off
	global_load_b128 v[34:37], v[25:26], off
	;; [unrolled: 1-line block ×3, first 2 shown]
	s_waitcnt vmcnt(3)
	v_subrev_nc_u32_e32 v42, s12, v20
	s_delay_alu instid0(VALU_DEP_1) | instskip(NEXT) | instid1(VALU_DEP_1)
	v_lshlrev_b64 v[25:26], 4, v[42:43]
	v_add_co_u32 v25, vcc_lo, s10, v25
	s_delay_alu instid0(VALU_DEP_2)
	v_add_co_ci_u32_e32 v26, vcc_lo, s11, v26, vcc_lo
	v_cmp_ge_i32_e32 vcc_lo, v19, v27
	global_load_b128 v[42:45], v[25:26], off
	s_or_b32 s0, vcc_lo, s0
	s_waitcnt vmcnt(0)
	v_fma_f64 v[15:16], v[28:29], v[42:43], v[15:16]
	v_fma_f64 v[9:10], v[30:31], v[42:43], v[9:10]
	;; [unrolled: 1-line block ×6, first 2 shown]
	v_fma_f64 v[15:16], -v[30:31], v[44:45], v[15:16]
	v_fma_f64 v[9:10], v[28:29], v[44:45], v[9:10]
	v_fma_f64 v[17:18], -v[36:37], v[44:45], v[17:18]
	v_fma_f64 v[21:22], v[34:35], v[44:45], v[20:21]
	v_fma_f64 v[11:12], -v[40:41], v[44:45], v[11:12]
	v_fma_f64 v[13:14], v[38:39], v[44:45], v[13:14]
	s_and_not1_b32 exec_lo, exec_lo, s0
	s_cbranch_execnz .LBB111_17
; %bb.18:
	s_or_b32 exec_lo, exec_lo, s0
.LBB111_19:
	s_delay_alu instid0(SALU_CYCLE_1)
	s_or_b32 exec_lo, exec_lo, s1
.LBB111_20:
	v_mbcnt_lo_u32_b32 v36, -1, 0
	s_delay_alu instid0(VALU_DEP_1) | instskip(NEXT) | instid1(VALU_DEP_1)
	v_xor_b32_e32 v19, 2, v36
	v_cmp_gt_i32_e32 vcc_lo, 32, v19
	v_cndmask_b32_e32 v19, v36, v19, vcc_lo
	s_delay_alu instid0(VALU_DEP_1)
	v_lshlrev_b32_e32 v25, 2, v19
	ds_bpermute_b32 v19, v25, v15
	ds_bpermute_b32 v20, v25, v16
	;; [unrolled: 1-line block ×12, first 2 shown]
	s_waitcnt lgkmcnt(10)
	v_add_f64 v[25:26], v[15:16], v[19:20]
	s_waitcnt lgkmcnt(8)
	v_add_f64 v[19:20], v[9:10], v[23:24]
	v_xor_b32_e32 v9, 1, v36
	s_waitcnt lgkmcnt(6)
	v_add_f64 v[23:24], v[17:18], v[27:28]
	s_waitcnt lgkmcnt(4)
	v_add_f64 v[17:18], v[21:22], v[29:30]
	;; [unrolled: 2-line block ×3, first 2 shown]
	v_cmp_gt_i32_e32 vcc_lo, 32, v9
	s_waitcnt lgkmcnt(0)
	v_add_f64 v[21:22], v[13:14], v[34:35]
	v_cndmask_b32_e32 v9, v36, v9, vcc_lo
	v_cmp_eq_u32_e32 vcc_lo, 3, v33
	s_delay_alu instid0(VALU_DEP_2)
	v_lshlrev_b32_e32 v28, 2, v9
	ds_bpermute_b32 v9, v28, v25
	ds_bpermute_b32 v10, v28, v26
	;; [unrolled: 1-line block ×12, first 2 shown]
	s_and_b32 exec_lo, exec_lo, vcc_lo
	s_cbranch_execz .LBB111_25
; %bb.21:
	v_cmp_eq_f64_e32 vcc_lo, 0, v[4:5]
	v_cmp_eq_f64_e64 s0, 0, v[6:7]
	s_waitcnt lgkmcnt(10)
	v_add_f64 v[9:10], v[25:26], v[9:10]
	s_waitcnt lgkmcnt(8)
	v_add_f64 v[19:20], v[19:20], v[31:32]
	;; [unrolled: 2-line block ×6, first 2 shown]
	s_load_b64 s[2:3], s[2:3], 0x48
	s_and_b32 s0, vcc_lo, s0
	s_delay_alu instid0(SALU_CYCLE_1) | instskip(NEXT) | instid1(SALU_CYCLE_1)
	s_and_saveexec_b32 s1, s0
	s_xor_b32 s0, exec_lo, s1
	s_cbranch_execz .LBB111_23
; %bb.22:
	v_mul_f64 v[4:5], v[19:20], -v[2:3]
	v_mul_f64 v[6:7], v[0:1], v[19:20]
	v_mul_f64 v[19:20], v[17:18], -v[2:3]
	v_mul_f64 v[17:18], v[0:1], v[17:18]
	;; [unrolled: 2-line block ×3, first 2 shown]
	v_fma_f64 v[4:5], v[0:1], v[9:10], v[4:5]
	v_fma_f64 v[6:7], v[2:3], v[9:10], v[6:7]
	;; [unrolled: 1-line block ×6, first 2 shown]
	v_lshl_add_u32 v13, v8, 1, v8
                                        ; implicit-def: $vgpr8
                                        ; implicit-def: $vgpr19_vgpr20
                                        ; implicit-def: $vgpr17_vgpr18
                                        ; implicit-def: $vgpr15_vgpr16
	s_delay_alu instid0(VALU_DEP_1) | instskip(NEXT) | instid1(VALU_DEP_1)
	v_ashrrev_i32_e32 v14, 31, v13
	v_lshlrev_b64 v[13:14], 4, v[13:14]
	s_waitcnt lgkmcnt(0)
	s_delay_alu instid0(VALU_DEP_1) | instskip(NEXT) | instid1(VALU_DEP_2)
	v_add_co_u32 v13, vcc_lo, s2, v13
	v_add_co_ci_u32_e32 v14, vcc_lo, s3, v14, vcc_lo
	s_clause 0x2
	global_store_b128 v[13:14], v[4:7], off
	global_store_b128 v[13:14], v[9:12], off offset:16
	global_store_b128 v[13:14], v[0:3], off offset:32
                                        ; implicit-def: $vgpr0_vgpr1
                                        ; implicit-def: $vgpr2_vgpr3
                                        ; implicit-def: $vgpr4_vgpr5
                                        ; implicit-def: $vgpr6_vgpr7
                                        ; implicit-def: $vgpr9_vgpr10
                                        ; implicit-def: $vgpr11_vgpr12
                                        ; implicit-def: $vgpr13_vgpr14
.LBB111_23:
	s_and_not1_saveexec_b32 s0, s0
	s_cbranch_execz .LBB111_25
; %bb.24:
	v_lshl_add_u32 v21, v8, 1, v8
	v_mul_f64 v[35:36], v[19:20], -v[2:3]
	v_mul_f64 v[19:20], v[0:1], v[19:20]
	v_mul_f64 v[37:38], v[17:18], -v[2:3]
	v_mul_f64 v[17:18], v[0:1], v[17:18]
	v_ashrrev_i32_e32 v22, 31, v21
	v_mul_f64 v[39:40], v[15:16], -v[2:3]
	v_mul_f64 v[15:16], v[0:1], v[15:16]
	s_delay_alu instid0(VALU_DEP_3) | instskip(SKIP_1) | instid1(VALU_DEP_1)
	v_lshlrev_b64 v[21:22], 4, v[21:22]
	s_waitcnt lgkmcnt(0)
	v_add_co_u32 v33, vcc_lo, s2, v21
	s_delay_alu instid0(VALU_DEP_2)
	v_add_co_ci_u32_e32 v34, vcc_lo, s3, v22, vcc_lo
	s_clause 0x2
	global_load_b128 v[21:24], v[33:34], off
	global_load_b128 v[25:28], v[33:34], off offset:16
	global_load_b128 v[29:32], v[33:34], off offset:32
	v_fma_f64 v[35:36], v[0:1], v[9:10], v[35:36]
	v_fma_f64 v[8:9], v[2:3], v[9:10], v[19:20]
	;; [unrolled: 1-line block ×6, first 2 shown]
	s_waitcnt vmcnt(2)
	v_fma_f64 v[12:13], v[4:5], v[21:22], v[35:36]
	v_fma_f64 v[8:9], v[6:7], v[21:22], v[8:9]
	s_waitcnt vmcnt(1)
	v_fma_f64 v[14:15], v[4:5], v[25:26], v[19:20]
	v_fma_f64 v[10:11], v[6:7], v[25:26], v[10:11]
	;; [unrolled: 3-line block ×3, first 2 shown]
	v_fma_f64 v[0:1], -v[6:7], v[23:24], v[12:13]
	v_fma_f64 v[2:3], v[4:5], v[23:24], v[8:9]
	v_fma_f64 v[8:9], -v[6:7], v[27:28], v[14:15]
	v_fma_f64 v[10:11], v[4:5], v[27:28], v[10:11]
	v_fma_f64 v[12:13], -v[6:7], v[31:32], v[16:17]
	v_fma_f64 v[14:15], v[4:5], v[31:32], v[18:19]
	s_clause 0x2
	global_store_b128 v[33:34], v[0:3], off
	global_store_b128 v[33:34], v[8:11], off offset:16
	global_store_b128 v[33:34], v[12:15], off offset:32
.LBB111_25:
	s_nop 0
	s_sendmsg sendmsg(MSG_DEALLOC_VGPRS)
	s_endpgm
	.section	.rodata,"a",@progbits
	.p2align	6, 0x0
	.amdhsa_kernel _ZN9rocsparseL19gebsrmvn_3xn_kernelILj128ELj1ELj4E21rocsparse_complex_numIdEEEvi20rocsparse_direction_NS_24const_host_device_scalarIT2_EEPKiS8_PKS5_SA_S6_PS5_21rocsparse_index_base_b
		.amdhsa_group_segment_fixed_size 2048
		.amdhsa_private_segment_fixed_size 0
		.amdhsa_kernarg_size 88
		.amdhsa_user_sgpr_count 15
		.amdhsa_user_sgpr_dispatch_ptr 1
		.amdhsa_user_sgpr_queue_ptr 0
		.amdhsa_user_sgpr_kernarg_segment_ptr 1
		.amdhsa_user_sgpr_dispatch_id 0
		.amdhsa_user_sgpr_private_segment_size 0
		.amdhsa_wavefront_size32 1
		.amdhsa_uses_dynamic_stack 0
		.amdhsa_enable_private_segment 0
		.amdhsa_system_sgpr_workgroup_id_x 1
		.amdhsa_system_sgpr_workgroup_id_y 0
		.amdhsa_system_sgpr_workgroup_id_z 0
		.amdhsa_system_sgpr_workgroup_info 0
		.amdhsa_system_vgpr_workitem_id 2
		.amdhsa_next_free_vgpr 46
		.amdhsa_next_free_sgpr 18
		.amdhsa_reserve_vcc 1
		.amdhsa_float_round_mode_32 0
		.amdhsa_float_round_mode_16_64 0
		.amdhsa_float_denorm_mode_32 3
		.amdhsa_float_denorm_mode_16_64 3
		.amdhsa_dx10_clamp 1
		.amdhsa_ieee_mode 1
		.amdhsa_fp16_overflow 0
		.amdhsa_workgroup_processor_mode 1
		.amdhsa_memory_ordered 1
		.amdhsa_forward_progress 0
		.amdhsa_shared_vgpr_count 0
		.amdhsa_exception_fp_ieee_invalid_op 0
		.amdhsa_exception_fp_denorm_src 0
		.amdhsa_exception_fp_ieee_div_zero 0
		.amdhsa_exception_fp_ieee_overflow 0
		.amdhsa_exception_fp_ieee_underflow 0
		.amdhsa_exception_fp_ieee_inexact 0
		.amdhsa_exception_int_div_zero 0
	.end_amdhsa_kernel
	.section	.text._ZN9rocsparseL19gebsrmvn_3xn_kernelILj128ELj1ELj4E21rocsparse_complex_numIdEEEvi20rocsparse_direction_NS_24const_host_device_scalarIT2_EEPKiS8_PKS5_SA_S6_PS5_21rocsparse_index_base_b,"axG",@progbits,_ZN9rocsparseL19gebsrmvn_3xn_kernelILj128ELj1ELj4E21rocsparse_complex_numIdEEEvi20rocsparse_direction_NS_24const_host_device_scalarIT2_EEPKiS8_PKS5_SA_S6_PS5_21rocsparse_index_base_b,comdat
.Lfunc_end111:
	.size	_ZN9rocsparseL19gebsrmvn_3xn_kernelILj128ELj1ELj4E21rocsparse_complex_numIdEEEvi20rocsparse_direction_NS_24const_host_device_scalarIT2_EEPKiS8_PKS5_SA_S6_PS5_21rocsparse_index_base_b, .Lfunc_end111-_ZN9rocsparseL19gebsrmvn_3xn_kernelILj128ELj1ELj4E21rocsparse_complex_numIdEEEvi20rocsparse_direction_NS_24const_host_device_scalarIT2_EEPKiS8_PKS5_SA_S6_PS5_21rocsparse_index_base_b
                                        ; -- End function
	.section	.AMDGPU.csdata,"",@progbits
; Kernel info:
; codeLenInByte = 2340
; NumSgprs: 20
; NumVgprs: 46
; ScratchSize: 0
; MemoryBound: 0
; FloatMode: 240
; IeeeMode: 1
; LDSByteSize: 2048 bytes/workgroup (compile time only)
; SGPRBlocks: 2
; VGPRBlocks: 5
; NumSGPRsForWavesPerEU: 20
; NumVGPRsForWavesPerEU: 46
; Occupancy: 16
; WaveLimiterHint : 1
; COMPUTE_PGM_RSRC2:SCRATCH_EN: 0
; COMPUTE_PGM_RSRC2:USER_SGPR: 15
; COMPUTE_PGM_RSRC2:TRAP_HANDLER: 0
; COMPUTE_PGM_RSRC2:TGID_X_EN: 1
; COMPUTE_PGM_RSRC2:TGID_Y_EN: 0
; COMPUTE_PGM_RSRC2:TGID_Z_EN: 0
; COMPUTE_PGM_RSRC2:TIDIG_COMP_CNT: 2
	.section	.text._ZN9rocsparseL19gebsrmvn_3xn_kernelILj128ELj1ELj8E21rocsparse_complex_numIdEEEvi20rocsparse_direction_NS_24const_host_device_scalarIT2_EEPKiS8_PKS5_SA_S6_PS5_21rocsparse_index_base_b,"axG",@progbits,_ZN9rocsparseL19gebsrmvn_3xn_kernelILj128ELj1ELj8E21rocsparse_complex_numIdEEEvi20rocsparse_direction_NS_24const_host_device_scalarIT2_EEPKiS8_PKS5_SA_S6_PS5_21rocsparse_index_base_b,comdat
	.globl	_ZN9rocsparseL19gebsrmvn_3xn_kernelILj128ELj1ELj8E21rocsparse_complex_numIdEEEvi20rocsparse_direction_NS_24const_host_device_scalarIT2_EEPKiS8_PKS5_SA_S6_PS5_21rocsparse_index_base_b ; -- Begin function _ZN9rocsparseL19gebsrmvn_3xn_kernelILj128ELj1ELj8E21rocsparse_complex_numIdEEEvi20rocsparse_direction_NS_24const_host_device_scalarIT2_EEPKiS8_PKS5_SA_S6_PS5_21rocsparse_index_base_b
	.p2align	8
	.type	_ZN9rocsparseL19gebsrmvn_3xn_kernelILj128ELj1ELj8E21rocsparse_complex_numIdEEEvi20rocsparse_direction_NS_24const_host_device_scalarIT2_EEPKiS8_PKS5_SA_S6_PS5_21rocsparse_index_base_b,@function
_ZN9rocsparseL19gebsrmvn_3xn_kernelILj128ELj1ELj8E21rocsparse_complex_numIdEEEvi20rocsparse_direction_NS_24const_host_device_scalarIT2_EEPKiS8_PKS5_SA_S6_PS5_21rocsparse_index_base_b: ; @_ZN9rocsparseL19gebsrmvn_3xn_kernelILj128ELj1ELj8E21rocsparse_complex_numIdEEEvi20rocsparse_direction_NS_24const_host_device_scalarIT2_EEPKiS8_PKS5_SA_S6_PS5_21rocsparse_index_base_b
; %bb.0:
	s_load_b64 s[12:13], s[2:3], 0x50
	s_load_b64 s[16:17], s[0:1], 0x4
	s_load_b128 s[8:11], s[2:3], 0x8
	v_bfe_u32 v1, v0, 10, 10
	s_mov_b64 s[0:1], src_shared_base
	s_load_b128 s[4:7], s[2:3], 0x38
	v_and_b32_e32 v10, 0x3ff, v0
	v_bfe_u32 v0, v0, 20, 10
	s_waitcnt lgkmcnt(0)
	s_bitcmp1_b32 s13, 0
	v_mul_u32_u24_e32 v1, s17, v1
	s_cselect_b32 s0, -1, 0
	s_delay_alu instid0(SALU_CYCLE_1)
	s_and_b32 vcc_lo, s0, exec_lo
	s_cselect_b32 s13, s1, s9
	s_lshr_b32 s14, s16, 16
	v_dual_mov_b32 v2, s4 :: v_dual_mov_b32 v3, s5
	s_mul_i32 s14, s14, s17
	v_mov_b32_e32 v6, s13
	v_mad_u32_u24 v1, s14, v10, v1
	s_delay_alu instid0(VALU_DEP_1) | instskip(SKIP_1) | instid1(VALU_DEP_2)
	v_add_lshl_u32 v4, v1, v0, 3
	v_dual_mov_b32 v0, s8 :: v_dual_mov_b32 v1, s9
	v_add_nc_u32_e32 v5, 0x400, v4
	ds_store_2addr_stride64_b64 v4, v[2:3], v[0:1] offset1:2
	v_dual_mov_b32 v2, s10 :: v_dual_mov_b32 v3, s11
	v_cndmask_b32_e64 v5, s8, v5, s0
	s_xor_b32 s10, s0, -1
	flat_load_b64 v[0:1], v[5:6]
	s_cbranch_vccnz .LBB112_2
; %bb.1:
	v_dual_mov_b32 v2, s8 :: v_dual_mov_b32 v3, s9
	flat_load_b64 v[2:3], v[2:3] offset:8
.LBB112_2:
	s_and_b32 s8, s0, exec_lo
	s_cselect_b32 s1, s1, s5
	v_cndmask_b32_e64 v4, s4, v4, s0
	v_dual_mov_b32 v5, s1 :: v_dual_mov_b32 v6, s6
	v_mov_b32_e32 v7, s7
	s_and_not1_b32 vcc_lo, exec_lo, s10
	flat_load_b64 v[4:5], v[4:5]
	s_cbranch_vccnz .LBB112_4
; %bb.3:
	v_dual_mov_b32 v7, s5 :: v_dual_mov_b32 v6, s4
	flat_load_b64 v[6:7], v[6:7] offset:8
.LBB112_4:
	s_waitcnt vmcnt(1) lgkmcnt(1)
	v_cmp_eq_f64_e32 vcc_lo, 0, v[0:1]
	v_cmp_eq_f64_e64 s0, 0, v[2:3]
	s_delay_alu instid0(VALU_DEP_1)
	s_and_b32 s4, vcc_lo, s0
	s_mov_b32 s0, -1
	s_and_saveexec_b32 s1, s4
	s_cbranch_execz .LBB112_6
; %bb.5:
	s_waitcnt vmcnt(0) lgkmcnt(0)
	v_cmp_neq_f64_e32 vcc_lo, 1.0, v[4:5]
	v_cmp_neq_f64_e64 s0, 0, v[6:7]
	s_delay_alu instid0(VALU_DEP_1) | instskip(NEXT) | instid1(SALU_CYCLE_1)
	s_or_b32 s0, vcc_lo, s0
	s_or_not1_b32 s0, s0, exec_lo
.LBB112_6:
	s_or_b32 exec_lo, exec_lo, s1
	s_and_saveexec_b32 s1, s0
	s_cbranch_execz .LBB112_25
; %bb.7:
	s_load_b64 s[0:1], s[2:3], 0x0
	v_lshrrev_b32_e32 v8, 3, v10
	s_delay_alu instid0(VALU_DEP_1) | instskip(SKIP_1) | instid1(VALU_DEP_1)
	v_lshl_or_b32 v8, s15, 4, v8
	s_waitcnt lgkmcnt(0)
	v_cmp_gt_i32_e32 vcc_lo, s0, v8
	s_and_b32 exec_lo, exec_lo, vcc_lo
	s_cbranch_execz .LBB112_25
; %bb.8:
	s_load_b256 s[4:11], s[2:3], 0x18
	v_ashrrev_i32_e32 v9, 31, v8
	v_and_b32_e32 v33, 7, v10
	s_cmp_lg_u32 s1, 0
	s_delay_alu instid0(VALU_DEP_2) | instskip(SKIP_1) | instid1(VALU_DEP_1)
	v_lshlrev_b64 v[11:12], 2, v[8:9]
	s_waitcnt lgkmcnt(0)
	v_add_co_u32 v11, vcc_lo, s4, v11
	s_delay_alu instid0(VALU_DEP_2) | instskip(SKIP_4) | instid1(VALU_DEP_2)
	v_add_co_ci_u32_e32 v12, vcc_lo, s5, v12, vcc_lo
	global_load_b64 v[11:12], v[11:12], off
	s_waitcnt vmcnt(0)
	v_subrev_nc_u32_e32 v9, s12, v11
	v_subrev_nc_u32_e32 v26, s12, v12
	v_add_nc_u32_e32 v21, v9, v33
	s_delay_alu instid0(VALU_DEP_1)
	v_cmp_lt_i32_e64 s0, v21, v26
	s_cbranch_scc0 .LBB112_14
; %bb.9:
	v_mov_b32_e32 v9, 0
	v_mov_b32_e32 v10, 0
	s_delay_alu instid0(VALU_DEP_1)
	v_dual_mov_b32 v16, v10 :: v_dual_mov_b32 v15, v9
	v_dual_mov_b32 v12, v10 :: v_dual_mov_b32 v11, v9
	;; [unrolled: 1-line block ×5, first 2 shown]
	s_and_saveexec_b32 s1, s0
	s_cbranch_execz .LBB112_13
; %bb.10:
	v_dual_mov_b32 v9, 0 :: v_dual_mov_b32 v24, v21
	v_dual_mov_b32 v10, 0 :: v_dual_mov_b32 v23, 0
	v_lshl_add_u32 v22, v21, 1, v21
	s_mov_b32 s4, 0
	s_delay_alu instid0(VALU_DEP_2)
	v_dual_mov_b32 v16, v10 :: v_dual_mov_b32 v15, v9
	v_dual_mov_b32 v12, v10 :: v_dual_mov_b32 v11, v9
	;; [unrolled: 1-line block ×5, first 2 shown]
.LBB112_11:                             ; =>This Inner Loop Header: Depth=1
	v_ashrrev_i32_e32 v25, 31, v24
	v_lshlrev_b64 v[31:32], 4, v[22:23]
	v_dual_mov_b32 v30, v23 :: v_dual_add_nc_u32 v29, 2, v22
	v_mov_b32_e32 v43, v23
	s_delay_alu instid0(VALU_DEP_4) | instskip(SKIP_1) | instid1(VALU_DEP_4)
	v_lshlrev_b64 v[27:28], 2, v[24:25]
	v_add_nc_u32_e32 v24, 8, v24
	v_lshlrev_b64 v[29:30], 4, v[29:30]
	s_delay_alu instid0(VALU_DEP_3) | instskip(NEXT) | instid1(VALU_DEP_4)
	v_add_co_u32 v27, vcc_lo, s6, v27
	v_add_co_ci_u32_e32 v28, vcc_lo, s7, v28, vcc_lo
	v_add_co_u32 v31, vcc_lo, s8, v31
	v_add_co_ci_u32_e32 v32, vcc_lo, s9, v32, vcc_lo
	global_load_b32 v25, v[27:28], off
	v_dual_mov_b32 v28, v23 :: v_dual_add_nc_u32 v27, 1, v22
	v_add_nc_u32_e32 v22, 24, v22
	s_delay_alu instid0(VALU_DEP_2) | instskip(NEXT) | instid1(VALU_DEP_1)
	v_lshlrev_b64 v[27:28], 4, v[27:28]
	v_add_co_u32 v34, vcc_lo, s8, v27
	s_delay_alu instid0(VALU_DEP_2)
	v_add_co_ci_u32_e32 v35, vcc_lo, s9, v28, vcc_lo
	v_add_co_u32 v38, vcc_lo, s8, v29
	v_add_co_ci_u32_e32 v39, vcc_lo, s9, v30, vcc_lo
	s_clause 0x2
	global_load_b128 v[27:30], v[31:32], off
	global_load_b128 v[34:37], v[34:35], off
	;; [unrolled: 1-line block ×3, first 2 shown]
	s_waitcnt vmcnt(3)
	v_subrev_nc_u32_e32 v42, s12, v25
	s_delay_alu instid0(VALU_DEP_1) | instskip(NEXT) | instid1(VALU_DEP_1)
	v_lshlrev_b64 v[31:32], 4, v[42:43]
	v_add_co_u32 v31, vcc_lo, s10, v31
	s_delay_alu instid0(VALU_DEP_2)
	v_add_co_ci_u32_e32 v32, vcc_lo, s11, v32, vcc_lo
	v_cmp_ge_i32_e32 vcc_lo, v24, v26
	global_load_b128 v[42:45], v[31:32], off
	s_or_b32 s4, vcc_lo, s4
	s_waitcnt vmcnt(0)
	v_fma_f64 v[15:16], v[27:28], v[42:43], v[15:16]
	v_fma_f64 v[9:10], v[29:30], v[42:43], v[9:10]
	v_fma_f64 v[17:18], v[34:35], v[42:43], v[17:18]
	v_fma_f64 v[19:20], v[36:37], v[42:43], v[19:20]
	v_fma_f64 v[11:12], v[38:39], v[42:43], v[11:12]
	v_fma_f64 v[13:14], v[40:41], v[42:43], v[13:14]
	v_fma_f64 v[15:16], -v[29:30], v[44:45], v[15:16]
	v_fma_f64 v[9:10], v[27:28], v[44:45], v[9:10]
	v_fma_f64 v[17:18], -v[36:37], v[44:45], v[17:18]
	v_fma_f64 v[19:20], v[34:35], v[44:45], v[19:20]
	;; [unrolled: 2-line block ×3, first 2 shown]
	s_and_not1_b32 exec_lo, exec_lo, s4
	s_cbranch_execnz .LBB112_11
; %bb.12:
	s_or_b32 exec_lo, exec_lo, s4
.LBB112_13:
	s_delay_alu instid0(SALU_CYCLE_1)
	s_or_b32 exec_lo, exec_lo, s1
	s_cbranch_execz .LBB112_15
	s_branch .LBB112_20
.LBB112_14:
                                        ; implicit-def: $vgpr9_vgpr10
                                        ; implicit-def: $vgpr15_vgpr16
                                        ; implicit-def: $vgpr11_vgpr12
                                        ; implicit-def: $vgpr13_vgpr14
                                        ; implicit-def: $vgpr17_vgpr18
                                        ; implicit-def: $vgpr19_vgpr20
.LBB112_15:
	v_mov_b32_e32 v9, 0
	v_mov_b32_e32 v10, 0
	s_delay_alu instid0(VALU_DEP_1)
	v_dual_mov_b32 v16, v10 :: v_dual_mov_b32 v15, v9
	v_dual_mov_b32 v12, v10 :: v_dual_mov_b32 v11, v9
	;; [unrolled: 1-line block ×5, first 2 shown]
	s_and_saveexec_b32 s1, s0
	s_cbranch_execz .LBB112_19
; %bb.16:
	v_dual_mov_b32 v9, 0 :: v_dual_mov_b32 v24, 0
	v_mov_b32_e32 v10, 0
	v_lshl_add_u32 v23, v21, 1, v21
	s_mov_b32 s0, 0
	s_delay_alu instid0(VALU_DEP_2)
	v_dual_mov_b32 v16, v10 :: v_dual_mov_b32 v15, v9
	v_dual_mov_b32 v12, v10 :: v_dual_mov_b32 v11, v9
	v_dual_mov_b32 v14, v10 :: v_dual_mov_b32 v13, v9
	v_dual_mov_b32 v18, v10 :: v_dual_mov_b32 v17, v9
	v_dual_mov_b32 v20, v10 :: v_dual_mov_b32 v19, v9
.LBB112_17:                             ; =>This Inner Loop Header: Depth=1
	v_ashrrev_i32_e32 v22, 31, v21
	v_lshlrev_b64 v[31:32], 4, v[23:24]
	v_dual_mov_b32 v30, v24 :: v_dual_add_nc_u32 v29, 2, v23
	v_mov_b32_e32 v43, v24
	s_delay_alu instid0(VALU_DEP_4) | instskip(SKIP_1) | instid1(VALU_DEP_4)
	v_lshlrev_b64 v[27:28], 2, v[21:22]
	v_add_nc_u32_e32 v21, 8, v21
	v_lshlrev_b64 v[29:30], 4, v[29:30]
	s_delay_alu instid0(VALU_DEP_3) | instskip(NEXT) | instid1(VALU_DEP_4)
	v_add_co_u32 v27, vcc_lo, s6, v27
	v_add_co_ci_u32_e32 v28, vcc_lo, s7, v28, vcc_lo
	v_add_co_u32 v31, vcc_lo, s8, v31
	v_add_co_ci_u32_e32 v32, vcc_lo, s9, v32, vcc_lo
	global_load_b32 v22, v[27:28], off
	v_dual_mov_b32 v28, v24 :: v_dual_add_nc_u32 v27, 1, v23
	v_add_nc_u32_e32 v23, 24, v23
	s_delay_alu instid0(VALU_DEP_2) | instskip(NEXT) | instid1(VALU_DEP_1)
	v_lshlrev_b64 v[27:28], 4, v[27:28]
	v_add_co_u32 v34, vcc_lo, s8, v27
	s_delay_alu instid0(VALU_DEP_2)
	v_add_co_ci_u32_e32 v35, vcc_lo, s9, v28, vcc_lo
	v_add_co_u32 v38, vcc_lo, s8, v29
	v_add_co_ci_u32_e32 v39, vcc_lo, s9, v30, vcc_lo
	s_clause 0x2
	global_load_b128 v[27:30], v[31:32], off
	global_load_b128 v[34:37], v[34:35], off
	;; [unrolled: 1-line block ×3, first 2 shown]
	s_waitcnt vmcnt(3)
	v_subrev_nc_u32_e32 v42, s12, v22
	s_delay_alu instid0(VALU_DEP_1) | instskip(NEXT) | instid1(VALU_DEP_1)
	v_lshlrev_b64 v[31:32], 4, v[42:43]
	v_add_co_u32 v31, vcc_lo, s10, v31
	s_delay_alu instid0(VALU_DEP_2)
	v_add_co_ci_u32_e32 v32, vcc_lo, s11, v32, vcc_lo
	v_cmp_ge_i32_e32 vcc_lo, v21, v26
	global_load_b128 v[42:45], v[31:32], off
	s_or_b32 s0, vcc_lo, s0
	s_waitcnt vmcnt(0)
	v_fma_f64 v[15:16], v[27:28], v[42:43], v[15:16]
	v_fma_f64 v[9:10], v[29:30], v[42:43], v[9:10]
	v_fma_f64 v[17:18], v[34:35], v[42:43], v[17:18]
	v_fma_f64 v[19:20], v[36:37], v[42:43], v[19:20]
	v_fma_f64 v[11:12], v[38:39], v[42:43], v[11:12]
	v_fma_f64 v[13:14], v[40:41], v[42:43], v[13:14]
	v_fma_f64 v[15:16], -v[29:30], v[44:45], v[15:16]
	v_fma_f64 v[9:10], v[27:28], v[44:45], v[9:10]
	v_fma_f64 v[17:18], -v[36:37], v[44:45], v[17:18]
	v_fma_f64 v[19:20], v[34:35], v[44:45], v[19:20]
	;; [unrolled: 2-line block ×3, first 2 shown]
	s_and_not1_b32 exec_lo, exec_lo, s0
	s_cbranch_execnz .LBB112_17
; %bb.18:
	s_or_b32 exec_lo, exec_lo, s0
.LBB112_19:
	s_delay_alu instid0(SALU_CYCLE_1)
	s_or_b32 exec_lo, exec_lo, s1
.LBB112_20:
	v_mbcnt_lo_u32_b32 v36, -1, 0
	s_delay_alu instid0(VALU_DEP_1) | instskip(NEXT) | instid1(VALU_DEP_1)
	v_xor_b32_e32 v21, 4, v36
	v_cmp_gt_i32_e32 vcc_lo, 32, v21
	v_cndmask_b32_e32 v21, v36, v21, vcc_lo
	s_delay_alu instid0(VALU_DEP_1)
	v_lshlrev_b32_e32 v32, 2, v21
	ds_bpermute_b32 v21, v32, v15
	ds_bpermute_b32 v22, v32, v16
	;; [unrolled: 1-line block ×12, first 2 shown]
	s_waitcnt lgkmcnt(10)
	v_add_f64 v[15:16], v[15:16], v[21:22]
	s_waitcnt lgkmcnt(8)
	v_add_f64 v[21:22], v[9:10], v[23:24]
	v_xor_b32_e32 v9, 2, v36
	s_waitcnt lgkmcnt(6)
	v_add_f64 v[17:18], v[17:18], v[25:26]
	s_waitcnt lgkmcnt(4)
	v_add_f64 v[23:24], v[19:20], v[27:28]
	;; [unrolled: 2-line block ×3, first 2 shown]
	v_cmp_gt_i32_e32 vcc_lo, 32, v9
	s_waitcnt lgkmcnt(0)
	v_add_f64 v[27:28], v[13:14], v[31:32]
	v_cndmask_b32_e32 v9, v36, v9, vcc_lo
	s_delay_alu instid0(VALU_DEP_1)
	v_lshlrev_b32_e32 v19, 2, v9
	ds_bpermute_b32 v9, v19, v15
	ds_bpermute_b32 v10, v19, v16
	ds_bpermute_b32 v11, v19, v21
	ds_bpermute_b32 v12, v19, v22
	ds_bpermute_b32 v13, v19, v17
	ds_bpermute_b32 v14, v19, v18
	ds_bpermute_b32 v29, v19, v23
	ds_bpermute_b32 v30, v19, v24
	ds_bpermute_b32 v31, v19, v25
	ds_bpermute_b32 v32, v19, v26
	ds_bpermute_b32 v34, v19, v27
	ds_bpermute_b32 v35, v19, v28
	s_waitcnt lgkmcnt(10)
	v_add_f64 v[9:10], v[15:16], v[9:10]
	s_waitcnt lgkmcnt(8)
	v_add_f64 v[19:20], v[21:22], v[11:12]
	v_xor_b32_e32 v21, 1, v36
	s_waitcnt lgkmcnt(6)
	v_add_f64 v[11:12], v[17:18], v[13:14]
	s_waitcnt lgkmcnt(4)
	v_add_f64 v[17:18], v[23:24], v[29:30]
	;; [unrolled: 2-line block ×3, first 2 shown]
	v_cmp_gt_i32_e32 vcc_lo, 32, v21
	s_waitcnt lgkmcnt(0)
	v_add_f64 v[15:16], v[27:28], v[34:35]
	v_cndmask_b32_e32 v21, v36, v21, vcc_lo
	v_cmp_eq_u32_e32 vcc_lo, 7, v33
	s_delay_alu instid0(VALU_DEP_2)
	v_lshlrev_b32_e32 v24, 2, v21
	ds_bpermute_b32 v31, v24, v9
	ds_bpermute_b32 v32, v24, v10
	;; [unrolled: 1-line block ×12, first 2 shown]
	s_and_b32 exec_lo, exec_lo, vcc_lo
	s_cbranch_execz .LBB112_25
; %bb.21:
	v_cmp_eq_f64_e32 vcc_lo, 0, v[4:5]
	v_cmp_eq_f64_e64 s0, 0, v[6:7]
	s_waitcnt lgkmcnt(10)
	v_add_f64 v[9:10], v[9:10], v[31:32]
	s_waitcnt lgkmcnt(8)
	v_add_f64 v[19:20], v[19:20], v[29:30]
	;; [unrolled: 2-line block ×6, first 2 shown]
	s_load_b64 s[2:3], s[2:3], 0x48
	s_and_b32 s0, vcc_lo, s0
	s_delay_alu instid0(SALU_CYCLE_1) | instskip(NEXT) | instid1(SALU_CYCLE_1)
	s_and_saveexec_b32 s1, s0
	s_xor_b32 s0, exec_lo, s1
	s_cbranch_execz .LBB112_23
; %bb.22:
	v_mul_f64 v[4:5], v[19:20], -v[2:3]
	v_mul_f64 v[6:7], v[0:1], v[19:20]
	v_mul_f64 v[19:20], v[17:18], -v[2:3]
	v_mul_f64 v[17:18], v[0:1], v[17:18]
	;; [unrolled: 2-line block ×3, first 2 shown]
	v_fma_f64 v[4:5], v[0:1], v[9:10], v[4:5]
	v_fma_f64 v[6:7], v[2:3], v[9:10], v[6:7]
	;; [unrolled: 1-line block ×6, first 2 shown]
	v_lshl_add_u32 v13, v8, 1, v8
                                        ; implicit-def: $vgpr8
                                        ; implicit-def: $vgpr19_vgpr20
                                        ; implicit-def: $vgpr17_vgpr18
                                        ; implicit-def: $vgpr15_vgpr16
	s_delay_alu instid0(VALU_DEP_1) | instskip(NEXT) | instid1(VALU_DEP_1)
	v_ashrrev_i32_e32 v14, 31, v13
	v_lshlrev_b64 v[13:14], 4, v[13:14]
	s_waitcnt lgkmcnt(0)
	s_delay_alu instid0(VALU_DEP_1) | instskip(NEXT) | instid1(VALU_DEP_2)
	v_add_co_u32 v13, vcc_lo, s2, v13
	v_add_co_ci_u32_e32 v14, vcc_lo, s3, v14, vcc_lo
	s_clause 0x2
	global_store_b128 v[13:14], v[4:7], off
	global_store_b128 v[13:14], v[9:12], off offset:16
	global_store_b128 v[13:14], v[0:3], off offset:32
                                        ; implicit-def: $vgpr0_vgpr1
                                        ; implicit-def: $vgpr2_vgpr3
                                        ; implicit-def: $vgpr4_vgpr5
                                        ; implicit-def: $vgpr6_vgpr7
                                        ; implicit-def: $vgpr9_vgpr10
                                        ; implicit-def: $vgpr11_vgpr12
                                        ; implicit-def: $vgpr13_vgpr14
.LBB112_23:
	s_and_not1_saveexec_b32 s0, s0
	s_cbranch_execz .LBB112_25
; %bb.24:
	v_lshl_add_u32 v21, v8, 1, v8
	v_mul_f64 v[35:36], v[19:20], -v[2:3]
	v_mul_f64 v[19:20], v[0:1], v[19:20]
	v_mul_f64 v[37:38], v[17:18], -v[2:3]
	v_mul_f64 v[17:18], v[0:1], v[17:18]
	v_ashrrev_i32_e32 v22, 31, v21
	v_mul_f64 v[39:40], v[15:16], -v[2:3]
	v_mul_f64 v[15:16], v[0:1], v[15:16]
	s_delay_alu instid0(VALU_DEP_3) | instskip(SKIP_1) | instid1(VALU_DEP_1)
	v_lshlrev_b64 v[21:22], 4, v[21:22]
	s_waitcnt lgkmcnt(0)
	v_add_co_u32 v33, vcc_lo, s2, v21
	s_delay_alu instid0(VALU_DEP_2)
	v_add_co_ci_u32_e32 v34, vcc_lo, s3, v22, vcc_lo
	s_clause 0x2
	global_load_b128 v[21:24], v[33:34], off
	global_load_b128 v[25:28], v[33:34], off offset:16
	global_load_b128 v[29:32], v[33:34], off offset:32
	v_fma_f64 v[35:36], v[0:1], v[9:10], v[35:36]
	v_fma_f64 v[8:9], v[2:3], v[9:10], v[19:20]
	;; [unrolled: 1-line block ×6, first 2 shown]
	s_waitcnt vmcnt(2)
	v_fma_f64 v[12:13], v[4:5], v[21:22], v[35:36]
	v_fma_f64 v[8:9], v[6:7], v[21:22], v[8:9]
	s_waitcnt vmcnt(1)
	v_fma_f64 v[14:15], v[4:5], v[25:26], v[19:20]
	v_fma_f64 v[10:11], v[6:7], v[25:26], v[10:11]
	;; [unrolled: 3-line block ×3, first 2 shown]
	v_fma_f64 v[0:1], -v[6:7], v[23:24], v[12:13]
	v_fma_f64 v[2:3], v[4:5], v[23:24], v[8:9]
	v_fma_f64 v[8:9], -v[6:7], v[27:28], v[14:15]
	v_fma_f64 v[10:11], v[4:5], v[27:28], v[10:11]
	;; [unrolled: 2-line block ×3, first 2 shown]
	s_clause 0x2
	global_store_b128 v[33:34], v[0:3], off
	global_store_b128 v[33:34], v[8:11], off offset:16
	global_store_b128 v[33:34], v[12:15], off offset:32
.LBB112_25:
	s_nop 0
	s_sendmsg sendmsg(MSG_DEALLOC_VGPRS)
	s_endpgm
	.section	.rodata,"a",@progbits
	.p2align	6, 0x0
	.amdhsa_kernel _ZN9rocsparseL19gebsrmvn_3xn_kernelILj128ELj1ELj8E21rocsparse_complex_numIdEEEvi20rocsparse_direction_NS_24const_host_device_scalarIT2_EEPKiS8_PKS5_SA_S6_PS5_21rocsparse_index_base_b
		.amdhsa_group_segment_fixed_size 2048
		.amdhsa_private_segment_fixed_size 0
		.amdhsa_kernarg_size 88
		.amdhsa_user_sgpr_count 15
		.amdhsa_user_sgpr_dispatch_ptr 1
		.amdhsa_user_sgpr_queue_ptr 0
		.amdhsa_user_sgpr_kernarg_segment_ptr 1
		.amdhsa_user_sgpr_dispatch_id 0
		.amdhsa_user_sgpr_private_segment_size 0
		.amdhsa_wavefront_size32 1
		.amdhsa_uses_dynamic_stack 0
		.amdhsa_enable_private_segment 0
		.amdhsa_system_sgpr_workgroup_id_x 1
		.amdhsa_system_sgpr_workgroup_id_y 0
		.amdhsa_system_sgpr_workgroup_id_z 0
		.amdhsa_system_sgpr_workgroup_info 0
		.amdhsa_system_vgpr_workitem_id 2
		.amdhsa_next_free_vgpr 46
		.amdhsa_next_free_sgpr 18
		.amdhsa_reserve_vcc 1
		.amdhsa_float_round_mode_32 0
		.amdhsa_float_round_mode_16_64 0
		.amdhsa_float_denorm_mode_32 3
		.amdhsa_float_denorm_mode_16_64 3
		.amdhsa_dx10_clamp 1
		.amdhsa_ieee_mode 1
		.amdhsa_fp16_overflow 0
		.amdhsa_workgroup_processor_mode 1
		.amdhsa_memory_ordered 1
		.amdhsa_forward_progress 0
		.amdhsa_shared_vgpr_count 0
		.amdhsa_exception_fp_ieee_invalid_op 0
		.amdhsa_exception_fp_denorm_src 0
		.amdhsa_exception_fp_ieee_div_zero 0
		.amdhsa_exception_fp_ieee_overflow 0
		.amdhsa_exception_fp_ieee_underflow 0
		.amdhsa_exception_fp_ieee_inexact 0
		.amdhsa_exception_int_div_zero 0
	.end_amdhsa_kernel
	.section	.text._ZN9rocsparseL19gebsrmvn_3xn_kernelILj128ELj1ELj8E21rocsparse_complex_numIdEEEvi20rocsparse_direction_NS_24const_host_device_scalarIT2_EEPKiS8_PKS5_SA_S6_PS5_21rocsparse_index_base_b,"axG",@progbits,_ZN9rocsparseL19gebsrmvn_3xn_kernelILj128ELj1ELj8E21rocsparse_complex_numIdEEEvi20rocsparse_direction_NS_24const_host_device_scalarIT2_EEPKiS8_PKS5_SA_S6_PS5_21rocsparse_index_base_b,comdat
.Lfunc_end112:
	.size	_ZN9rocsparseL19gebsrmvn_3xn_kernelILj128ELj1ELj8E21rocsparse_complex_numIdEEEvi20rocsparse_direction_NS_24const_host_device_scalarIT2_EEPKiS8_PKS5_SA_S6_PS5_21rocsparse_index_base_b, .Lfunc_end112-_ZN9rocsparseL19gebsrmvn_3xn_kernelILj128ELj1ELj8E21rocsparse_complex_numIdEEEvi20rocsparse_direction_NS_24const_host_device_scalarIT2_EEPKiS8_PKS5_SA_S6_PS5_21rocsparse_index_base_b
                                        ; -- End function
	.section	.AMDGPU.csdata,"",@progbits
; Kernel info:
; codeLenInByte = 2528
; NumSgprs: 20
; NumVgprs: 46
; ScratchSize: 0
; MemoryBound: 0
; FloatMode: 240
; IeeeMode: 1
; LDSByteSize: 2048 bytes/workgroup (compile time only)
; SGPRBlocks: 2
; VGPRBlocks: 5
; NumSGPRsForWavesPerEU: 20
; NumVGPRsForWavesPerEU: 46
; Occupancy: 16
; WaveLimiterHint : 1
; COMPUTE_PGM_RSRC2:SCRATCH_EN: 0
; COMPUTE_PGM_RSRC2:USER_SGPR: 15
; COMPUTE_PGM_RSRC2:TRAP_HANDLER: 0
; COMPUTE_PGM_RSRC2:TGID_X_EN: 1
; COMPUTE_PGM_RSRC2:TGID_Y_EN: 0
; COMPUTE_PGM_RSRC2:TGID_Z_EN: 0
; COMPUTE_PGM_RSRC2:TIDIG_COMP_CNT: 2
	.section	.text._ZN9rocsparseL19gebsrmvn_3xn_kernelILj128ELj1ELj16E21rocsparse_complex_numIdEEEvi20rocsparse_direction_NS_24const_host_device_scalarIT2_EEPKiS8_PKS5_SA_S6_PS5_21rocsparse_index_base_b,"axG",@progbits,_ZN9rocsparseL19gebsrmvn_3xn_kernelILj128ELj1ELj16E21rocsparse_complex_numIdEEEvi20rocsparse_direction_NS_24const_host_device_scalarIT2_EEPKiS8_PKS5_SA_S6_PS5_21rocsparse_index_base_b,comdat
	.globl	_ZN9rocsparseL19gebsrmvn_3xn_kernelILj128ELj1ELj16E21rocsparse_complex_numIdEEEvi20rocsparse_direction_NS_24const_host_device_scalarIT2_EEPKiS8_PKS5_SA_S6_PS5_21rocsparse_index_base_b ; -- Begin function _ZN9rocsparseL19gebsrmvn_3xn_kernelILj128ELj1ELj16E21rocsparse_complex_numIdEEEvi20rocsparse_direction_NS_24const_host_device_scalarIT2_EEPKiS8_PKS5_SA_S6_PS5_21rocsparse_index_base_b
	.p2align	8
	.type	_ZN9rocsparseL19gebsrmvn_3xn_kernelILj128ELj1ELj16E21rocsparse_complex_numIdEEEvi20rocsparse_direction_NS_24const_host_device_scalarIT2_EEPKiS8_PKS5_SA_S6_PS5_21rocsparse_index_base_b,@function
_ZN9rocsparseL19gebsrmvn_3xn_kernelILj128ELj1ELj16E21rocsparse_complex_numIdEEEvi20rocsparse_direction_NS_24const_host_device_scalarIT2_EEPKiS8_PKS5_SA_S6_PS5_21rocsparse_index_base_b: ; @_ZN9rocsparseL19gebsrmvn_3xn_kernelILj128ELj1ELj16E21rocsparse_complex_numIdEEEvi20rocsparse_direction_NS_24const_host_device_scalarIT2_EEPKiS8_PKS5_SA_S6_PS5_21rocsparse_index_base_b
; %bb.0:
	s_load_b64 s[12:13], s[2:3], 0x50
	s_load_b64 s[16:17], s[0:1], 0x4
	s_load_b128 s[8:11], s[2:3], 0x8
	v_bfe_u32 v1, v0, 10, 10
	s_mov_b64 s[0:1], src_shared_base
	s_load_b128 s[4:7], s[2:3], 0x38
	v_and_b32_e32 v10, 0x3ff, v0
	v_bfe_u32 v0, v0, 20, 10
	s_waitcnt lgkmcnt(0)
	s_bitcmp1_b32 s13, 0
	v_mul_u32_u24_e32 v1, s17, v1
	s_cselect_b32 s0, -1, 0
	s_delay_alu instid0(SALU_CYCLE_1)
	s_and_b32 vcc_lo, s0, exec_lo
	s_cselect_b32 s13, s1, s9
	s_lshr_b32 s14, s16, 16
	v_dual_mov_b32 v2, s4 :: v_dual_mov_b32 v3, s5
	s_mul_i32 s14, s14, s17
	v_mov_b32_e32 v6, s13
	v_mad_u32_u24 v1, s14, v10, v1
	s_delay_alu instid0(VALU_DEP_1) | instskip(SKIP_1) | instid1(VALU_DEP_2)
	v_add_lshl_u32 v4, v1, v0, 3
	v_dual_mov_b32 v0, s8 :: v_dual_mov_b32 v1, s9
	v_add_nc_u32_e32 v5, 0x400, v4
	ds_store_2addr_stride64_b64 v4, v[2:3], v[0:1] offset1:2
	v_dual_mov_b32 v2, s10 :: v_dual_mov_b32 v3, s11
	v_cndmask_b32_e64 v5, s8, v5, s0
	s_xor_b32 s10, s0, -1
	flat_load_b64 v[0:1], v[5:6]
	s_cbranch_vccnz .LBB113_2
; %bb.1:
	v_dual_mov_b32 v2, s8 :: v_dual_mov_b32 v3, s9
	flat_load_b64 v[2:3], v[2:3] offset:8
.LBB113_2:
	s_and_b32 s8, s0, exec_lo
	s_cselect_b32 s1, s1, s5
	v_cndmask_b32_e64 v4, s4, v4, s0
	v_dual_mov_b32 v5, s1 :: v_dual_mov_b32 v6, s6
	v_mov_b32_e32 v7, s7
	s_and_not1_b32 vcc_lo, exec_lo, s10
	flat_load_b64 v[4:5], v[4:5]
	s_cbranch_vccnz .LBB113_4
; %bb.3:
	v_dual_mov_b32 v7, s5 :: v_dual_mov_b32 v6, s4
	flat_load_b64 v[6:7], v[6:7] offset:8
.LBB113_4:
	s_waitcnt vmcnt(1) lgkmcnt(1)
	v_cmp_eq_f64_e32 vcc_lo, 0, v[0:1]
	v_cmp_eq_f64_e64 s0, 0, v[2:3]
	s_delay_alu instid0(VALU_DEP_1)
	s_and_b32 s4, vcc_lo, s0
	s_mov_b32 s0, -1
	s_and_saveexec_b32 s1, s4
	s_cbranch_execz .LBB113_6
; %bb.5:
	s_waitcnt vmcnt(0) lgkmcnt(0)
	v_cmp_neq_f64_e32 vcc_lo, 1.0, v[4:5]
	v_cmp_neq_f64_e64 s0, 0, v[6:7]
	s_delay_alu instid0(VALU_DEP_1) | instskip(NEXT) | instid1(SALU_CYCLE_1)
	s_or_b32 s0, vcc_lo, s0
	s_or_not1_b32 s0, s0, exec_lo
.LBB113_6:
	s_or_b32 exec_lo, exec_lo, s1
	s_and_saveexec_b32 s1, s0
	s_cbranch_execz .LBB113_25
; %bb.7:
	s_load_b64 s[0:1], s[2:3], 0x0
	v_lshrrev_b32_e32 v8, 4, v10
	s_delay_alu instid0(VALU_DEP_1) | instskip(SKIP_1) | instid1(VALU_DEP_1)
	v_lshl_or_b32 v8, s15, 3, v8
	s_waitcnt lgkmcnt(0)
	v_cmp_gt_i32_e32 vcc_lo, s0, v8
	s_and_b32 exec_lo, exec_lo, vcc_lo
	s_cbranch_execz .LBB113_25
; %bb.8:
	s_load_b256 s[4:11], s[2:3], 0x18
	v_ashrrev_i32_e32 v9, 31, v8
	v_and_b32_e32 v33, 15, v10
	s_cmp_lg_u32 s1, 0
	s_delay_alu instid0(VALU_DEP_2) | instskip(SKIP_1) | instid1(VALU_DEP_1)
	v_lshlrev_b64 v[11:12], 2, v[8:9]
	s_waitcnt lgkmcnt(0)
	v_add_co_u32 v11, vcc_lo, s4, v11
	s_delay_alu instid0(VALU_DEP_2) | instskip(SKIP_4) | instid1(VALU_DEP_2)
	v_add_co_ci_u32_e32 v12, vcc_lo, s5, v12, vcc_lo
	global_load_b64 v[11:12], v[11:12], off
	s_waitcnt vmcnt(0)
	v_subrev_nc_u32_e32 v9, s12, v11
	v_subrev_nc_u32_e32 v26, s12, v12
	v_add_nc_u32_e32 v21, v9, v33
	s_delay_alu instid0(VALU_DEP_1)
	v_cmp_lt_i32_e64 s0, v21, v26
	s_cbranch_scc0 .LBB113_14
; %bb.9:
	v_mov_b32_e32 v9, 0
	v_mov_b32_e32 v10, 0
	s_delay_alu instid0(VALU_DEP_1)
	v_dual_mov_b32 v16, v10 :: v_dual_mov_b32 v15, v9
	v_dual_mov_b32 v12, v10 :: v_dual_mov_b32 v11, v9
	;; [unrolled: 1-line block ×5, first 2 shown]
	s_and_saveexec_b32 s1, s0
	s_cbranch_execz .LBB113_13
; %bb.10:
	v_dual_mov_b32 v9, 0 :: v_dual_mov_b32 v24, v21
	v_dual_mov_b32 v10, 0 :: v_dual_mov_b32 v23, 0
	v_lshl_add_u32 v22, v21, 1, v21
	s_mov_b32 s4, 0
	s_delay_alu instid0(VALU_DEP_2)
	v_dual_mov_b32 v16, v10 :: v_dual_mov_b32 v15, v9
	v_dual_mov_b32 v12, v10 :: v_dual_mov_b32 v11, v9
	;; [unrolled: 1-line block ×5, first 2 shown]
.LBB113_11:                             ; =>This Inner Loop Header: Depth=1
	v_ashrrev_i32_e32 v25, 31, v24
	v_lshlrev_b64 v[31:32], 4, v[22:23]
	v_dual_mov_b32 v30, v23 :: v_dual_add_nc_u32 v29, 2, v22
	v_mov_b32_e32 v43, v23
	s_delay_alu instid0(VALU_DEP_4) | instskip(SKIP_1) | instid1(VALU_DEP_4)
	v_lshlrev_b64 v[27:28], 2, v[24:25]
	v_add_nc_u32_e32 v24, 16, v24
	v_lshlrev_b64 v[29:30], 4, v[29:30]
	s_delay_alu instid0(VALU_DEP_3) | instskip(NEXT) | instid1(VALU_DEP_4)
	v_add_co_u32 v27, vcc_lo, s6, v27
	v_add_co_ci_u32_e32 v28, vcc_lo, s7, v28, vcc_lo
	v_add_co_u32 v31, vcc_lo, s8, v31
	v_add_co_ci_u32_e32 v32, vcc_lo, s9, v32, vcc_lo
	global_load_b32 v25, v[27:28], off
	v_dual_mov_b32 v28, v23 :: v_dual_add_nc_u32 v27, 1, v22
	v_add_nc_u32_e32 v22, 48, v22
	s_delay_alu instid0(VALU_DEP_2) | instskip(NEXT) | instid1(VALU_DEP_1)
	v_lshlrev_b64 v[27:28], 4, v[27:28]
	v_add_co_u32 v34, vcc_lo, s8, v27
	s_delay_alu instid0(VALU_DEP_2)
	v_add_co_ci_u32_e32 v35, vcc_lo, s9, v28, vcc_lo
	v_add_co_u32 v38, vcc_lo, s8, v29
	v_add_co_ci_u32_e32 v39, vcc_lo, s9, v30, vcc_lo
	s_clause 0x2
	global_load_b128 v[27:30], v[31:32], off
	global_load_b128 v[34:37], v[34:35], off
	;; [unrolled: 1-line block ×3, first 2 shown]
	s_waitcnt vmcnt(3)
	v_subrev_nc_u32_e32 v42, s12, v25
	s_delay_alu instid0(VALU_DEP_1) | instskip(NEXT) | instid1(VALU_DEP_1)
	v_lshlrev_b64 v[31:32], 4, v[42:43]
	v_add_co_u32 v31, vcc_lo, s10, v31
	s_delay_alu instid0(VALU_DEP_2)
	v_add_co_ci_u32_e32 v32, vcc_lo, s11, v32, vcc_lo
	v_cmp_ge_i32_e32 vcc_lo, v24, v26
	global_load_b128 v[42:45], v[31:32], off
	s_or_b32 s4, vcc_lo, s4
	s_waitcnt vmcnt(0)
	v_fma_f64 v[15:16], v[27:28], v[42:43], v[15:16]
	v_fma_f64 v[9:10], v[29:30], v[42:43], v[9:10]
	;; [unrolled: 1-line block ×6, first 2 shown]
	v_fma_f64 v[15:16], -v[29:30], v[44:45], v[15:16]
	v_fma_f64 v[9:10], v[27:28], v[44:45], v[9:10]
	v_fma_f64 v[17:18], -v[36:37], v[44:45], v[17:18]
	v_fma_f64 v[19:20], v[34:35], v[44:45], v[19:20]
	;; [unrolled: 2-line block ×3, first 2 shown]
	s_and_not1_b32 exec_lo, exec_lo, s4
	s_cbranch_execnz .LBB113_11
; %bb.12:
	s_or_b32 exec_lo, exec_lo, s4
.LBB113_13:
	s_delay_alu instid0(SALU_CYCLE_1)
	s_or_b32 exec_lo, exec_lo, s1
	s_cbranch_execz .LBB113_15
	s_branch .LBB113_20
.LBB113_14:
                                        ; implicit-def: $vgpr9_vgpr10
                                        ; implicit-def: $vgpr15_vgpr16
                                        ; implicit-def: $vgpr11_vgpr12
                                        ; implicit-def: $vgpr13_vgpr14
                                        ; implicit-def: $vgpr17_vgpr18
                                        ; implicit-def: $vgpr19_vgpr20
.LBB113_15:
	v_mov_b32_e32 v9, 0
	v_mov_b32_e32 v10, 0
	s_delay_alu instid0(VALU_DEP_1)
	v_dual_mov_b32 v16, v10 :: v_dual_mov_b32 v15, v9
	v_dual_mov_b32 v12, v10 :: v_dual_mov_b32 v11, v9
	v_dual_mov_b32 v14, v10 :: v_dual_mov_b32 v13, v9
	v_dual_mov_b32 v18, v10 :: v_dual_mov_b32 v17, v9
	v_dual_mov_b32 v20, v10 :: v_dual_mov_b32 v19, v9
	s_and_saveexec_b32 s1, s0
	s_cbranch_execz .LBB113_19
; %bb.16:
	v_dual_mov_b32 v9, 0 :: v_dual_mov_b32 v24, 0
	v_mov_b32_e32 v10, 0
	v_lshl_add_u32 v23, v21, 1, v21
	s_mov_b32 s0, 0
	s_delay_alu instid0(VALU_DEP_2)
	v_dual_mov_b32 v16, v10 :: v_dual_mov_b32 v15, v9
	v_dual_mov_b32 v12, v10 :: v_dual_mov_b32 v11, v9
	;; [unrolled: 1-line block ×5, first 2 shown]
.LBB113_17:                             ; =>This Inner Loop Header: Depth=1
	v_ashrrev_i32_e32 v22, 31, v21
	v_lshlrev_b64 v[31:32], 4, v[23:24]
	v_dual_mov_b32 v30, v24 :: v_dual_add_nc_u32 v29, 2, v23
	v_mov_b32_e32 v43, v24
	s_delay_alu instid0(VALU_DEP_4) | instskip(SKIP_1) | instid1(VALU_DEP_4)
	v_lshlrev_b64 v[27:28], 2, v[21:22]
	v_add_nc_u32_e32 v21, 16, v21
	v_lshlrev_b64 v[29:30], 4, v[29:30]
	s_delay_alu instid0(VALU_DEP_3) | instskip(NEXT) | instid1(VALU_DEP_4)
	v_add_co_u32 v27, vcc_lo, s6, v27
	v_add_co_ci_u32_e32 v28, vcc_lo, s7, v28, vcc_lo
	v_add_co_u32 v31, vcc_lo, s8, v31
	v_add_co_ci_u32_e32 v32, vcc_lo, s9, v32, vcc_lo
	global_load_b32 v22, v[27:28], off
	v_dual_mov_b32 v28, v24 :: v_dual_add_nc_u32 v27, 1, v23
	v_add_nc_u32_e32 v23, 48, v23
	s_delay_alu instid0(VALU_DEP_2) | instskip(NEXT) | instid1(VALU_DEP_1)
	v_lshlrev_b64 v[27:28], 4, v[27:28]
	v_add_co_u32 v34, vcc_lo, s8, v27
	s_delay_alu instid0(VALU_DEP_2)
	v_add_co_ci_u32_e32 v35, vcc_lo, s9, v28, vcc_lo
	v_add_co_u32 v38, vcc_lo, s8, v29
	v_add_co_ci_u32_e32 v39, vcc_lo, s9, v30, vcc_lo
	s_clause 0x2
	global_load_b128 v[27:30], v[31:32], off
	global_load_b128 v[34:37], v[34:35], off
	;; [unrolled: 1-line block ×3, first 2 shown]
	s_waitcnt vmcnt(3)
	v_subrev_nc_u32_e32 v42, s12, v22
	s_delay_alu instid0(VALU_DEP_1) | instskip(NEXT) | instid1(VALU_DEP_1)
	v_lshlrev_b64 v[31:32], 4, v[42:43]
	v_add_co_u32 v31, vcc_lo, s10, v31
	s_delay_alu instid0(VALU_DEP_2)
	v_add_co_ci_u32_e32 v32, vcc_lo, s11, v32, vcc_lo
	v_cmp_ge_i32_e32 vcc_lo, v21, v26
	global_load_b128 v[42:45], v[31:32], off
	s_or_b32 s0, vcc_lo, s0
	s_waitcnt vmcnt(0)
	v_fma_f64 v[15:16], v[27:28], v[42:43], v[15:16]
	v_fma_f64 v[9:10], v[29:30], v[42:43], v[9:10]
	;; [unrolled: 1-line block ×6, first 2 shown]
	v_fma_f64 v[15:16], -v[29:30], v[44:45], v[15:16]
	v_fma_f64 v[9:10], v[27:28], v[44:45], v[9:10]
	v_fma_f64 v[17:18], -v[36:37], v[44:45], v[17:18]
	v_fma_f64 v[19:20], v[34:35], v[44:45], v[19:20]
	;; [unrolled: 2-line block ×3, first 2 shown]
	s_and_not1_b32 exec_lo, exec_lo, s0
	s_cbranch_execnz .LBB113_17
; %bb.18:
	s_or_b32 exec_lo, exec_lo, s0
.LBB113_19:
	s_delay_alu instid0(SALU_CYCLE_1)
	s_or_b32 exec_lo, exec_lo, s1
.LBB113_20:
	v_mbcnt_lo_u32_b32 v36, -1, 0
	s_delay_alu instid0(VALU_DEP_1) | instskip(NEXT) | instid1(VALU_DEP_1)
	v_xor_b32_e32 v21, 8, v36
	v_cmp_gt_i32_e32 vcc_lo, 32, v21
	v_cndmask_b32_e32 v21, v36, v21, vcc_lo
	s_delay_alu instid0(VALU_DEP_1)
	v_lshlrev_b32_e32 v32, 2, v21
	ds_bpermute_b32 v21, v32, v15
	ds_bpermute_b32 v22, v32, v16
	;; [unrolled: 1-line block ×12, first 2 shown]
	s_waitcnt lgkmcnt(10)
	v_add_f64 v[15:16], v[15:16], v[21:22]
	v_xor_b32_e32 v21, 4, v36
	s_waitcnt lgkmcnt(8)
	v_add_f64 v[9:10], v[9:10], v[23:24]
	s_waitcnt lgkmcnt(6)
	v_add_f64 v[17:18], v[17:18], v[25:26]
	;; [unrolled: 2-line block ×3, first 2 shown]
	v_cmp_gt_i32_e32 vcc_lo, 32, v21
	s_waitcnt lgkmcnt(2)
	v_add_f64 v[11:12], v[11:12], v[29:30]
	s_waitcnt lgkmcnt(0)
	v_add_f64 v[13:14], v[13:14], v[31:32]
	v_cndmask_b32_e32 v21, v36, v21, vcc_lo
	s_delay_alu instid0(VALU_DEP_1)
	v_lshlrev_b32_e32 v32, 2, v21
	ds_bpermute_b32 v21, v32, v15
	ds_bpermute_b32 v22, v32, v16
	;; [unrolled: 1-line block ×12, first 2 shown]
	s_waitcnt lgkmcnt(10)
	v_add_f64 v[15:16], v[15:16], v[21:22]
	s_waitcnt lgkmcnt(8)
	v_add_f64 v[21:22], v[9:10], v[23:24]
	v_xor_b32_e32 v9, 2, v36
	s_waitcnt lgkmcnt(6)
	v_add_f64 v[17:18], v[17:18], v[25:26]
	s_waitcnt lgkmcnt(4)
	v_add_f64 v[23:24], v[19:20], v[27:28]
	;; [unrolled: 2-line block ×3, first 2 shown]
	v_cmp_gt_i32_e32 vcc_lo, 32, v9
	s_waitcnt lgkmcnt(0)
	v_add_f64 v[27:28], v[13:14], v[31:32]
	v_cndmask_b32_e32 v9, v36, v9, vcc_lo
	s_delay_alu instid0(VALU_DEP_1)
	v_lshlrev_b32_e32 v19, 2, v9
	ds_bpermute_b32 v9, v19, v15
	ds_bpermute_b32 v10, v19, v16
	;; [unrolled: 1-line block ×12, first 2 shown]
	s_waitcnt lgkmcnt(10)
	v_add_f64 v[9:10], v[15:16], v[9:10]
	s_waitcnt lgkmcnt(8)
	v_add_f64 v[19:20], v[21:22], v[11:12]
	v_xor_b32_e32 v21, 1, v36
	s_waitcnt lgkmcnt(6)
	v_add_f64 v[11:12], v[17:18], v[13:14]
	s_waitcnt lgkmcnt(4)
	v_add_f64 v[17:18], v[23:24], v[29:30]
	;; [unrolled: 2-line block ×3, first 2 shown]
	v_cmp_gt_i32_e32 vcc_lo, 32, v21
	s_waitcnt lgkmcnt(0)
	v_add_f64 v[15:16], v[27:28], v[34:35]
	v_cndmask_b32_e32 v21, v36, v21, vcc_lo
	v_cmp_eq_u32_e32 vcc_lo, 15, v33
	s_delay_alu instid0(VALU_DEP_2)
	v_lshlrev_b32_e32 v24, 2, v21
	ds_bpermute_b32 v31, v24, v9
	ds_bpermute_b32 v32, v24, v10
	;; [unrolled: 1-line block ×12, first 2 shown]
	s_and_b32 exec_lo, exec_lo, vcc_lo
	s_cbranch_execz .LBB113_25
; %bb.21:
	v_cmp_eq_f64_e32 vcc_lo, 0, v[4:5]
	v_cmp_eq_f64_e64 s0, 0, v[6:7]
	s_waitcnt lgkmcnt(10)
	v_add_f64 v[9:10], v[9:10], v[31:32]
	s_waitcnt lgkmcnt(8)
	v_add_f64 v[19:20], v[19:20], v[29:30]
	;; [unrolled: 2-line block ×6, first 2 shown]
	s_load_b64 s[2:3], s[2:3], 0x48
	s_and_b32 s0, vcc_lo, s0
	s_delay_alu instid0(SALU_CYCLE_1) | instskip(NEXT) | instid1(SALU_CYCLE_1)
	s_and_saveexec_b32 s1, s0
	s_xor_b32 s0, exec_lo, s1
	s_cbranch_execz .LBB113_23
; %bb.22:
	v_mul_f64 v[4:5], v[19:20], -v[2:3]
	v_mul_f64 v[6:7], v[0:1], v[19:20]
	v_mul_f64 v[19:20], v[17:18], -v[2:3]
	v_mul_f64 v[17:18], v[0:1], v[17:18]
	;; [unrolled: 2-line block ×3, first 2 shown]
	v_fma_f64 v[4:5], v[0:1], v[9:10], v[4:5]
	v_fma_f64 v[6:7], v[2:3], v[9:10], v[6:7]
	;; [unrolled: 1-line block ×6, first 2 shown]
	v_lshl_add_u32 v13, v8, 1, v8
                                        ; implicit-def: $vgpr8
                                        ; implicit-def: $vgpr19_vgpr20
                                        ; implicit-def: $vgpr17_vgpr18
                                        ; implicit-def: $vgpr15_vgpr16
	s_delay_alu instid0(VALU_DEP_1) | instskip(NEXT) | instid1(VALU_DEP_1)
	v_ashrrev_i32_e32 v14, 31, v13
	v_lshlrev_b64 v[13:14], 4, v[13:14]
	s_waitcnt lgkmcnt(0)
	s_delay_alu instid0(VALU_DEP_1) | instskip(NEXT) | instid1(VALU_DEP_2)
	v_add_co_u32 v13, vcc_lo, s2, v13
	v_add_co_ci_u32_e32 v14, vcc_lo, s3, v14, vcc_lo
	s_clause 0x2
	global_store_b128 v[13:14], v[4:7], off
	global_store_b128 v[13:14], v[9:12], off offset:16
	global_store_b128 v[13:14], v[0:3], off offset:32
                                        ; implicit-def: $vgpr0_vgpr1
                                        ; implicit-def: $vgpr2_vgpr3
                                        ; implicit-def: $vgpr4_vgpr5
                                        ; implicit-def: $vgpr6_vgpr7
                                        ; implicit-def: $vgpr9_vgpr10
                                        ; implicit-def: $vgpr11_vgpr12
                                        ; implicit-def: $vgpr13_vgpr14
.LBB113_23:
	s_and_not1_saveexec_b32 s0, s0
	s_cbranch_execz .LBB113_25
; %bb.24:
	v_lshl_add_u32 v21, v8, 1, v8
	v_mul_f64 v[35:36], v[19:20], -v[2:3]
	v_mul_f64 v[19:20], v[0:1], v[19:20]
	v_mul_f64 v[37:38], v[17:18], -v[2:3]
	v_mul_f64 v[17:18], v[0:1], v[17:18]
	v_ashrrev_i32_e32 v22, 31, v21
	v_mul_f64 v[39:40], v[15:16], -v[2:3]
	v_mul_f64 v[15:16], v[0:1], v[15:16]
	s_delay_alu instid0(VALU_DEP_3) | instskip(SKIP_1) | instid1(VALU_DEP_1)
	v_lshlrev_b64 v[21:22], 4, v[21:22]
	s_waitcnt lgkmcnt(0)
	v_add_co_u32 v33, vcc_lo, s2, v21
	s_delay_alu instid0(VALU_DEP_2)
	v_add_co_ci_u32_e32 v34, vcc_lo, s3, v22, vcc_lo
	s_clause 0x2
	global_load_b128 v[21:24], v[33:34], off
	global_load_b128 v[25:28], v[33:34], off offset:16
	global_load_b128 v[29:32], v[33:34], off offset:32
	v_fma_f64 v[35:36], v[0:1], v[9:10], v[35:36]
	v_fma_f64 v[8:9], v[2:3], v[9:10], v[19:20]
	;; [unrolled: 1-line block ×6, first 2 shown]
	s_waitcnt vmcnt(2)
	v_fma_f64 v[12:13], v[4:5], v[21:22], v[35:36]
	v_fma_f64 v[8:9], v[6:7], v[21:22], v[8:9]
	s_waitcnt vmcnt(1)
	v_fma_f64 v[14:15], v[4:5], v[25:26], v[19:20]
	v_fma_f64 v[10:11], v[6:7], v[25:26], v[10:11]
	;; [unrolled: 3-line block ×3, first 2 shown]
	v_fma_f64 v[0:1], -v[6:7], v[23:24], v[12:13]
	v_fma_f64 v[2:3], v[4:5], v[23:24], v[8:9]
	v_fma_f64 v[8:9], -v[6:7], v[27:28], v[14:15]
	v_fma_f64 v[10:11], v[4:5], v[27:28], v[10:11]
	;; [unrolled: 2-line block ×3, first 2 shown]
	s_clause 0x2
	global_store_b128 v[33:34], v[0:3], off
	global_store_b128 v[33:34], v[8:11], off offset:16
	global_store_b128 v[33:34], v[12:15], off offset:32
.LBB113_25:
	s_nop 0
	s_sendmsg sendmsg(MSG_DEALLOC_VGPRS)
	s_endpgm
	.section	.rodata,"a",@progbits
	.p2align	6, 0x0
	.amdhsa_kernel _ZN9rocsparseL19gebsrmvn_3xn_kernelILj128ELj1ELj16E21rocsparse_complex_numIdEEEvi20rocsparse_direction_NS_24const_host_device_scalarIT2_EEPKiS8_PKS5_SA_S6_PS5_21rocsparse_index_base_b
		.amdhsa_group_segment_fixed_size 2048
		.amdhsa_private_segment_fixed_size 0
		.amdhsa_kernarg_size 88
		.amdhsa_user_sgpr_count 15
		.amdhsa_user_sgpr_dispatch_ptr 1
		.amdhsa_user_sgpr_queue_ptr 0
		.amdhsa_user_sgpr_kernarg_segment_ptr 1
		.amdhsa_user_sgpr_dispatch_id 0
		.amdhsa_user_sgpr_private_segment_size 0
		.amdhsa_wavefront_size32 1
		.amdhsa_uses_dynamic_stack 0
		.amdhsa_enable_private_segment 0
		.amdhsa_system_sgpr_workgroup_id_x 1
		.amdhsa_system_sgpr_workgroup_id_y 0
		.amdhsa_system_sgpr_workgroup_id_z 0
		.amdhsa_system_sgpr_workgroup_info 0
		.amdhsa_system_vgpr_workitem_id 2
		.amdhsa_next_free_vgpr 46
		.amdhsa_next_free_sgpr 18
		.amdhsa_reserve_vcc 1
		.amdhsa_float_round_mode_32 0
		.amdhsa_float_round_mode_16_64 0
		.amdhsa_float_denorm_mode_32 3
		.amdhsa_float_denorm_mode_16_64 3
		.amdhsa_dx10_clamp 1
		.amdhsa_ieee_mode 1
		.amdhsa_fp16_overflow 0
		.amdhsa_workgroup_processor_mode 1
		.amdhsa_memory_ordered 1
		.amdhsa_forward_progress 0
		.amdhsa_shared_vgpr_count 0
		.amdhsa_exception_fp_ieee_invalid_op 0
		.amdhsa_exception_fp_denorm_src 0
		.amdhsa_exception_fp_ieee_div_zero 0
		.amdhsa_exception_fp_ieee_overflow 0
		.amdhsa_exception_fp_ieee_underflow 0
		.amdhsa_exception_fp_ieee_inexact 0
		.amdhsa_exception_int_div_zero 0
	.end_amdhsa_kernel
	.section	.text._ZN9rocsparseL19gebsrmvn_3xn_kernelILj128ELj1ELj16E21rocsparse_complex_numIdEEEvi20rocsparse_direction_NS_24const_host_device_scalarIT2_EEPKiS8_PKS5_SA_S6_PS5_21rocsparse_index_base_b,"axG",@progbits,_ZN9rocsparseL19gebsrmvn_3xn_kernelILj128ELj1ELj16E21rocsparse_complex_numIdEEEvi20rocsparse_direction_NS_24const_host_device_scalarIT2_EEPKiS8_PKS5_SA_S6_PS5_21rocsparse_index_base_b,comdat
.Lfunc_end113:
	.size	_ZN9rocsparseL19gebsrmvn_3xn_kernelILj128ELj1ELj16E21rocsparse_complex_numIdEEEvi20rocsparse_direction_NS_24const_host_device_scalarIT2_EEPKiS8_PKS5_SA_S6_PS5_21rocsparse_index_base_b, .Lfunc_end113-_ZN9rocsparseL19gebsrmvn_3xn_kernelILj128ELj1ELj16E21rocsparse_complex_numIdEEEvi20rocsparse_direction_NS_24const_host_device_scalarIT2_EEPKiS8_PKS5_SA_S6_PS5_21rocsparse_index_base_b
                                        ; -- End function
	.section	.AMDGPU.csdata,"",@progbits
; Kernel info:
; codeLenInByte = 2716
; NumSgprs: 20
; NumVgprs: 46
; ScratchSize: 0
; MemoryBound: 0
; FloatMode: 240
; IeeeMode: 1
; LDSByteSize: 2048 bytes/workgroup (compile time only)
; SGPRBlocks: 2
; VGPRBlocks: 5
; NumSGPRsForWavesPerEU: 20
; NumVGPRsForWavesPerEU: 46
; Occupancy: 16
; WaveLimiterHint : 1
; COMPUTE_PGM_RSRC2:SCRATCH_EN: 0
; COMPUTE_PGM_RSRC2:USER_SGPR: 15
; COMPUTE_PGM_RSRC2:TRAP_HANDLER: 0
; COMPUTE_PGM_RSRC2:TGID_X_EN: 1
; COMPUTE_PGM_RSRC2:TGID_Y_EN: 0
; COMPUTE_PGM_RSRC2:TGID_Z_EN: 0
; COMPUTE_PGM_RSRC2:TIDIG_COMP_CNT: 2
	.section	.text._ZN9rocsparseL19gebsrmvn_3xn_kernelILj128ELj1ELj32E21rocsparse_complex_numIdEEEvi20rocsparse_direction_NS_24const_host_device_scalarIT2_EEPKiS8_PKS5_SA_S6_PS5_21rocsparse_index_base_b,"axG",@progbits,_ZN9rocsparseL19gebsrmvn_3xn_kernelILj128ELj1ELj32E21rocsparse_complex_numIdEEEvi20rocsparse_direction_NS_24const_host_device_scalarIT2_EEPKiS8_PKS5_SA_S6_PS5_21rocsparse_index_base_b,comdat
	.globl	_ZN9rocsparseL19gebsrmvn_3xn_kernelILj128ELj1ELj32E21rocsparse_complex_numIdEEEvi20rocsparse_direction_NS_24const_host_device_scalarIT2_EEPKiS8_PKS5_SA_S6_PS5_21rocsparse_index_base_b ; -- Begin function _ZN9rocsparseL19gebsrmvn_3xn_kernelILj128ELj1ELj32E21rocsparse_complex_numIdEEEvi20rocsparse_direction_NS_24const_host_device_scalarIT2_EEPKiS8_PKS5_SA_S6_PS5_21rocsparse_index_base_b
	.p2align	8
	.type	_ZN9rocsparseL19gebsrmvn_3xn_kernelILj128ELj1ELj32E21rocsparse_complex_numIdEEEvi20rocsparse_direction_NS_24const_host_device_scalarIT2_EEPKiS8_PKS5_SA_S6_PS5_21rocsparse_index_base_b,@function
_ZN9rocsparseL19gebsrmvn_3xn_kernelILj128ELj1ELj32E21rocsparse_complex_numIdEEEvi20rocsparse_direction_NS_24const_host_device_scalarIT2_EEPKiS8_PKS5_SA_S6_PS5_21rocsparse_index_base_b: ; @_ZN9rocsparseL19gebsrmvn_3xn_kernelILj128ELj1ELj32E21rocsparse_complex_numIdEEEvi20rocsparse_direction_NS_24const_host_device_scalarIT2_EEPKiS8_PKS5_SA_S6_PS5_21rocsparse_index_base_b
; %bb.0:
	s_load_b64 s[12:13], s[2:3], 0x50
	s_load_b64 s[16:17], s[0:1], 0x4
	s_load_b128 s[8:11], s[2:3], 0x8
	v_bfe_u32 v1, v0, 10, 10
	s_mov_b64 s[0:1], src_shared_base
	s_load_b128 s[4:7], s[2:3], 0x38
	v_and_b32_e32 v10, 0x3ff, v0
	v_bfe_u32 v0, v0, 20, 10
	s_waitcnt lgkmcnt(0)
	s_bitcmp1_b32 s13, 0
	v_mul_u32_u24_e32 v1, s17, v1
	s_cselect_b32 s0, -1, 0
	s_delay_alu instid0(SALU_CYCLE_1)
	s_and_b32 vcc_lo, s0, exec_lo
	s_cselect_b32 s13, s1, s9
	s_lshr_b32 s14, s16, 16
	v_dual_mov_b32 v2, s4 :: v_dual_mov_b32 v3, s5
	s_mul_i32 s14, s14, s17
	v_mov_b32_e32 v6, s13
	v_mad_u32_u24 v1, s14, v10, v1
	s_delay_alu instid0(VALU_DEP_1) | instskip(SKIP_1) | instid1(VALU_DEP_2)
	v_add_lshl_u32 v4, v1, v0, 3
	v_dual_mov_b32 v0, s8 :: v_dual_mov_b32 v1, s9
	v_add_nc_u32_e32 v5, 0x400, v4
	ds_store_2addr_stride64_b64 v4, v[2:3], v[0:1] offset1:2
	v_dual_mov_b32 v2, s10 :: v_dual_mov_b32 v3, s11
	v_cndmask_b32_e64 v5, s8, v5, s0
	s_xor_b32 s10, s0, -1
	flat_load_b64 v[0:1], v[5:6]
	s_cbranch_vccnz .LBB114_2
; %bb.1:
	v_dual_mov_b32 v2, s8 :: v_dual_mov_b32 v3, s9
	flat_load_b64 v[2:3], v[2:3] offset:8
.LBB114_2:
	s_and_b32 s8, s0, exec_lo
	s_cselect_b32 s1, s1, s5
	v_cndmask_b32_e64 v4, s4, v4, s0
	v_dual_mov_b32 v5, s1 :: v_dual_mov_b32 v6, s6
	v_mov_b32_e32 v7, s7
	s_and_not1_b32 vcc_lo, exec_lo, s10
	flat_load_b64 v[4:5], v[4:5]
	s_cbranch_vccnz .LBB114_4
; %bb.3:
	v_dual_mov_b32 v7, s5 :: v_dual_mov_b32 v6, s4
	flat_load_b64 v[6:7], v[6:7] offset:8
.LBB114_4:
	s_waitcnt vmcnt(1) lgkmcnt(1)
	v_cmp_eq_f64_e32 vcc_lo, 0, v[0:1]
	v_cmp_eq_f64_e64 s0, 0, v[2:3]
	s_delay_alu instid0(VALU_DEP_1)
	s_and_b32 s4, vcc_lo, s0
	s_mov_b32 s0, -1
	s_and_saveexec_b32 s1, s4
	s_cbranch_execz .LBB114_6
; %bb.5:
	s_waitcnt vmcnt(0) lgkmcnt(0)
	v_cmp_neq_f64_e32 vcc_lo, 1.0, v[4:5]
	v_cmp_neq_f64_e64 s0, 0, v[6:7]
	s_delay_alu instid0(VALU_DEP_1) | instskip(NEXT) | instid1(SALU_CYCLE_1)
	s_or_b32 s0, vcc_lo, s0
	s_or_not1_b32 s0, s0, exec_lo
.LBB114_6:
	s_or_b32 exec_lo, exec_lo, s1
	s_and_saveexec_b32 s1, s0
	s_cbranch_execz .LBB114_25
; %bb.7:
	s_load_b64 s[0:1], s[2:3], 0x0
	v_lshrrev_b32_e32 v8, 5, v10
	s_delay_alu instid0(VALU_DEP_1) | instskip(SKIP_1) | instid1(VALU_DEP_1)
	v_lshl_or_b32 v8, s15, 2, v8
	s_waitcnt lgkmcnt(0)
	v_cmp_gt_i32_e32 vcc_lo, s0, v8
	s_and_b32 exec_lo, exec_lo, vcc_lo
	s_cbranch_execz .LBB114_25
; %bb.8:
	s_load_b256 s[4:11], s[2:3], 0x18
	v_ashrrev_i32_e32 v9, 31, v8
	v_and_b32_e32 v33, 31, v10
	s_cmp_lg_u32 s1, 0
	s_delay_alu instid0(VALU_DEP_2) | instskip(SKIP_1) | instid1(VALU_DEP_1)
	v_lshlrev_b64 v[11:12], 2, v[8:9]
	s_waitcnt lgkmcnt(0)
	v_add_co_u32 v11, vcc_lo, s4, v11
	s_delay_alu instid0(VALU_DEP_2) | instskip(SKIP_4) | instid1(VALU_DEP_2)
	v_add_co_ci_u32_e32 v12, vcc_lo, s5, v12, vcc_lo
	global_load_b64 v[11:12], v[11:12], off
	s_waitcnt vmcnt(0)
	v_subrev_nc_u32_e32 v9, s12, v11
	v_subrev_nc_u32_e32 v26, s12, v12
	v_add_nc_u32_e32 v21, v9, v33
	s_delay_alu instid0(VALU_DEP_1)
	v_cmp_lt_i32_e64 s0, v21, v26
	s_cbranch_scc0 .LBB114_14
; %bb.9:
	v_mov_b32_e32 v9, 0
	v_mov_b32_e32 v10, 0
	s_delay_alu instid0(VALU_DEP_1)
	v_dual_mov_b32 v16, v10 :: v_dual_mov_b32 v15, v9
	v_dual_mov_b32 v12, v10 :: v_dual_mov_b32 v11, v9
	;; [unrolled: 1-line block ×5, first 2 shown]
	s_and_saveexec_b32 s1, s0
	s_cbranch_execz .LBB114_13
; %bb.10:
	v_dual_mov_b32 v9, 0 :: v_dual_mov_b32 v24, v21
	v_dual_mov_b32 v10, 0 :: v_dual_mov_b32 v23, 0
	v_lshl_add_u32 v22, v21, 1, v21
	s_mov_b32 s4, 0
	s_delay_alu instid0(VALU_DEP_2)
	v_dual_mov_b32 v16, v10 :: v_dual_mov_b32 v15, v9
	v_dual_mov_b32 v12, v10 :: v_dual_mov_b32 v11, v9
	;; [unrolled: 1-line block ×5, first 2 shown]
.LBB114_11:                             ; =>This Inner Loop Header: Depth=1
	v_ashrrev_i32_e32 v25, 31, v24
	v_lshlrev_b64 v[31:32], 4, v[22:23]
	v_dual_mov_b32 v30, v23 :: v_dual_add_nc_u32 v29, 2, v22
	v_mov_b32_e32 v43, v23
	s_delay_alu instid0(VALU_DEP_4) | instskip(SKIP_1) | instid1(VALU_DEP_4)
	v_lshlrev_b64 v[27:28], 2, v[24:25]
	v_add_nc_u32_e32 v24, 32, v24
	v_lshlrev_b64 v[29:30], 4, v[29:30]
	s_delay_alu instid0(VALU_DEP_3) | instskip(NEXT) | instid1(VALU_DEP_4)
	v_add_co_u32 v27, vcc_lo, s6, v27
	v_add_co_ci_u32_e32 v28, vcc_lo, s7, v28, vcc_lo
	v_add_co_u32 v31, vcc_lo, s8, v31
	v_add_co_ci_u32_e32 v32, vcc_lo, s9, v32, vcc_lo
	global_load_b32 v25, v[27:28], off
	v_dual_mov_b32 v28, v23 :: v_dual_add_nc_u32 v27, 1, v22
	v_add_nc_u32_e32 v22, 0x60, v22
	s_delay_alu instid0(VALU_DEP_2) | instskip(NEXT) | instid1(VALU_DEP_1)
	v_lshlrev_b64 v[27:28], 4, v[27:28]
	v_add_co_u32 v34, vcc_lo, s8, v27
	s_delay_alu instid0(VALU_DEP_2)
	v_add_co_ci_u32_e32 v35, vcc_lo, s9, v28, vcc_lo
	v_add_co_u32 v38, vcc_lo, s8, v29
	v_add_co_ci_u32_e32 v39, vcc_lo, s9, v30, vcc_lo
	s_clause 0x2
	global_load_b128 v[27:30], v[31:32], off
	global_load_b128 v[34:37], v[34:35], off
	;; [unrolled: 1-line block ×3, first 2 shown]
	s_waitcnt vmcnt(3)
	v_subrev_nc_u32_e32 v42, s12, v25
	s_delay_alu instid0(VALU_DEP_1) | instskip(NEXT) | instid1(VALU_DEP_1)
	v_lshlrev_b64 v[31:32], 4, v[42:43]
	v_add_co_u32 v31, vcc_lo, s10, v31
	s_delay_alu instid0(VALU_DEP_2)
	v_add_co_ci_u32_e32 v32, vcc_lo, s11, v32, vcc_lo
	v_cmp_ge_i32_e32 vcc_lo, v24, v26
	global_load_b128 v[42:45], v[31:32], off
	s_or_b32 s4, vcc_lo, s4
	s_waitcnt vmcnt(0)
	v_fma_f64 v[15:16], v[27:28], v[42:43], v[15:16]
	v_fma_f64 v[9:10], v[29:30], v[42:43], v[9:10]
	;; [unrolled: 1-line block ×6, first 2 shown]
	v_fma_f64 v[15:16], -v[29:30], v[44:45], v[15:16]
	v_fma_f64 v[9:10], v[27:28], v[44:45], v[9:10]
	v_fma_f64 v[17:18], -v[36:37], v[44:45], v[17:18]
	v_fma_f64 v[19:20], v[34:35], v[44:45], v[19:20]
	;; [unrolled: 2-line block ×3, first 2 shown]
	s_and_not1_b32 exec_lo, exec_lo, s4
	s_cbranch_execnz .LBB114_11
; %bb.12:
	s_or_b32 exec_lo, exec_lo, s4
.LBB114_13:
	s_delay_alu instid0(SALU_CYCLE_1)
	s_or_b32 exec_lo, exec_lo, s1
	s_cbranch_execz .LBB114_15
	s_branch .LBB114_20
.LBB114_14:
                                        ; implicit-def: $vgpr9_vgpr10
                                        ; implicit-def: $vgpr15_vgpr16
                                        ; implicit-def: $vgpr11_vgpr12
                                        ; implicit-def: $vgpr13_vgpr14
                                        ; implicit-def: $vgpr17_vgpr18
                                        ; implicit-def: $vgpr19_vgpr20
.LBB114_15:
	v_mov_b32_e32 v9, 0
	v_mov_b32_e32 v10, 0
	s_delay_alu instid0(VALU_DEP_1)
	v_dual_mov_b32 v16, v10 :: v_dual_mov_b32 v15, v9
	v_dual_mov_b32 v12, v10 :: v_dual_mov_b32 v11, v9
	;; [unrolled: 1-line block ×5, first 2 shown]
	s_and_saveexec_b32 s1, s0
	s_cbranch_execz .LBB114_19
; %bb.16:
	v_dual_mov_b32 v9, 0 :: v_dual_mov_b32 v24, 0
	v_mov_b32_e32 v10, 0
	v_lshl_add_u32 v23, v21, 1, v21
	s_mov_b32 s0, 0
	s_delay_alu instid0(VALU_DEP_2)
	v_dual_mov_b32 v16, v10 :: v_dual_mov_b32 v15, v9
	v_dual_mov_b32 v12, v10 :: v_dual_mov_b32 v11, v9
	;; [unrolled: 1-line block ×5, first 2 shown]
.LBB114_17:                             ; =>This Inner Loop Header: Depth=1
	v_ashrrev_i32_e32 v22, 31, v21
	v_lshlrev_b64 v[31:32], 4, v[23:24]
	v_dual_mov_b32 v30, v24 :: v_dual_add_nc_u32 v29, 2, v23
	v_mov_b32_e32 v43, v24
	s_delay_alu instid0(VALU_DEP_4) | instskip(SKIP_1) | instid1(VALU_DEP_4)
	v_lshlrev_b64 v[27:28], 2, v[21:22]
	v_add_nc_u32_e32 v21, 32, v21
	v_lshlrev_b64 v[29:30], 4, v[29:30]
	s_delay_alu instid0(VALU_DEP_3) | instskip(NEXT) | instid1(VALU_DEP_4)
	v_add_co_u32 v27, vcc_lo, s6, v27
	v_add_co_ci_u32_e32 v28, vcc_lo, s7, v28, vcc_lo
	v_add_co_u32 v31, vcc_lo, s8, v31
	v_add_co_ci_u32_e32 v32, vcc_lo, s9, v32, vcc_lo
	global_load_b32 v22, v[27:28], off
	v_dual_mov_b32 v28, v24 :: v_dual_add_nc_u32 v27, 1, v23
	v_add_nc_u32_e32 v23, 0x60, v23
	s_delay_alu instid0(VALU_DEP_2) | instskip(NEXT) | instid1(VALU_DEP_1)
	v_lshlrev_b64 v[27:28], 4, v[27:28]
	v_add_co_u32 v34, vcc_lo, s8, v27
	s_delay_alu instid0(VALU_DEP_2)
	v_add_co_ci_u32_e32 v35, vcc_lo, s9, v28, vcc_lo
	v_add_co_u32 v38, vcc_lo, s8, v29
	v_add_co_ci_u32_e32 v39, vcc_lo, s9, v30, vcc_lo
	s_clause 0x2
	global_load_b128 v[27:30], v[31:32], off
	global_load_b128 v[34:37], v[34:35], off
	;; [unrolled: 1-line block ×3, first 2 shown]
	s_waitcnt vmcnt(3)
	v_subrev_nc_u32_e32 v42, s12, v22
	s_delay_alu instid0(VALU_DEP_1) | instskip(NEXT) | instid1(VALU_DEP_1)
	v_lshlrev_b64 v[31:32], 4, v[42:43]
	v_add_co_u32 v31, vcc_lo, s10, v31
	s_delay_alu instid0(VALU_DEP_2)
	v_add_co_ci_u32_e32 v32, vcc_lo, s11, v32, vcc_lo
	v_cmp_ge_i32_e32 vcc_lo, v21, v26
	global_load_b128 v[42:45], v[31:32], off
	s_or_b32 s0, vcc_lo, s0
	s_waitcnt vmcnt(0)
	v_fma_f64 v[15:16], v[27:28], v[42:43], v[15:16]
	v_fma_f64 v[9:10], v[29:30], v[42:43], v[9:10]
	;; [unrolled: 1-line block ×6, first 2 shown]
	v_fma_f64 v[15:16], -v[29:30], v[44:45], v[15:16]
	v_fma_f64 v[9:10], v[27:28], v[44:45], v[9:10]
	v_fma_f64 v[17:18], -v[36:37], v[44:45], v[17:18]
	v_fma_f64 v[19:20], v[34:35], v[44:45], v[19:20]
	;; [unrolled: 2-line block ×3, first 2 shown]
	s_and_not1_b32 exec_lo, exec_lo, s0
	s_cbranch_execnz .LBB114_17
; %bb.18:
	s_or_b32 exec_lo, exec_lo, s0
.LBB114_19:
	s_delay_alu instid0(SALU_CYCLE_1)
	s_or_b32 exec_lo, exec_lo, s1
.LBB114_20:
	v_mbcnt_lo_u32_b32 v36, -1, 0
	s_delay_alu instid0(VALU_DEP_1) | instskip(NEXT) | instid1(VALU_DEP_1)
	v_xor_b32_e32 v21, 16, v36
	v_cmp_gt_i32_e32 vcc_lo, 32, v21
	v_cndmask_b32_e32 v21, v36, v21, vcc_lo
	s_delay_alu instid0(VALU_DEP_1)
	v_lshlrev_b32_e32 v32, 2, v21
	ds_bpermute_b32 v21, v32, v15
	ds_bpermute_b32 v22, v32, v16
	;; [unrolled: 1-line block ×12, first 2 shown]
	s_waitcnt lgkmcnt(10)
	v_add_f64 v[15:16], v[15:16], v[21:22]
	v_xor_b32_e32 v21, 8, v36
	s_waitcnt lgkmcnt(8)
	v_add_f64 v[9:10], v[9:10], v[23:24]
	s_waitcnt lgkmcnt(6)
	v_add_f64 v[17:18], v[17:18], v[25:26]
	;; [unrolled: 2-line block ×3, first 2 shown]
	v_cmp_gt_i32_e32 vcc_lo, 32, v21
	s_waitcnt lgkmcnt(2)
	v_add_f64 v[11:12], v[11:12], v[29:30]
	s_waitcnt lgkmcnt(0)
	v_add_f64 v[13:14], v[13:14], v[31:32]
	v_cndmask_b32_e32 v21, v36, v21, vcc_lo
	s_delay_alu instid0(VALU_DEP_1)
	v_lshlrev_b32_e32 v32, 2, v21
	ds_bpermute_b32 v21, v32, v15
	ds_bpermute_b32 v22, v32, v16
	;; [unrolled: 1-line block ×12, first 2 shown]
	s_waitcnt lgkmcnt(10)
	v_add_f64 v[15:16], v[15:16], v[21:22]
	v_xor_b32_e32 v21, 4, v36
	s_waitcnt lgkmcnt(8)
	v_add_f64 v[9:10], v[9:10], v[23:24]
	s_waitcnt lgkmcnt(6)
	v_add_f64 v[17:18], v[17:18], v[25:26]
	s_waitcnt lgkmcnt(4)
	v_add_f64 v[19:20], v[19:20], v[27:28]
	v_cmp_gt_i32_e32 vcc_lo, 32, v21
	s_waitcnt lgkmcnt(2)
	v_add_f64 v[11:12], v[11:12], v[29:30]
	s_waitcnt lgkmcnt(0)
	v_add_f64 v[13:14], v[13:14], v[31:32]
	v_cndmask_b32_e32 v21, v36, v21, vcc_lo
	s_delay_alu instid0(VALU_DEP_1)
	v_lshlrev_b32_e32 v32, 2, v21
	ds_bpermute_b32 v21, v32, v15
	ds_bpermute_b32 v22, v32, v16
	ds_bpermute_b32 v23, v32, v9
	ds_bpermute_b32 v24, v32, v10
	ds_bpermute_b32 v25, v32, v17
	ds_bpermute_b32 v26, v32, v18
	ds_bpermute_b32 v27, v32, v19
	ds_bpermute_b32 v28, v32, v20
	ds_bpermute_b32 v29, v32, v11
	ds_bpermute_b32 v30, v32, v12
	ds_bpermute_b32 v31, v32, v13
	ds_bpermute_b32 v32, v32, v14
	s_waitcnt lgkmcnt(10)
	v_add_f64 v[15:16], v[15:16], v[21:22]
	s_waitcnt lgkmcnt(8)
	v_add_f64 v[21:22], v[9:10], v[23:24]
	v_xor_b32_e32 v9, 2, v36
	s_waitcnt lgkmcnt(6)
	v_add_f64 v[17:18], v[17:18], v[25:26]
	s_waitcnt lgkmcnt(4)
	v_add_f64 v[23:24], v[19:20], v[27:28]
	;; [unrolled: 2-line block ×3, first 2 shown]
	v_cmp_gt_i32_e32 vcc_lo, 32, v9
	s_waitcnt lgkmcnt(0)
	v_add_f64 v[27:28], v[13:14], v[31:32]
	v_cndmask_b32_e32 v9, v36, v9, vcc_lo
	s_delay_alu instid0(VALU_DEP_1)
	v_lshlrev_b32_e32 v19, 2, v9
	ds_bpermute_b32 v9, v19, v15
	ds_bpermute_b32 v10, v19, v16
	;; [unrolled: 1-line block ×12, first 2 shown]
	s_waitcnt lgkmcnt(10)
	v_add_f64 v[9:10], v[15:16], v[9:10]
	s_waitcnt lgkmcnt(8)
	v_add_f64 v[19:20], v[21:22], v[11:12]
	v_xor_b32_e32 v21, 1, v36
	s_waitcnt lgkmcnt(6)
	v_add_f64 v[11:12], v[17:18], v[13:14]
	s_waitcnt lgkmcnt(4)
	v_add_f64 v[17:18], v[23:24], v[29:30]
	;; [unrolled: 2-line block ×3, first 2 shown]
	v_cmp_gt_i32_e32 vcc_lo, 32, v21
	s_waitcnt lgkmcnt(0)
	v_add_f64 v[15:16], v[27:28], v[34:35]
	v_cndmask_b32_e32 v21, v36, v21, vcc_lo
	v_cmp_eq_u32_e32 vcc_lo, 31, v33
	s_delay_alu instid0(VALU_DEP_2)
	v_lshlrev_b32_e32 v24, 2, v21
	ds_bpermute_b32 v31, v24, v9
	ds_bpermute_b32 v32, v24, v10
	;; [unrolled: 1-line block ×12, first 2 shown]
	s_and_b32 exec_lo, exec_lo, vcc_lo
	s_cbranch_execz .LBB114_25
; %bb.21:
	v_cmp_eq_f64_e32 vcc_lo, 0, v[4:5]
	v_cmp_eq_f64_e64 s0, 0, v[6:7]
	s_waitcnt lgkmcnt(10)
	v_add_f64 v[9:10], v[9:10], v[31:32]
	s_waitcnt lgkmcnt(8)
	v_add_f64 v[19:20], v[19:20], v[29:30]
	;; [unrolled: 2-line block ×6, first 2 shown]
	s_load_b64 s[2:3], s[2:3], 0x48
	s_and_b32 s0, vcc_lo, s0
	s_delay_alu instid0(SALU_CYCLE_1) | instskip(NEXT) | instid1(SALU_CYCLE_1)
	s_and_saveexec_b32 s1, s0
	s_xor_b32 s0, exec_lo, s1
	s_cbranch_execz .LBB114_23
; %bb.22:
	v_mul_f64 v[4:5], v[19:20], -v[2:3]
	v_mul_f64 v[6:7], v[0:1], v[19:20]
	v_mul_f64 v[19:20], v[17:18], -v[2:3]
	v_mul_f64 v[17:18], v[0:1], v[17:18]
	v_mul_f64 v[21:22], v[15:16], -v[2:3]
	v_mul_f64 v[15:16], v[0:1], v[15:16]
	v_fma_f64 v[4:5], v[0:1], v[9:10], v[4:5]
	v_fma_f64 v[6:7], v[2:3], v[9:10], v[6:7]
	;; [unrolled: 1-line block ×6, first 2 shown]
	v_lshl_add_u32 v13, v8, 1, v8
                                        ; implicit-def: $vgpr8
                                        ; implicit-def: $vgpr19_vgpr20
                                        ; implicit-def: $vgpr17_vgpr18
                                        ; implicit-def: $vgpr15_vgpr16
	s_delay_alu instid0(VALU_DEP_1) | instskip(NEXT) | instid1(VALU_DEP_1)
	v_ashrrev_i32_e32 v14, 31, v13
	v_lshlrev_b64 v[13:14], 4, v[13:14]
	s_waitcnt lgkmcnt(0)
	s_delay_alu instid0(VALU_DEP_1) | instskip(NEXT) | instid1(VALU_DEP_2)
	v_add_co_u32 v13, vcc_lo, s2, v13
	v_add_co_ci_u32_e32 v14, vcc_lo, s3, v14, vcc_lo
	s_clause 0x2
	global_store_b128 v[13:14], v[4:7], off
	global_store_b128 v[13:14], v[9:12], off offset:16
	global_store_b128 v[13:14], v[0:3], off offset:32
                                        ; implicit-def: $vgpr0_vgpr1
                                        ; implicit-def: $vgpr2_vgpr3
                                        ; implicit-def: $vgpr4_vgpr5
                                        ; implicit-def: $vgpr6_vgpr7
                                        ; implicit-def: $vgpr9_vgpr10
                                        ; implicit-def: $vgpr11_vgpr12
                                        ; implicit-def: $vgpr13_vgpr14
.LBB114_23:
	s_and_not1_saveexec_b32 s0, s0
	s_cbranch_execz .LBB114_25
; %bb.24:
	v_lshl_add_u32 v21, v8, 1, v8
	v_mul_f64 v[35:36], v[19:20], -v[2:3]
	v_mul_f64 v[19:20], v[0:1], v[19:20]
	v_mul_f64 v[37:38], v[17:18], -v[2:3]
	v_mul_f64 v[17:18], v[0:1], v[17:18]
	v_ashrrev_i32_e32 v22, 31, v21
	v_mul_f64 v[39:40], v[15:16], -v[2:3]
	v_mul_f64 v[15:16], v[0:1], v[15:16]
	s_delay_alu instid0(VALU_DEP_3) | instskip(SKIP_1) | instid1(VALU_DEP_1)
	v_lshlrev_b64 v[21:22], 4, v[21:22]
	s_waitcnt lgkmcnt(0)
	v_add_co_u32 v33, vcc_lo, s2, v21
	s_delay_alu instid0(VALU_DEP_2)
	v_add_co_ci_u32_e32 v34, vcc_lo, s3, v22, vcc_lo
	s_clause 0x2
	global_load_b128 v[21:24], v[33:34], off
	global_load_b128 v[25:28], v[33:34], off offset:16
	global_load_b128 v[29:32], v[33:34], off offset:32
	v_fma_f64 v[35:36], v[0:1], v[9:10], v[35:36]
	v_fma_f64 v[8:9], v[2:3], v[9:10], v[19:20]
	;; [unrolled: 1-line block ×6, first 2 shown]
	s_waitcnt vmcnt(2)
	v_fma_f64 v[12:13], v[4:5], v[21:22], v[35:36]
	v_fma_f64 v[8:9], v[6:7], v[21:22], v[8:9]
	s_waitcnt vmcnt(1)
	v_fma_f64 v[14:15], v[4:5], v[25:26], v[19:20]
	v_fma_f64 v[10:11], v[6:7], v[25:26], v[10:11]
	s_waitcnt vmcnt(0)
	v_fma_f64 v[16:17], v[4:5], v[29:30], v[0:1]
	v_fma_f64 v[18:19], v[6:7], v[29:30], v[2:3]
	v_fma_f64 v[0:1], -v[6:7], v[23:24], v[12:13]
	v_fma_f64 v[2:3], v[4:5], v[23:24], v[8:9]
	v_fma_f64 v[8:9], -v[6:7], v[27:28], v[14:15]
	v_fma_f64 v[10:11], v[4:5], v[27:28], v[10:11]
	v_fma_f64 v[12:13], -v[6:7], v[31:32], v[16:17]
	v_fma_f64 v[14:15], v[4:5], v[31:32], v[18:19]
	s_clause 0x2
	global_store_b128 v[33:34], v[0:3], off
	global_store_b128 v[33:34], v[8:11], off offset:16
	global_store_b128 v[33:34], v[12:15], off offset:32
.LBB114_25:
	s_nop 0
	s_sendmsg sendmsg(MSG_DEALLOC_VGPRS)
	s_endpgm
	.section	.rodata,"a",@progbits
	.p2align	6, 0x0
	.amdhsa_kernel _ZN9rocsparseL19gebsrmvn_3xn_kernelILj128ELj1ELj32E21rocsparse_complex_numIdEEEvi20rocsparse_direction_NS_24const_host_device_scalarIT2_EEPKiS8_PKS5_SA_S6_PS5_21rocsparse_index_base_b
		.amdhsa_group_segment_fixed_size 2048
		.amdhsa_private_segment_fixed_size 0
		.amdhsa_kernarg_size 88
		.amdhsa_user_sgpr_count 15
		.amdhsa_user_sgpr_dispatch_ptr 1
		.amdhsa_user_sgpr_queue_ptr 0
		.amdhsa_user_sgpr_kernarg_segment_ptr 1
		.amdhsa_user_sgpr_dispatch_id 0
		.amdhsa_user_sgpr_private_segment_size 0
		.amdhsa_wavefront_size32 1
		.amdhsa_uses_dynamic_stack 0
		.amdhsa_enable_private_segment 0
		.amdhsa_system_sgpr_workgroup_id_x 1
		.amdhsa_system_sgpr_workgroup_id_y 0
		.amdhsa_system_sgpr_workgroup_id_z 0
		.amdhsa_system_sgpr_workgroup_info 0
		.amdhsa_system_vgpr_workitem_id 2
		.amdhsa_next_free_vgpr 46
		.amdhsa_next_free_sgpr 18
		.amdhsa_reserve_vcc 1
		.amdhsa_float_round_mode_32 0
		.amdhsa_float_round_mode_16_64 0
		.amdhsa_float_denorm_mode_32 3
		.amdhsa_float_denorm_mode_16_64 3
		.amdhsa_dx10_clamp 1
		.amdhsa_ieee_mode 1
		.amdhsa_fp16_overflow 0
		.amdhsa_workgroup_processor_mode 1
		.amdhsa_memory_ordered 1
		.amdhsa_forward_progress 0
		.amdhsa_shared_vgpr_count 0
		.amdhsa_exception_fp_ieee_invalid_op 0
		.amdhsa_exception_fp_denorm_src 0
		.amdhsa_exception_fp_ieee_div_zero 0
		.amdhsa_exception_fp_ieee_overflow 0
		.amdhsa_exception_fp_ieee_underflow 0
		.amdhsa_exception_fp_ieee_inexact 0
		.amdhsa_exception_int_div_zero 0
	.end_amdhsa_kernel
	.section	.text._ZN9rocsparseL19gebsrmvn_3xn_kernelILj128ELj1ELj32E21rocsparse_complex_numIdEEEvi20rocsparse_direction_NS_24const_host_device_scalarIT2_EEPKiS8_PKS5_SA_S6_PS5_21rocsparse_index_base_b,"axG",@progbits,_ZN9rocsparseL19gebsrmvn_3xn_kernelILj128ELj1ELj32E21rocsparse_complex_numIdEEEvi20rocsparse_direction_NS_24const_host_device_scalarIT2_EEPKiS8_PKS5_SA_S6_PS5_21rocsparse_index_base_b,comdat
.Lfunc_end114:
	.size	_ZN9rocsparseL19gebsrmvn_3xn_kernelILj128ELj1ELj32E21rocsparse_complex_numIdEEEvi20rocsparse_direction_NS_24const_host_device_scalarIT2_EEPKiS8_PKS5_SA_S6_PS5_21rocsparse_index_base_b, .Lfunc_end114-_ZN9rocsparseL19gebsrmvn_3xn_kernelILj128ELj1ELj32E21rocsparse_complex_numIdEEEvi20rocsparse_direction_NS_24const_host_device_scalarIT2_EEPKiS8_PKS5_SA_S6_PS5_21rocsparse_index_base_b
                                        ; -- End function
	.section	.AMDGPU.csdata,"",@progbits
; Kernel info:
; codeLenInByte = 2912
; NumSgprs: 20
; NumVgprs: 46
; ScratchSize: 0
; MemoryBound: 0
; FloatMode: 240
; IeeeMode: 1
; LDSByteSize: 2048 bytes/workgroup (compile time only)
; SGPRBlocks: 2
; VGPRBlocks: 5
; NumSGPRsForWavesPerEU: 20
; NumVGPRsForWavesPerEU: 46
; Occupancy: 16
; WaveLimiterHint : 1
; COMPUTE_PGM_RSRC2:SCRATCH_EN: 0
; COMPUTE_PGM_RSRC2:USER_SGPR: 15
; COMPUTE_PGM_RSRC2:TRAP_HANDLER: 0
; COMPUTE_PGM_RSRC2:TGID_X_EN: 1
; COMPUTE_PGM_RSRC2:TGID_Y_EN: 0
; COMPUTE_PGM_RSRC2:TGID_Z_EN: 0
; COMPUTE_PGM_RSRC2:TIDIG_COMP_CNT: 2
	.section	.text._ZN9rocsparseL19gebsrmvn_3xn_kernelILj128ELj1ELj64E21rocsparse_complex_numIdEEEvi20rocsparse_direction_NS_24const_host_device_scalarIT2_EEPKiS8_PKS5_SA_S6_PS5_21rocsparse_index_base_b,"axG",@progbits,_ZN9rocsparseL19gebsrmvn_3xn_kernelILj128ELj1ELj64E21rocsparse_complex_numIdEEEvi20rocsparse_direction_NS_24const_host_device_scalarIT2_EEPKiS8_PKS5_SA_S6_PS5_21rocsparse_index_base_b,comdat
	.globl	_ZN9rocsparseL19gebsrmvn_3xn_kernelILj128ELj1ELj64E21rocsparse_complex_numIdEEEvi20rocsparse_direction_NS_24const_host_device_scalarIT2_EEPKiS8_PKS5_SA_S6_PS5_21rocsparse_index_base_b ; -- Begin function _ZN9rocsparseL19gebsrmvn_3xn_kernelILj128ELj1ELj64E21rocsparse_complex_numIdEEEvi20rocsparse_direction_NS_24const_host_device_scalarIT2_EEPKiS8_PKS5_SA_S6_PS5_21rocsparse_index_base_b
	.p2align	8
	.type	_ZN9rocsparseL19gebsrmvn_3xn_kernelILj128ELj1ELj64E21rocsparse_complex_numIdEEEvi20rocsparse_direction_NS_24const_host_device_scalarIT2_EEPKiS8_PKS5_SA_S6_PS5_21rocsparse_index_base_b,@function
_ZN9rocsparseL19gebsrmvn_3xn_kernelILj128ELj1ELj64E21rocsparse_complex_numIdEEEvi20rocsparse_direction_NS_24const_host_device_scalarIT2_EEPKiS8_PKS5_SA_S6_PS5_21rocsparse_index_base_b: ; @_ZN9rocsparseL19gebsrmvn_3xn_kernelILj128ELj1ELj64E21rocsparse_complex_numIdEEEvi20rocsparse_direction_NS_24const_host_device_scalarIT2_EEPKiS8_PKS5_SA_S6_PS5_21rocsparse_index_base_b
; %bb.0:
	s_load_b64 s[12:13], s[2:3], 0x50
	s_load_b64 s[16:17], s[0:1], 0x4
	s_load_b128 s[8:11], s[2:3], 0x8
	v_bfe_u32 v1, v0, 10, 10
	s_mov_b64 s[0:1], src_shared_base
	s_load_b128 s[4:7], s[2:3], 0x38
	v_and_b32_e32 v10, 0x3ff, v0
	v_bfe_u32 v0, v0, 20, 10
	s_waitcnt lgkmcnt(0)
	s_bitcmp1_b32 s13, 0
	v_mul_u32_u24_e32 v1, s17, v1
	s_cselect_b32 s0, -1, 0
	s_delay_alu instid0(SALU_CYCLE_1)
	s_and_b32 vcc_lo, s0, exec_lo
	s_cselect_b32 s13, s1, s9
	s_lshr_b32 s14, s16, 16
	v_dual_mov_b32 v2, s4 :: v_dual_mov_b32 v3, s5
	s_mul_i32 s14, s14, s17
	v_mov_b32_e32 v6, s13
	v_mad_u32_u24 v1, s14, v10, v1
	s_delay_alu instid0(VALU_DEP_1) | instskip(SKIP_1) | instid1(VALU_DEP_2)
	v_add_lshl_u32 v4, v1, v0, 3
	v_dual_mov_b32 v0, s8 :: v_dual_mov_b32 v1, s9
	v_add_nc_u32_e32 v5, 0x400, v4
	ds_store_2addr_stride64_b64 v4, v[2:3], v[0:1] offset1:2
	v_dual_mov_b32 v2, s10 :: v_dual_mov_b32 v3, s11
	v_cndmask_b32_e64 v5, s8, v5, s0
	s_xor_b32 s10, s0, -1
	flat_load_b64 v[0:1], v[5:6]
	s_cbranch_vccnz .LBB115_2
; %bb.1:
	v_dual_mov_b32 v2, s8 :: v_dual_mov_b32 v3, s9
	flat_load_b64 v[2:3], v[2:3] offset:8
.LBB115_2:
	s_and_b32 s8, s0, exec_lo
	s_cselect_b32 s1, s1, s5
	v_cndmask_b32_e64 v4, s4, v4, s0
	v_dual_mov_b32 v5, s1 :: v_dual_mov_b32 v6, s6
	v_mov_b32_e32 v7, s7
	s_and_not1_b32 vcc_lo, exec_lo, s10
	flat_load_b64 v[4:5], v[4:5]
	s_cbranch_vccnz .LBB115_4
; %bb.3:
	v_dual_mov_b32 v7, s5 :: v_dual_mov_b32 v6, s4
	flat_load_b64 v[6:7], v[6:7] offset:8
.LBB115_4:
	s_waitcnt vmcnt(1) lgkmcnt(1)
	v_cmp_eq_f64_e32 vcc_lo, 0, v[0:1]
	v_cmp_eq_f64_e64 s0, 0, v[2:3]
	s_delay_alu instid0(VALU_DEP_1)
	s_and_b32 s4, vcc_lo, s0
	s_mov_b32 s0, -1
	s_and_saveexec_b32 s1, s4
	s_cbranch_execz .LBB115_6
; %bb.5:
	s_waitcnt vmcnt(0) lgkmcnt(0)
	v_cmp_neq_f64_e32 vcc_lo, 1.0, v[4:5]
	v_cmp_neq_f64_e64 s0, 0, v[6:7]
	s_delay_alu instid0(VALU_DEP_1) | instskip(NEXT) | instid1(SALU_CYCLE_1)
	s_or_b32 s0, vcc_lo, s0
	s_or_not1_b32 s0, s0, exec_lo
.LBB115_6:
	s_or_b32 exec_lo, exec_lo, s1
	s_and_saveexec_b32 s1, s0
	s_cbranch_execz .LBB115_25
; %bb.7:
	s_load_b64 s[0:1], s[2:3], 0x0
	v_lshrrev_b32_e32 v8, 6, v10
	s_delay_alu instid0(VALU_DEP_1) | instskip(SKIP_1) | instid1(VALU_DEP_1)
	v_lshl_or_b32 v8, s15, 1, v8
	s_waitcnt lgkmcnt(0)
	v_cmp_gt_i32_e32 vcc_lo, s0, v8
	s_and_b32 exec_lo, exec_lo, vcc_lo
	s_cbranch_execz .LBB115_25
; %bb.8:
	s_load_b256 s[4:11], s[2:3], 0x18
	v_ashrrev_i32_e32 v9, 31, v8
	v_and_b32_e32 v33, 63, v10
	s_cmp_lg_u32 s1, 0
	s_delay_alu instid0(VALU_DEP_2) | instskip(SKIP_1) | instid1(VALU_DEP_1)
	v_lshlrev_b64 v[11:12], 2, v[8:9]
	s_waitcnt lgkmcnt(0)
	v_add_co_u32 v11, vcc_lo, s4, v11
	s_delay_alu instid0(VALU_DEP_2) | instskip(SKIP_4) | instid1(VALU_DEP_2)
	v_add_co_ci_u32_e32 v12, vcc_lo, s5, v12, vcc_lo
	global_load_b64 v[11:12], v[11:12], off
	s_waitcnt vmcnt(0)
	v_subrev_nc_u32_e32 v9, s12, v11
	v_subrev_nc_u32_e32 v26, s12, v12
	v_add_nc_u32_e32 v21, v9, v33
	s_delay_alu instid0(VALU_DEP_1)
	v_cmp_lt_i32_e64 s0, v21, v26
	s_cbranch_scc0 .LBB115_14
; %bb.9:
	v_mov_b32_e32 v9, 0
	v_mov_b32_e32 v10, 0
	s_delay_alu instid0(VALU_DEP_1)
	v_dual_mov_b32 v16, v10 :: v_dual_mov_b32 v15, v9
	v_dual_mov_b32 v12, v10 :: v_dual_mov_b32 v11, v9
	;; [unrolled: 1-line block ×5, first 2 shown]
	s_and_saveexec_b32 s1, s0
	s_cbranch_execz .LBB115_13
; %bb.10:
	v_dual_mov_b32 v9, 0 :: v_dual_mov_b32 v24, v21
	v_dual_mov_b32 v10, 0 :: v_dual_mov_b32 v23, 0
	v_lshl_add_u32 v22, v21, 1, v21
	s_mov_b32 s4, 0
	s_delay_alu instid0(VALU_DEP_2)
	v_dual_mov_b32 v16, v10 :: v_dual_mov_b32 v15, v9
	v_dual_mov_b32 v12, v10 :: v_dual_mov_b32 v11, v9
	;; [unrolled: 1-line block ×5, first 2 shown]
.LBB115_11:                             ; =>This Inner Loop Header: Depth=1
	v_ashrrev_i32_e32 v25, 31, v24
	v_lshlrev_b64 v[31:32], 4, v[22:23]
	v_dual_mov_b32 v30, v23 :: v_dual_add_nc_u32 v29, 2, v22
	v_mov_b32_e32 v43, v23
	s_delay_alu instid0(VALU_DEP_4) | instskip(SKIP_1) | instid1(VALU_DEP_4)
	v_lshlrev_b64 v[27:28], 2, v[24:25]
	v_add_nc_u32_e32 v24, 64, v24
	v_lshlrev_b64 v[29:30], 4, v[29:30]
	s_delay_alu instid0(VALU_DEP_3) | instskip(NEXT) | instid1(VALU_DEP_4)
	v_add_co_u32 v27, vcc_lo, s6, v27
	v_add_co_ci_u32_e32 v28, vcc_lo, s7, v28, vcc_lo
	v_add_co_u32 v31, vcc_lo, s8, v31
	v_add_co_ci_u32_e32 v32, vcc_lo, s9, v32, vcc_lo
	global_load_b32 v25, v[27:28], off
	v_dual_mov_b32 v28, v23 :: v_dual_add_nc_u32 v27, 1, v22
	v_add_nc_u32_e32 v22, 0xc0, v22
	s_delay_alu instid0(VALU_DEP_2) | instskip(NEXT) | instid1(VALU_DEP_1)
	v_lshlrev_b64 v[27:28], 4, v[27:28]
	v_add_co_u32 v34, vcc_lo, s8, v27
	s_delay_alu instid0(VALU_DEP_2)
	v_add_co_ci_u32_e32 v35, vcc_lo, s9, v28, vcc_lo
	v_add_co_u32 v38, vcc_lo, s8, v29
	v_add_co_ci_u32_e32 v39, vcc_lo, s9, v30, vcc_lo
	s_clause 0x2
	global_load_b128 v[27:30], v[31:32], off
	global_load_b128 v[34:37], v[34:35], off
	;; [unrolled: 1-line block ×3, first 2 shown]
	s_waitcnt vmcnt(3)
	v_subrev_nc_u32_e32 v42, s12, v25
	s_delay_alu instid0(VALU_DEP_1) | instskip(NEXT) | instid1(VALU_DEP_1)
	v_lshlrev_b64 v[31:32], 4, v[42:43]
	v_add_co_u32 v31, vcc_lo, s10, v31
	s_delay_alu instid0(VALU_DEP_2)
	v_add_co_ci_u32_e32 v32, vcc_lo, s11, v32, vcc_lo
	v_cmp_ge_i32_e32 vcc_lo, v24, v26
	global_load_b128 v[42:45], v[31:32], off
	s_or_b32 s4, vcc_lo, s4
	s_waitcnt vmcnt(0)
	v_fma_f64 v[15:16], v[27:28], v[42:43], v[15:16]
	v_fma_f64 v[9:10], v[29:30], v[42:43], v[9:10]
	;; [unrolled: 1-line block ×6, first 2 shown]
	v_fma_f64 v[15:16], -v[29:30], v[44:45], v[15:16]
	v_fma_f64 v[9:10], v[27:28], v[44:45], v[9:10]
	v_fma_f64 v[17:18], -v[36:37], v[44:45], v[17:18]
	v_fma_f64 v[19:20], v[34:35], v[44:45], v[19:20]
	;; [unrolled: 2-line block ×3, first 2 shown]
	s_and_not1_b32 exec_lo, exec_lo, s4
	s_cbranch_execnz .LBB115_11
; %bb.12:
	s_or_b32 exec_lo, exec_lo, s4
.LBB115_13:
	s_delay_alu instid0(SALU_CYCLE_1)
	s_or_b32 exec_lo, exec_lo, s1
	s_cbranch_execz .LBB115_15
	s_branch .LBB115_20
.LBB115_14:
                                        ; implicit-def: $vgpr9_vgpr10
                                        ; implicit-def: $vgpr15_vgpr16
                                        ; implicit-def: $vgpr11_vgpr12
                                        ; implicit-def: $vgpr13_vgpr14
                                        ; implicit-def: $vgpr17_vgpr18
                                        ; implicit-def: $vgpr19_vgpr20
.LBB115_15:
	v_mov_b32_e32 v9, 0
	v_mov_b32_e32 v10, 0
	s_delay_alu instid0(VALU_DEP_1)
	v_dual_mov_b32 v16, v10 :: v_dual_mov_b32 v15, v9
	v_dual_mov_b32 v12, v10 :: v_dual_mov_b32 v11, v9
	;; [unrolled: 1-line block ×5, first 2 shown]
	s_and_saveexec_b32 s1, s0
	s_cbranch_execz .LBB115_19
; %bb.16:
	v_dual_mov_b32 v9, 0 :: v_dual_mov_b32 v24, 0
	v_mov_b32_e32 v10, 0
	v_lshl_add_u32 v23, v21, 1, v21
	s_mov_b32 s0, 0
	s_delay_alu instid0(VALU_DEP_2)
	v_dual_mov_b32 v16, v10 :: v_dual_mov_b32 v15, v9
	v_dual_mov_b32 v12, v10 :: v_dual_mov_b32 v11, v9
	;; [unrolled: 1-line block ×5, first 2 shown]
.LBB115_17:                             ; =>This Inner Loop Header: Depth=1
	v_ashrrev_i32_e32 v22, 31, v21
	v_lshlrev_b64 v[31:32], 4, v[23:24]
	v_dual_mov_b32 v30, v24 :: v_dual_add_nc_u32 v29, 2, v23
	v_mov_b32_e32 v43, v24
	s_delay_alu instid0(VALU_DEP_4) | instskip(SKIP_1) | instid1(VALU_DEP_4)
	v_lshlrev_b64 v[27:28], 2, v[21:22]
	v_add_nc_u32_e32 v21, 64, v21
	v_lshlrev_b64 v[29:30], 4, v[29:30]
	s_delay_alu instid0(VALU_DEP_3) | instskip(NEXT) | instid1(VALU_DEP_4)
	v_add_co_u32 v27, vcc_lo, s6, v27
	v_add_co_ci_u32_e32 v28, vcc_lo, s7, v28, vcc_lo
	v_add_co_u32 v31, vcc_lo, s8, v31
	v_add_co_ci_u32_e32 v32, vcc_lo, s9, v32, vcc_lo
	global_load_b32 v22, v[27:28], off
	v_dual_mov_b32 v28, v24 :: v_dual_add_nc_u32 v27, 1, v23
	v_add_nc_u32_e32 v23, 0xc0, v23
	s_delay_alu instid0(VALU_DEP_2) | instskip(NEXT) | instid1(VALU_DEP_1)
	v_lshlrev_b64 v[27:28], 4, v[27:28]
	v_add_co_u32 v34, vcc_lo, s8, v27
	s_delay_alu instid0(VALU_DEP_2)
	v_add_co_ci_u32_e32 v35, vcc_lo, s9, v28, vcc_lo
	v_add_co_u32 v38, vcc_lo, s8, v29
	v_add_co_ci_u32_e32 v39, vcc_lo, s9, v30, vcc_lo
	s_clause 0x2
	global_load_b128 v[27:30], v[31:32], off
	global_load_b128 v[34:37], v[34:35], off
	;; [unrolled: 1-line block ×3, first 2 shown]
	s_waitcnt vmcnt(3)
	v_subrev_nc_u32_e32 v42, s12, v22
	s_delay_alu instid0(VALU_DEP_1) | instskip(NEXT) | instid1(VALU_DEP_1)
	v_lshlrev_b64 v[31:32], 4, v[42:43]
	v_add_co_u32 v31, vcc_lo, s10, v31
	s_delay_alu instid0(VALU_DEP_2)
	v_add_co_ci_u32_e32 v32, vcc_lo, s11, v32, vcc_lo
	v_cmp_ge_i32_e32 vcc_lo, v21, v26
	global_load_b128 v[42:45], v[31:32], off
	s_or_b32 s0, vcc_lo, s0
	s_waitcnt vmcnt(0)
	v_fma_f64 v[15:16], v[27:28], v[42:43], v[15:16]
	v_fma_f64 v[9:10], v[29:30], v[42:43], v[9:10]
	;; [unrolled: 1-line block ×6, first 2 shown]
	v_fma_f64 v[15:16], -v[29:30], v[44:45], v[15:16]
	v_fma_f64 v[9:10], v[27:28], v[44:45], v[9:10]
	v_fma_f64 v[17:18], -v[36:37], v[44:45], v[17:18]
	v_fma_f64 v[19:20], v[34:35], v[44:45], v[19:20]
	;; [unrolled: 2-line block ×3, first 2 shown]
	s_and_not1_b32 exec_lo, exec_lo, s0
	s_cbranch_execnz .LBB115_17
; %bb.18:
	s_or_b32 exec_lo, exec_lo, s0
.LBB115_19:
	s_delay_alu instid0(SALU_CYCLE_1)
	s_or_b32 exec_lo, exec_lo, s1
.LBB115_20:
	v_mbcnt_lo_u32_b32 v36, -1, 0
	s_delay_alu instid0(VALU_DEP_1) | instskip(NEXT) | instid1(VALU_DEP_1)
	v_or_b32_e32 v21, 32, v36
	v_cmp_gt_i32_e32 vcc_lo, 32, v21
	v_cndmask_b32_e32 v21, v36, v21, vcc_lo
	s_delay_alu instid0(VALU_DEP_1)
	v_lshlrev_b32_e32 v32, 2, v21
	ds_bpermute_b32 v21, v32, v15
	ds_bpermute_b32 v22, v32, v16
	ds_bpermute_b32 v23, v32, v9
	ds_bpermute_b32 v24, v32, v10
	ds_bpermute_b32 v25, v32, v17
	ds_bpermute_b32 v26, v32, v18
	ds_bpermute_b32 v27, v32, v19
	ds_bpermute_b32 v28, v32, v20
	ds_bpermute_b32 v29, v32, v11
	ds_bpermute_b32 v30, v32, v12
	ds_bpermute_b32 v31, v32, v13
	ds_bpermute_b32 v32, v32, v14
	s_waitcnt lgkmcnt(10)
	v_add_f64 v[15:16], v[15:16], v[21:22]
	v_xor_b32_e32 v21, 16, v36
	s_waitcnt lgkmcnt(8)
	v_add_f64 v[9:10], v[9:10], v[23:24]
	s_waitcnt lgkmcnt(6)
	v_add_f64 v[17:18], v[17:18], v[25:26]
	s_waitcnt lgkmcnt(4)
	v_add_f64 v[19:20], v[19:20], v[27:28]
	v_cmp_gt_i32_e32 vcc_lo, 32, v21
	s_waitcnt lgkmcnt(2)
	v_add_f64 v[11:12], v[11:12], v[29:30]
	s_waitcnt lgkmcnt(0)
	v_add_f64 v[13:14], v[13:14], v[31:32]
	v_cndmask_b32_e32 v21, v36, v21, vcc_lo
	s_delay_alu instid0(VALU_DEP_1)
	v_lshlrev_b32_e32 v32, 2, v21
	ds_bpermute_b32 v21, v32, v15
	ds_bpermute_b32 v22, v32, v16
	ds_bpermute_b32 v23, v32, v9
	ds_bpermute_b32 v24, v32, v10
	ds_bpermute_b32 v25, v32, v17
	ds_bpermute_b32 v26, v32, v18
	ds_bpermute_b32 v27, v32, v19
	ds_bpermute_b32 v28, v32, v20
	ds_bpermute_b32 v29, v32, v11
	ds_bpermute_b32 v30, v32, v12
	ds_bpermute_b32 v31, v32, v13
	ds_bpermute_b32 v32, v32, v14
	s_waitcnt lgkmcnt(10)
	v_add_f64 v[15:16], v[15:16], v[21:22]
	v_xor_b32_e32 v21, 8, v36
	s_waitcnt lgkmcnt(8)
	v_add_f64 v[9:10], v[9:10], v[23:24]
	s_waitcnt lgkmcnt(6)
	v_add_f64 v[17:18], v[17:18], v[25:26]
	s_waitcnt lgkmcnt(4)
	v_add_f64 v[19:20], v[19:20], v[27:28]
	v_cmp_gt_i32_e32 vcc_lo, 32, v21
	s_waitcnt lgkmcnt(2)
	v_add_f64 v[11:12], v[11:12], v[29:30]
	s_waitcnt lgkmcnt(0)
	v_add_f64 v[13:14], v[13:14], v[31:32]
	;; [unrolled: 29-line block ×3, first 2 shown]
	v_cndmask_b32_e32 v21, v36, v21, vcc_lo
	s_delay_alu instid0(VALU_DEP_1)
	v_lshlrev_b32_e32 v32, 2, v21
	ds_bpermute_b32 v21, v32, v15
	ds_bpermute_b32 v22, v32, v16
	;; [unrolled: 1-line block ×12, first 2 shown]
	s_waitcnt lgkmcnt(10)
	v_add_f64 v[15:16], v[15:16], v[21:22]
	s_waitcnt lgkmcnt(8)
	v_add_f64 v[21:22], v[9:10], v[23:24]
	v_xor_b32_e32 v9, 2, v36
	s_waitcnt lgkmcnt(6)
	v_add_f64 v[17:18], v[17:18], v[25:26]
	s_waitcnt lgkmcnt(4)
	v_add_f64 v[23:24], v[19:20], v[27:28]
	;; [unrolled: 2-line block ×3, first 2 shown]
	v_cmp_gt_i32_e32 vcc_lo, 32, v9
	s_waitcnt lgkmcnt(0)
	v_add_f64 v[27:28], v[13:14], v[31:32]
	v_cndmask_b32_e32 v9, v36, v9, vcc_lo
	s_delay_alu instid0(VALU_DEP_1)
	v_lshlrev_b32_e32 v19, 2, v9
	ds_bpermute_b32 v9, v19, v15
	ds_bpermute_b32 v10, v19, v16
	ds_bpermute_b32 v11, v19, v21
	ds_bpermute_b32 v12, v19, v22
	ds_bpermute_b32 v13, v19, v17
	ds_bpermute_b32 v14, v19, v18
	ds_bpermute_b32 v29, v19, v23
	ds_bpermute_b32 v30, v19, v24
	ds_bpermute_b32 v31, v19, v25
	ds_bpermute_b32 v32, v19, v26
	ds_bpermute_b32 v34, v19, v27
	ds_bpermute_b32 v35, v19, v28
	s_waitcnt lgkmcnt(10)
	v_add_f64 v[9:10], v[15:16], v[9:10]
	s_waitcnt lgkmcnt(8)
	v_add_f64 v[19:20], v[21:22], v[11:12]
	v_xor_b32_e32 v21, 1, v36
	s_waitcnt lgkmcnt(6)
	v_add_f64 v[11:12], v[17:18], v[13:14]
	s_waitcnt lgkmcnt(4)
	v_add_f64 v[17:18], v[23:24], v[29:30]
	;; [unrolled: 2-line block ×3, first 2 shown]
	v_cmp_gt_i32_e32 vcc_lo, 32, v21
	s_waitcnt lgkmcnt(0)
	v_add_f64 v[15:16], v[27:28], v[34:35]
	v_cndmask_b32_e32 v21, v36, v21, vcc_lo
	v_cmp_eq_u32_e32 vcc_lo, 63, v33
	s_delay_alu instid0(VALU_DEP_2)
	v_lshlrev_b32_e32 v24, 2, v21
	ds_bpermute_b32 v31, v24, v9
	ds_bpermute_b32 v32, v24, v10
	;; [unrolled: 1-line block ×12, first 2 shown]
	s_and_b32 exec_lo, exec_lo, vcc_lo
	s_cbranch_execz .LBB115_25
; %bb.21:
	v_cmp_eq_f64_e32 vcc_lo, 0, v[4:5]
	v_cmp_eq_f64_e64 s0, 0, v[6:7]
	s_waitcnt lgkmcnt(10)
	v_add_f64 v[9:10], v[9:10], v[31:32]
	s_waitcnt lgkmcnt(8)
	v_add_f64 v[19:20], v[19:20], v[29:30]
	;; [unrolled: 2-line block ×6, first 2 shown]
	s_load_b64 s[2:3], s[2:3], 0x48
	s_and_b32 s0, vcc_lo, s0
	s_delay_alu instid0(SALU_CYCLE_1) | instskip(NEXT) | instid1(SALU_CYCLE_1)
	s_and_saveexec_b32 s1, s0
	s_xor_b32 s0, exec_lo, s1
	s_cbranch_execz .LBB115_23
; %bb.22:
	v_mul_f64 v[4:5], v[19:20], -v[2:3]
	v_mul_f64 v[6:7], v[0:1], v[19:20]
	v_mul_f64 v[19:20], v[17:18], -v[2:3]
	v_mul_f64 v[17:18], v[0:1], v[17:18]
	;; [unrolled: 2-line block ×3, first 2 shown]
	v_fma_f64 v[4:5], v[0:1], v[9:10], v[4:5]
	v_fma_f64 v[6:7], v[2:3], v[9:10], v[6:7]
	;; [unrolled: 1-line block ×6, first 2 shown]
	v_lshl_add_u32 v13, v8, 1, v8
                                        ; implicit-def: $vgpr8
                                        ; implicit-def: $vgpr19_vgpr20
                                        ; implicit-def: $vgpr17_vgpr18
                                        ; implicit-def: $vgpr15_vgpr16
	s_delay_alu instid0(VALU_DEP_1) | instskip(NEXT) | instid1(VALU_DEP_1)
	v_ashrrev_i32_e32 v14, 31, v13
	v_lshlrev_b64 v[13:14], 4, v[13:14]
	s_waitcnt lgkmcnt(0)
	s_delay_alu instid0(VALU_DEP_1) | instskip(NEXT) | instid1(VALU_DEP_2)
	v_add_co_u32 v13, vcc_lo, s2, v13
	v_add_co_ci_u32_e32 v14, vcc_lo, s3, v14, vcc_lo
	s_clause 0x2
	global_store_b128 v[13:14], v[4:7], off
	global_store_b128 v[13:14], v[9:12], off offset:16
	global_store_b128 v[13:14], v[0:3], off offset:32
                                        ; implicit-def: $vgpr0_vgpr1
                                        ; implicit-def: $vgpr2_vgpr3
                                        ; implicit-def: $vgpr4_vgpr5
                                        ; implicit-def: $vgpr6_vgpr7
                                        ; implicit-def: $vgpr9_vgpr10
                                        ; implicit-def: $vgpr11_vgpr12
                                        ; implicit-def: $vgpr13_vgpr14
.LBB115_23:
	s_and_not1_saveexec_b32 s0, s0
	s_cbranch_execz .LBB115_25
; %bb.24:
	v_lshl_add_u32 v21, v8, 1, v8
	v_mul_f64 v[35:36], v[19:20], -v[2:3]
	v_mul_f64 v[19:20], v[0:1], v[19:20]
	v_mul_f64 v[37:38], v[17:18], -v[2:3]
	v_mul_f64 v[17:18], v[0:1], v[17:18]
	v_ashrrev_i32_e32 v22, 31, v21
	v_mul_f64 v[39:40], v[15:16], -v[2:3]
	v_mul_f64 v[15:16], v[0:1], v[15:16]
	s_delay_alu instid0(VALU_DEP_3) | instskip(SKIP_1) | instid1(VALU_DEP_1)
	v_lshlrev_b64 v[21:22], 4, v[21:22]
	s_waitcnt lgkmcnt(0)
	v_add_co_u32 v33, vcc_lo, s2, v21
	s_delay_alu instid0(VALU_DEP_2)
	v_add_co_ci_u32_e32 v34, vcc_lo, s3, v22, vcc_lo
	s_clause 0x2
	global_load_b128 v[21:24], v[33:34], off
	global_load_b128 v[25:28], v[33:34], off offset:16
	global_load_b128 v[29:32], v[33:34], off offset:32
	v_fma_f64 v[35:36], v[0:1], v[9:10], v[35:36]
	v_fma_f64 v[8:9], v[2:3], v[9:10], v[19:20]
	;; [unrolled: 1-line block ×6, first 2 shown]
	s_waitcnt vmcnt(2)
	v_fma_f64 v[12:13], v[4:5], v[21:22], v[35:36]
	v_fma_f64 v[8:9], v[6:7], v[21:22], v[8:9]
	s_waitcnt vmcnt(1)
	v_fma_f64 v[14:15], v[4:5], v[25:26], v[19:20]
	v_fma_f64 v[10:11], v[6:7], v[25:26], v[10:11]
	s_waitcnt vmcnt(0)
	v_fma_f64 v[16:17], v[4:5], v[29:30], v[0:1]
	v_fma_f64 v[18:19], v[6:7], v[29:30], v[2:3]
	v_fma_f64 v[0:1], -v[6:7], v[23:24], v[12:13]
	v_fma_f64 v[2:3], v[4:5], v[23:24], v[8:9]
	v_fma_f64 v[8:9], -v[6:7], v[27:28], v[14:15]
	v_fma_f64 v[10:11], v[4:5], v[27:28], v[10:11]
	;; [unrolled: 2-line block ×3, first 2 shown]
	s_clause 0x2
	global_store_b128 v[33:34], v[0:3], off
	global_store_b128 v[33:34], v[8:11], off offset:16
	global_store_b128 v[33:34], v[12:15], off offset:32
.LBB115_25:
	s_nop 0
	s_sendmsg sendmsg(MSG_DEALLOC_VGPRS)
	s_endpgm
	.section	.rodata,"a",@progbits
	.p2align	6, 0x0
	.amdhsa_kernel _ZN9rocsparseL19gebsrmvn_3xn_kernelILj128ELj1ELj64E21rocsparse_complex_numIdEEEvi20rocsparse_direction_NS_24const_host_device_scalarIT2_EEPKiS8_PKS5_SA_S6_PS5_21rocsparse_index_base_b
		.amdhsa_group_segment_fixed_size 2048
		.amdhsa_private_segment_fixed_size 0
		.amdhsa_kernarg_size 88
		.amdhsa_user_sgpr_count 15
		.amdhsa_user_sgpr_dispatch_ptr 1
		.amdhsa_user_sgpr_queue_ptr 0
		.amdhsa_user_sgpr_kernarg_segment_ptr 1
		.amdhsa_user_sgpr_dispatch_id 0
		.amdhsa_user_sgpr_private_segment_size 0
		.amdhsa_wavefront_size32 1
		.amdhsa_uses_dynamic_stack 0
		.amdhsa_enable_private_segment 0
		.amdhsa_system_sgpr_workgroup_id_x 1
		.amdhsa_system_sgpr_workgroup_id_y 0
		.amdhsa_system_sgpr_workgroup_id_z 0
		.amdhsa_system_sgpr_workgroup_info 0
		.amdhsa_system_vgpr_workitem_id 2
		.amdhsa_next_free_vgpr 46
		.amdhsa_next_free_sgpr 18
		.amdhsa_reserve_vcc 1
		.amdhsa_float_round_mode_32 0
		.amdhsa_float_round_mode_16_64 0
		.amdhsa_float_denorm_mode_32 3
		.amdhsa_float_denorm_mode_16_64 3
		.amdhsa_dx10_clamp 1
		.amdhsa_ieee_mode 1
		.amdhsa_fp16_overflow 0
		.amdhsa_workgroup_processor_mode 1
		.amdhsa_memory_ordered 1
		.amdhsa_forward_progress 0
		.amdhsa_shared_vgpr_count 0
		.amdhsa_exception_fp_ieee_invalid_op 0
		.amdhsa_exception_fp_denorm_src 0
		.amdhsa_exception_fp_ieee_div_zero 0
		.amdhsa_exception_fp_ieee_overflow 0
		.amdhsa_exception_fp_ieee_underflow 0
		.amdhsa_exception_fp_ieee_inexact 0
		.amdhsa_exception_int_div_zero 0
	.end_amdhsa_kernel
	.section	.text._ZN9rocsparseL19gebsrmvn_3xn_kernelILj128ELj1ELj64E21rocsparse_complex_numIdEEEvi20rocsparse_direction_NS_24const_host_device_scalarIT2_EEPKiS8_PKS5_SA_S6_PS5_21rocsparse_index_base_b,"axG",@progbits,_ZN9rocsparseL19gebsrmvn_3xn_kernelILj128ELj1ELj64E21rocsparse_complex_numIdEEEvi20rocsparse_direction_NS_24const_host_device_scalarIT2_EEPKiS8_PKS5_SA_S6_PS5_21rocsparse_index_base_b,comdat
.Lfunc_end115:
	.size	_ZN9rocsparseL19gebsrmvn_3xn_kernelILj128ELj1ELj64E21rocsparse_complex_numIdEEEvi20rocsparse_direction_NS_24const_host_device_scalarIT2_EEPKiS8_PKS5_SA_S6_PS5_21rocsparse_index_base_b, .Lfunc_end115-_ZN9rocsparseL19gebsrmvn_3xn_kernelILj128ELj1ELj64E21rocsparse_complex_numIdEEEvi20rocsparse_direction_NS_24const_host_device_scalarIT2_EEPKiS8_PKS5_SA_S6_PS5_21rocsparse_index_base_b
                                        ; -- End function
	.section	.AMDGPU.csdata,"",@progbits
; Kernel info:
; codeLenInByte = 3100
; NumSgprs: 20
; NumVgprs: 46
; ScratchSize: 0
; MemoryBound: 0
; FloatMode: 240
; IeeeMode: 1
; LDSByteSize: 2048 bytes/workgroup (compile time only)
; SGPRBlocks: 2
; VGPRBlocks: 5
; NumSGPRsForWavesPerEU: 20
; NumVGPRsForWavesPerEU: 46
; Occupancy: 16
; WaveLimiterHint : 1
; COMPUTE_PGM_RSRC2:SCRATCH_EN: 0
; COMPUTE_PGM_RSRC2:USER_SGPR: 15
; COMPUTE_PGM_RSRC2:TRAP_HANDLER: 0
; COMPUTE_PGM_RSRC2:TGID_X_EN: 1
; COMPUTE_PGM_RSRC2:TGID_Y_EN: 0
; COMPUTE_PGM_RSRC2:TGID_Z_EN: 0
; COMPUTE_PGM_RSRC2:TIDIG_COMP_CNT: 2
	.section	.text._ZN9rocsparseL19gebsrmvn_3xn_kernelILj128ELj2ELj4E21rocsparse_complex_numIdEEEvi20rocsparse_direction_NS_24const_host_device_scalarIT2_EEPKiS8_PKS5_SA_S6_PS5_21rocsparse_index_base_b,"axG",@progbits,_ZN9rocsparseL19gebsrmvn_3xn_kernelILj128ELj2ELj4E21rocsparse_complex_numIdEEEvi20rocsparse_direction_NS_24const_host_device_scalarIT2_EEPKiS8_PKS5_SA_S6_PS5_21rocsparse_index_base_b,comdat
	.globl	_ZN9rocsparseL19gebsrmvn_3xn_kernelILj128ELj2ELj4E21rocsparse_complex_numIdEEEvi20rocsparse_direction_NS_24const_host_device_scalarIT2_EEPKiS8_PKS5_SA_S6_PS5_21rocsparse_index_base_b ; -- Begin function _ZN9rocsparseL19gebsrmvn_3xn_kernelILj128ELj2ELj4E21rocsparse_complex_numIdEEEvi20rocsparse_direction_NS_24const_host_device_scalarIT2_EEPKiS8_PKS5_SA_S6_PS5_21rocsparse_index_base_b
	.p2align	8
	.type	_ZN9rocsparseL19gebsrmvn_3xn_kernelILj128ELj2ELj4E21rocsparse_complex_numIdEEEvi20rocsparse_direction_NS_24const_host_device_scalarIT2_EEPKiS8_PKS5_SA_S6_PS5_21rocsparse_index_base_b,@function
_ZN9rocsparseL19gebsrmvn_3xn_kernelILj128ELj2ELj4E21rocsparse_complex_numIdEEEvi20rocsparse_direction_NS_24const_host_device_scalarIT2_EEPKiS8_PKS5_SA_S6_PS5_21rocsparse_index_base_b: ; @_ZN9rocsparseL19gebsrmvn_3xn_kernelILj128ELj2ELj4E21rocsparse_complex_numIdEEEvi20rocsparse_direction_NS_24const_host_device_scalarIT2_EEPKiS8_PKS5_SA_S6_PS5_21rocsparse_index_base_b
; %bb.0:
	s_load_b64 s[12:13], s[2:3], 0x50
	s_load_b64 s[16:17], s[0:1], 0x4
	s_load_b128 s[8:11], s[2:3], 0x8
	v_bfe_u32 v1, v0, 10, 10
	s_mov_b64 s[0:1], src_shared_base
	s_load_b128 s[4:7], s[2:3], 0x38
	v_and_b32_e32 v10, 0x3ff, v0
	v_bfe_u32 v0, v0, 20, 10
	s_waitcnt lgkmcnt(0)
	s_bitcmp1_b32 s13, 0
	v_mul_u32_u24_e32 v1, s17, v1
	s_cselect_b32 s0, -1, 0
	s_delay_alu instid0(SALU_CYCLE_1)
	s_and_b32 vcc_lo, s0, exec_lo
	s_cselect_b32 s13, s1, s9
	s_lshr_b32 s14, s16, 16
	v_dual_mov_b32 v2, s4 :: v_dual_mov_b32 v3, s5
	s_mul_i32 s14, s14, s17
	v_mov_b32_e32 v6, s13
	v_mad_u32_u24 v1, s14, v10, v1
	s_delay_alu instid0(VALU_DEP_1) | instskip(SKIP_1) | instid1(VALU_DEP_2)
	v_add_lshl_u32 v4, v1, v0, 3
	v_dual_mov_b32 v0, s8 :: v_dual_mov_b32 v1, s9
	v_add_nc_u32_e32 v5, 0x400, v4
	ds_store_2addr_stride64_b64 v4, v[2:3], v[0:1] offset1:2
	v_dual_mov_b32 v2, s10 :: v_dual_mov_b32 v3, s11
	v_cndmask_b32_e64 v5, s8, v5, s0
	s_xor_b32 s10, s0, -1
	flat_load_b64 v[0:1], v[5:6]
	s_cbranch_vccnz .LBB116_2
; %bb.1:
	v_dual_mov_b32 v2, s8 :: v_dual_mov_b32 v3, s9
	flat_load_b64 v[2:3], v[2:3] offset:8
.LBB116_2:
	s_and_b32 s8, s0, exec_lo
	s_cselect_b32 s1, s1, s5
	v_cndmask_b32_e64 v4, s4, v4, s0
	v_dual_mov_b32 v5, s1 :: v_dual_mov_b32 v6, s6
	v_mov_b32_e32 v7, s7
	s_and_not1_b32 vcc_lo, exec_lo, s10
	flat_load_b64 v[4:5], v[4:5]
	s_cbranch_vccnz .LBB116_4
; %bb.3:
	v_dual_mov_b32 v7, s5 :: v_dual_mov_b32 v6, s4
	flat_load_b64 v[6:7], v[6:7] offset:8
.LBB116_4:
	s_waitcnt vmcnt(1) lgkmcnt(1)
	v_cmp_eq_f64_e32 vcc_lo, 0, v[0:1]
	v_cmp_eq_f64_e64 s0, 0, v[2:3]
	s_delay_alu instid0(VALU_DEP_1)
	s_and_b32 s4, vcc_lo, s0
	s_mov_b32 s0, -1
	s_and_saveexec_b32 s1, s4
	s_cbranch_execz .LBB116_6
; %bb.5:
	s_waitcnt vmcnt(0) lgkmcnt(0)
	v_cmp_neq_f64_e32 vcc_lo, 1.0, v[4:5]
	v_cmp_neq_f64_e64 s0, 0, v[6:7]
	s_delay_alu instid0(VALU_DEP_1) | instskip(NEXT) | instid1(SALU_CYCLE_1)
	s_or_b32 s0, vcc_lo, s0
	s_or_not1_b32 s0, s0, exec_lo
.LBB116_6:
	s_or_b32 exec_lo, exec_lo, s1
	s_and_saveexec_b32 s1, s0
	s_cbranch_execz .LBB116_25
; %bb.7:
	s_load_b64 s[0:1], s[2:3], 0x0
	v_lshrrev_b32_e32 v8, 2, v10
	s_delay_alu instid0(VALU_DEP_1) | instskip(SKIP_1) | instid1(VALU_DEP_1)
	v_lshl_or_b32 v8, s15, 5, v8
	s_waitcnt lgkmcnt(0)
	v_cmp_gt_i32_e32 vcc_lo, s0, v8
	s_and_b32 exec_lo, exec_lo, vcc_lo
	s_cbranch_execz .LBB116_25
; %bb.8:
	s_load_b256 s[4:11], s[2:3], 0x18
	v_ashrrev_i32_e32 v9, 31, v8
	v_and_b32_e32 v33, 3, v10
	s_cmp_lg_u32 s1, 0
	s_delay_alu instid0(VALU_DEP_2) | instskip(SKIP_1) | instid1(VALU_DEP_1)
	v_lshlrev_b64 v[11:12], 2, v[8:9]
	s_waitcnt lgkmcnt(0)
	v_add_co_u32 v11, vcc_lo, s4, v11
	s_delay_alu instid0(VALU_DEP_2) | instskip(SKIP_4) | instid1(VALU_DEP_2)
	v_add_co_ci_u32_e32 v12, vcc_lo, s5, v12, vcc_lo
	global_load_b64 v[11:12], v[11:12], off
	s_waitcnt vmcnt(0)
	v_subrev_nc_u32_e32 v9, s12, v11
	v_subrev_nc_u32_e32 v28, s12, v12
	v_add_nc_u32_e32 v11, v9, v33
	s_delay_alu instid0(VALU_DEP_1)
	v_cmp_lt_i32_e64 s0, v11, v28
	s_cbranch_scc0 .LBB116_14
; %bb.9:
	v_mov_b32_e32 v9, 0
	v_mov_b32_e32 v10, 0
	s_delay_alu instid0(VALU_DEP_1)
	v_dual_mov_b32 v14, v10 :: v_dual_mov_b32 v13, v9
	v_dual_mov_b32 v16, v10 :: v_dual_mov_b32 v15, v9
	;; [unrolled: 1-line block ×5, first 2 shown]
	s_and_saveexec_b32 s1, s0
	s_cbranch_execz .LBB116_13
; %bb.10:
	v_dual_mov_b32 v9, 0 :: v_dual_mov_b32 v26, v11
	v_dual_mov_b32 v10, 0 :: v_dual_mov_b32 v25, 0
	v_mad_u64_u32 v[23:24], null, v11, 6, 5
	s_mov_b32 s4, 0
	s_delay_alu instid0(VALU_DEP_2)
	v_dual_mov_b32 v14, v10 :: v_dual_mov_b32 v13, v9
	v_dual_mov_b32 v16, v10 :: v_dual_mov_b32 v15, v9
	;; [unrolled: 1-line block ×5, first 2 shown]
.LBB116_11:                             ; =>This Inner Loop Header: Depth=1
	v_ashrrev_i32_e32 v27, 31, v26
	v_dual_mov_b32 v43, v25 :: v_dual_add_nc_u32 v24, -5, v23
	s_delay_alu instid0(VALU_DEP_2) | instskip(SKIP_1) | instid1(VALU_DEP_2)
	v_lshlrev_b64 v[29:30], 2, v[26:27]
	v_add_nc_u32_e32 v26, 4, v26
	v_add_co_u32 v29, vcc_lo, s6, v29
	s_delay_alu instid0(VALU_DEP_3) | instskip(SKIP_3) | instid1(VALU_DEP_1)
	v_add_co_ci_u32_e32 v30, vcc_lo, s7, v30, vcc_lo
	global_load_b32 v12, v[29:30], off
	v_lshlrev_b64 v[29:30], 4, v[24:25]
	v_add_nc_u32_e32 v24, -3, v23
	v_lshlrev_b64 v[31:32], 4, v[24:25]
	s_delay_alu instid0(VALU_DEP_3) | instskip(NEXT) | instid1(VALU_DEP_4)
	v_add_co_u32 v34, vcc_lo, s8, v29
	v_add_co_ci_u32_e32 v35, vcc_lo, s9, v30, vcc_lo
	v_mov_b32_e32 v24, v25
	s_delay_alu instid0(VALU_DEP_4)
	v_add_co_u32 v38, vcc_lo, s8, v31
	v_add_co_ci_u32_e32 v39, vcc_lo, s9, v32, vcc_lo
	s_clause 0x2
	global_load_b128 v[29:32], v[34:35], off offset:16
	global_load_b128 v[34:37], v[34:35], off
	global_load_b128 v[38:41], v[38:39], off
	v_lshlrev_b64 v[50:51], 4, v[23:24]
	v_add_nc_u32_e32 v24, -2, v23
	s_waitcnt vmcnt(3)
	v_subrev_nc_u32_e32 v12, s12, v12
	s_delay_alu instid0(VALU_DEP_1) | instskip(NEXT) | instid1(VALU_DEP_1)
	v_lshlrev_b32_e32 v42, 1, v12
	v_lshlrev_b64 v[42:43], 4, v[42:43]
	s_delay_alu instid0(VALU_DEP_1) | instskip(NEXT) | instid1(VALU_DEP_2)
	v_add_co_u32 v46, vcc_lo, s10, v42
	v_add_co_ci_u32_e32 v47, vcc_lo, s11, v43, vcc_lo
	v_add_co_u32 v58, vcc_lo, s8, v50
	v_add_co_ci_u32_e32 v59, vcc_lo, s9, v51, vcc_lo
	s_clause 0x1
	global_load_b128 v[42:45], v[46:47], off
	global_load_b128 v[46:49], v[46:47], off offset:16
	v_lshlrev_b64 v[50:51], 4, v[24:25]
	v_add_nc_u32_e32 v24, -1, v23
	v_add_nc_u32_e32 v23, 24, v23
	s_delay_alu instid0(VALU_DEP_2) | instskip(NEXT) | instid1(VALU_DEP_4)
	v_lshlrev_b64 v[52:53], 4, v[24:25]
	v_add_co_u32 v50, vcc_lo, s8, v50
	v_add_co_ci_u32_e32 v51, vcc_lo, s9, v51, vcc_lo
	s_delay_alu instid0(VALU_DEP_3) | instskip(NEXT) | instid1(VALU_DEP_4)
	v_add_co_u32 v54, vcc_lo, s8, v52
	v_add_co_ci_u32_e32 v55, vcc_lo, s9, v53, vcc_lo
	s_clause 0x2
	global_load_b128 v[50:53], v[50:51], off
	global_load_b128 v[54:57], v[54:55], off
	;; [unrolled: 1-line block ×3, first 2 shown]
	v_cmp_ge_i32_e32 vcc_lo, v26, v28
	s_or_b32 s4, vcc_lo, s4
	s_waitcnt vmcnt(4)
	v_fma_f64 v[12:13], v[34:35], v[42:43], v[13:14]
	v_fma_f64 v[9:10], v[36:37], v[42:43], v[9:10]
	;; [unrolled: 1-line block ×6, first 2 shown]
	v_fma_f64 v[12:13], -v[36:37], v[44:45], v[12:13]
	v_fma_f64 v[9:10], v[34:35], v[44:45], v[9:10]
	v_fma_f64 v[18:19], -v[31:32], v[44:45], v[19:20]
	v_fma_f64 v[20:21], v[29:30], v[44:45], v[21:22]
	;; [unrolled: 2-line block ×3, first 2 shown]
	s_waitcnt vmcnt(2)
	v_fma_f64 v[12:13], v[50:51], v[46:47], v[12:13]
	v_fma_f64 v[9:10], v[52:53], v[46:47], v[9:10]
	s_waitcnt vmcnt(1)
	v_fma_f64 v[18:19], v[54:55], v[46:47], v[18:19]
	v_fma_f64 v[21:22], v[56:57], v[46:47], v[20:21]
	;; [unrolled: 3-line block ×3, first 2 shown]
	v_fma_f64 v[13:14], -v[52:53], v[48:49], v[12:13]
	v_fma_f64 v[9:10], v[50:51], v[48:49], v[9:10]
	v_fma_f64 v[19:20], -v[56:57], v[48:49], v[18:19]
	v_fma_f64 v[21:22], v[54:55], v[48:49], v[21:22]
	;; [unrolled: 2-line block ×3, first 2 shown]
	s_and_not1_b32 exec_lo, exec_lo, s4
	s_cbranch_execnz .LBB116_11
; %bb.12:
	s_or_b32 exec_lo, exec_lo, s4
.LBB116_13:
	s_delay_alu instid0(SALU_CYCLE_1)
	s_or_b32 exec_lo, exec_lo, s1
	s_cbranch_execz .LBB116_15
	s_branch .LBB116_20
.LBB116_14:
                                        ; implicit-def: $vgpr9_vgpr10
                                        ; implicit-def: $vgpr13_vgpr14
                                        ; implicit-def: $vgpr15_vgpr16
                                        ; implicit-def: $vgpr17_vgpr18
                                        ; implicit-def: $vgpr19_vgpr20
                                        ; implicit-def: $vgpr21_vgpr22
.LBB116_15:
	v_mov_b32_e32 v9, 0
	v_mov_b32_e32 v10, 0
	s_delay_alu instid0(VALU_DEP_1)
	v_dual_mov_b32 v14, v10 :: v_dual_mov_b32 v13, v9
	v_dual_mov_b32 v16, v10 :: v_dual_mov_b32 v15, v9
	;; [unrolled: 1-line block ×5, first 2 shown]
	s_and_saveexec_b32 s1, s0
	s_cbranch_execz .LBB116_19
; %bb.16:
	v_dual_mov_b32 v9, 0 :: v_dual_mov_b32 v26, 0
	v_mov_b32_e32 v10, 0
	v_mad_u64_u32 v[23:24], null, v11, 6, 5
	s_mov_b32 s0, 0
	s_delay_alu instid0(VALU_DEP_2)
	v_dual_mov_b32 v14, v10 :: v_dual_mov_b32 v13, v9
	v_dual_mov_b32 v16, v10 :: v_dual_mov_b32 v15, v9
	;; [unrolled: 1-line block ×5, first 2 shown]
.LBB116_17:                             ; =>This Inner Loop Header: Depth=1
	v_ashrrev_i32_e32 v12, 31, v11
	v_dual_mov_b32 v32, v26 :: v_dual_add_nc_u32 v29, -3, v23
	v_dual_mov_b32 v30, v26 :: v_dual_add_nc_u32 v31, -1, v23
	s_delay_alu instid0(VALU_DEP_3) | instskip(SKIP_1) | instid1(VALU_DEP_3)
	v_lshlrev_b64 v[24:25], 2, v[11:12]
	v_add_nc_u32_e32 v11, 4, v11
	v_lshlrev_b64 v[31:32], 4, v[31:32]
	s_delay_alu instid0(VALU_DEP_4) | instskip(NEXT) | instid1(VALU_DEP_4)
	v_lshlrev_b64 v[29:30], 4, v[29:30]
	v_add_co_u32 v24, vcc_lo, s6, v24
	v_add_co_ci_u32_e32 v25, vcc_lo, s7, v25, vcc_lo
	global_load_b32 v12, v[24:25], off
	v_add_nc_u32_e32 v25, -5, v23
	s_delay_alu instid0(VALU_DEP_1) | instskip(NEXT) | instid1(VALU_DEP_1)
	v_lshlrev_b64 v[24:25], 4, v[25:26]
	v_add_co_u32 v24, vcc_lo, s8, v24
	s_delay_alu instid0(VALU_DEP_2)
	v_add_co_ci_u32_e32 v25, vcc_lo, s9, v25, vcc_lo
	v_add_co_u32 v38, vcc_lo, s8, v29
	v_add_co_ci_u32_e32 v39, vcc_lo, s9, v30, vcc_lo
	v_add_co_u32 v42, vcc_lo, s8, v31
	v_add_co_ci_u32_e32 v43, vcc_lo, s9, v32, vcc_lo
	s_clause 0x3
	global_load_b128 v[29:32], v[24:25], off offset:16
	global_load_b128 v[34:37], v[24:25], off
	global_load_b128 v[38:41], v[38:39], off
	;; [unrolled: 1-line block ×3, first 2 shown]
	s_waitcnt vmcnt(4)
	v_subrev_nc_u32_e32 v12, s12, v12
	s_delay_alu instid0(VALU_DEP_1) | instskip(NEXT) | instid1(VALU_DEP_1)
	v_dual_mov_b32 v47, v26 :: v_dual_lshlrev_b32 v46, 1, v12
	v_lshlrev_b64 v[24:25], 4, v[46:47]
	s_delay_alu instid0(VALU_DEP_1) | instskip(NEXT) | instid1(VALU_DEP_2)
	v_add_co_u32 v24, vcc_lo, s10, v24
	v_add_co_ci_u32_e32 v25, vcc_lo, s11, v25, vcc_lo
	s_clause 0x1
	global_load_b128 v[46:49], v[24:25], off
	global_load_b128 v[50:53], v[24:25], off offset:16
	v_dual_mov_b32 v24, v26 :: v_dual_add_nc_u32 v25, -2, v23
	s_delay_alu instid0(VALU_DEP_1) | instskip(NEXT) | instid1(VALU_DEP_2)
	v_lshlrev_b64 v[54:55], 4, v[23:24]
	v_lshlrev_b64 v[24:25], 4, v[25:26]
	v_add_nc_u32_e32 v23, 24, v23
	s_delay_alu instid0(VALU_DEP_3) | instskip(NEXT) | instid1(VALU_DEP_4)
	v_add_co_u32 v58, vcc_lo, s8, v54
	v_add_co_ci_u32_e32 v59, vcc_lo, s9, v55, vcc_lo
	s_delay_alu instid0(VALU_DEP_4)
	v_add_co_u32 v24, vcc_lo, s8, v24
	v_add_co_ci_u32_e32 v25, vcc_lo, s9, v25, vcc_lo
	v_cmp_ge_i32_e32 vcc_lo, v11, v28
	s_clause 0x1
	global_load_b128 v[54:57], v[24:25], off
	global_load_b128 v[58:61], v[58:59], off
	s_or_b32 s0, vcc_lo, s0
	s_waitcnt vmcnt(3)
	v_fma_f64 v[12:13], v[34:35], v[46:47], v[13:14]
	v_fma_f64 v[9:10], v[36:37], v[46:47], v[9:10]
	;; [unrolled: 1-line block ×6, first 2 shown]
	v_fma_f64 v[12:13], -v[36:37], v[48:49], v[12:13]
	v_fma_f64 v[9:10], v[34:35], v[48:49], v[9:10]
	v_fma_f64 v[18:19], -v[40:41], v[48:49], v[19:20]
	v_fma_f64 v[20:21], v[38:39], v[48:49], v[21:22]
	;; [unrolled: 2-line block ×3, first 2 shown]
	s_waitcnt vmcnt(2)
	v_fma_f64 v[12:13], v[29:30], v[50:51], v[12:13]
	v_fma_f64 v[9:10], v[31:32], v[50:51], v[9:10]
	s_waitcnt vmcnt(1)
	v_fma_f64 v[18:19], v[54:55], v[50:51], v[18:19]
	v_fma_f64 v[21:22], v[56:57], v[50:51], v[20:21]
	;; [unrolled: 3-line block ×3, first 2 shown]
	v_fma_f64 v[13:14], -v[31:32], v[52:53], v[12:13]
	v_fma_f64 v[9:10], v[29:30], v[52:53], v[9:10]
	v_fma_f64 v[19:20], -v[56:57], v[52:53], v[18:19]
	v_fma_f64 v[21:22], v[54:55], v[52:53], v[21:22]
	;; [unrolled: 2-line block ×3, first 2 shown]
	s_and_not1_b32 exec_lo, exec_lo, s0
	s_cbranch_execnz .LBB116_17
; %bb.18:
	s_or_b32 exec_lo, exec_lo, s0
.LBB116_19:
	s_delay_alu instid0(SALU_CYCLE_1)
	s_or_b32 exec_lo, exec_lo, s1
.LBB116_20:
	v_mbcnt_lo_u32_b32 v36, -1, 0
	s_delay_alu instid0(VALU_DEP_1) | instskip(NEXT) | instid1(VALU_DEP_1)
	v_xor_b32_e32 v11, 2, v36
	v_cmp_gt_i32_e32 vcc_lo, 32, v11
	v_cndmask_b32_e32 v11, v36, v11, vcc_lo
	s_delay_alu instid0(VALU_DEP_1)
	v_lshlrev_b32_e32 v25, 2, v11
	ds_bpermute_b32 v11, v25, v13
	ds_bpermute_b32 v12, v25, v14
	;; [unrolled: 1-line block ×12, first 2 shown]
	s_waitcnt lgkmcnt(10)
	v_add_f64 v[25:26], v[13:14], v[11:12]
	s_waitcnt lgkmcnt(8)
	v_add_f64 v[23:24], v[9:10], v[23:24]
	v_xor_b32_e32 v9, 1, v36
	s_waitcnt lgkmcnt(6)
	v_add_f64 v[11:12], v[19:20], v[27:28]
	s_waitcnt lgkmcnt(4)
	v_add_f64 v[21:22], v[21:22], v[29:30]
	;; [unrolled: 2-line block ×3, first 2 shown]
	v_cmp_gt_i32_e32 vcc_lo, 32, v9
	s_waitcnt lgkmcnt(0)
	v_add_f64 v[15:16], v[17:18], v[34:35]
	v_cndmask_b32_e32 v9, v36, v9, vcc_lo
	v_cmp_eq_u32_e32 vcc_lo, 3, v33
	s_delay_alu instid0(VALU_DEP_2)
	v_lshlrev_b32_e32 v30, 2, v9
	ds_bpermute_b32 v9, v30, v25
	ds_bpermute_b32 v10, v30, v26
	;; [unrolled: 1-line block ×12, first 2 shown]
	s_and_b32 exec_lo, exec_lo, vcc_lo
	s_cbranch_execz .LBB116_25
; %bb.21:
	v_cmp_eq_f64_e32 vcc_lo, 0, v[4:5]
	v_cmp_eq_f64_e64 s0, 0, v[6:7]
	s_waitcnt lgkmcnt(10)
	v_add_f64 v[9:10], v[25:26], v[9:10]
	s_waitcnt lgkmcnt(8)
	v_add_f64 v[19:20], v[23:24], v[19:20]
	s_waitcnt lgkmcnt(6)
	v_add_f64 v[11:12], v[11:12], v[31:32]
	s_waitcnt lgkmcnt(4)
	v_add_f64 v[17:18], v[21:22], v[17:18]
	s_waitcnt lgkmcnt(2)
	v_add_f64 v[13:14], v[13:14], v[27:28]
	s_waitcnt lgkmcnt(0)
	v_add_f64 v[15:16], v[15:16], v[29:30]
	s_load_b64 s[2:3], s[2:3], 0x48
	s_and_b32 s0, vcc_lo, s0
	s_delay_alu instid0(SALU_CYCLE_1) | instskip(NEXT) | instid1(SALU_CYCLE_1)
	s_and_saveexec_b32 s1, s0
	s_xor_b32 s0, exec_lo, s1
	s_cbranch_execz .LBB116_23
; %bb.22:
	v_mul_f64 v[4:5], v[19:20], -v[2:3]
	v_mul_f64 v[6:7], v[0:1], v[19:20]
	v_mul_f64 v[19:20], v[17:18], -v[2:3]
	v_mul_f64 v[17:18], v[0:1], v[17:18]
	;; [unrolled: 2-line block ×3, first 2 shown]
	v_fma_f64 v[4:5], v[0:1], v[9:10], v[4:5]
	v_fma_f64 v[6:7], v[2:3], v[9:10], v[6:7]
	;; [unrolled: 1-line block ×6, first 2 shown]
	v_lshl_add_u32 v13, v8, 1, v8
                                        ; implicit-def: $vgpr8
                                        ; implicit-def: $vgpr19_vgpr20
                                        ; implicit-def: $vgpr17_vgpr18
                                        ; implicit-def: $vgpr15_vgpr16
	s_delay_alu instid0(VALU_DEP_1) | instskip(NEXT) | instid1(VALU_DEP_1)
	v_ashrrev_i32_e32 v14, 31, v13
	v_lshlrev_b64 v[13:14], 4, v[13:14]
	s_waitcnt lgkmcnt(0)
	s_delay_alu instid0(VALU_DEP_1) | instskip(NEXT) | instid1(VALU_DEP_2)
	v_add_co_u32 v13, vcc_lo, s2, v13
	v_add_co_ci_u32_e32 v14, vcc_lo, s3, v14, vcc_lo
	s_clause 0x2
	global_store_b128 v[13:14], v[4:7], off
	global_store_b128 v[13:14], v[9:12], off offset:16
	global_store_b128 v[13:14], v[0:3], off offset:32
                                        ; implicit-def: $vgpr0_vgpr1
                                        ; implicit-def: $vgpr2_vgpr3
                                        ; implicit-def: $vgpr4_vgpr5
                                        ; implicit-def: $vgpr6_vgpr7
                                        ; implicit-def: $vgpr9_vgpr10
                                        ; implicit-def: $vgpr11_vgpr12
                                        ; implicit-def: $vgpr13_vgpr14
.LBB116_23:
	s_and_not1_saveexec_b32 s0, s0
	s_cbranch_execz .LBB116_25
; %bb.24:
	v_lshl_add_u32 v21, v8, 1, v8
	v_mul_f64 v[35:36], v[19:20], -v[2:3]
	v_mul_f64 v[19:20], v[0:1], v[19:20]
	v_mul_f64 v[37:38], v[17:18], -v[2:3]
	v_mul_f64 v[17:18], v[0:1], v[17:18]
	v_ashrrev_i32_e32 v22, 31, v21
	v_mul_f64 v[39:40], v[15:16], -v[2:3]
	v_mul_f64 v[15:16], v[0:1], v[15:16]
	s_delay_alu instid0(VALU_DEP_3) | instskip(SKIP_1) | instid1(VALU_DEP_1)
	v_lshlrev_b64 v[21:22], 4, v[21:22]
	s_waitcnt lgkmcnt(0)
	v_add_co_u32 v33, vcc_lo, s2, v21
	s_delay_alu instid0(VALU_DEP_2)
	v_add_co_ci_u32_e32 v34, vcc_lo, s3, v22, vcc_lo
	s_clause 0x2
	global_load_b128 v[21:24], v[33:34], off
	global_load_b128 v[25:28], v[33:34], off offset:16
	global_load_b128 v[29:32], v[33:34], off offset:32
	v_fma_f64 v[35:36], v[0:1], v[9:10], v[35:36]
	v_fma_f64 v[8:9], v[2:3], v[9:10], v[19:20]
	;; [unrolled: 1-line block ×6, first 2 shown]
	s_waitcnt vmcnt(2)
	v_fma_f64 v[12:13], v[4:5], v[21:22], v[35:36]
	v_fma_f64 v[8:9], v[6:7], v[21:22], v[8:9]
	s_waitcnt vmcnt(1)
	v_fma_f64 v[14:15], v[4:5], v[25:26], v[19:20]
	v_fma_f64 v[10:11], v[6:7], v[25:26], v[10:11]
	;; [unrolled: 3-line block ×3, first 2 shown]
	v_fma_f64 v[0:1], -v[6:7], v[23:24], v[12:13]
	v_fma_f64 v[2:3], v[4:5], v[23:24], v[8:9]
	v_fma_f64 v[8:9], -v[6:7], v[27:28], v[14:15]
	v_fma_f64 v[10:11], v[4:5], v[27:28], v[10:11]
	;; [unrolled: 2-line block ×3, first 2 shown]
	s_clause 0x2
	global_store_b128 v[33:34], v[0:3], off
	global_store_b128 v[33:34], v[8:11], off offset:16
	global_store_b128 v[33:34], v[12:15], off offset:32
.LBB116_25:
	s_nop 0
	s_sendmsg sendmsg(MSG_DEALLOC_VGPRS)
	s_endpgm
	.section	.rodata,"a",@progbits
	.p2align	6, 0x0
	.amdhsa_kernel _ZN9rocsparseL19gebsrmvn_3xn_kernelILj128ELj2ELj4E21rocsparse_complex_numIdEEEvi20rocsparse_direction_NS_24const_host_device_scalarIT2_EEPKiS8_PKS5_SA_S6_PS5_21rocsparse_index_base_b
		.amdhsa_group_segment_fixed_size 2048
		.amdhsa_private_segment_fixed_size 0
		.amdhsa_kernarg_size 88
		.amdhsa_user_sgpr_count 15
		.amdhsa_user_sgpr_dispatch_ptr 1
		.amdhsa_user_sgpr_queue_ptr 0
		.amdhsa_user_sgpr_kernarg_segment_ptr 1
		.amdhsa_user_sgpr_dispatch_id 0
		.amdhsa_user_sgpr_private_segment_size 0
		.amdhsa_wavefront_size32 1
		.amdhsa_uses_dynamic_stack 0
		.amdhsa_enable_private_segment 0
		.amdhsa_system_sgpr_workgroup_id_x 1
		.amdhsa_system_sgpr_workgroup_id_y 0
		.amdhsa_system_sgpr_workgroup_id_z 0
		.amdhsa_system_sgpr_workgroup_info 0
		.amdhsa_system_vgpr_workitem_id 2
		.amdhsa_next_free_vgpr 62
		.amdhsa_next_free_sgpr 18
		.amdhsa_reserve_vcc 1
		.amdhsa_float_round_mode_32 0
		.amdhsa_float_round_mode_16_64 0
		.amdhsa_float_denorm_mode_32 3
		.amdhsa_float_denorm_mode_16_64 3
		.amdhsa_dx10_clamp 1
		.amdhsa_ieee_mode 1
		.amdhsa_fp16_overflow 0
		.amdhsa_workgroup_processor_mode 1
		.amdhsa_memory_ordered 1
		.amdhsa_forward_progress 0
		.amdhsa_shared_vgpr_count 0
		.amdhsa_exception_fp_ieee_invalid_op 0
		.amdhsa_exception_fp_denorm_src 0
		.amdhsa_exception_fp_ieee_div_zero 0
		.amdhsa_exception_fp_ieee_overflow 0
		.amdhsa_exception_fp_ieee_underflow 0
		.amdhsa_exception_fp_ieee_inexact 0
		.amdhsa_exception_int_div_zero 0
	.end_amdhsa_kernel
	.section	.text._ZN9rocsparseL19gebsrmvn_3xn_kernelILj128ELj2ELj4E21rocsparse_complex_numIdEEEvi20rocsparse_direction_NS_24const_host_device_scalarIT2_EEPKiS8_PKS5_SA_S6_PS5_21rocsparse_index_base_b,"axG",@progbits,_ZN9rocsparseL19gebsrmvn_3xn_kernelILj128ELj2ELj4E21rocsparse_complex_numIdEEEvi20rocsparse_direction_NS_24const_host_device_scalarIT2_EEPKiS8_PKS5_SA_S6_PS5_21rocsparse_index_base_b,comdat
.Lfunc_end116:
	.size	_ZN9rocsparseL19gebsrmvn_3xn_kernelILj128ELj2ELj4E21rocsparse_complex_numIdEEEvi20rocsparse_direction_NS_24const_host_device_scalarIT2_EEPKiS8_PKS5_SA_S6_PS5_21rocsparse_index_base_b, .Lfunc_end116-_ZN9rocsparseL19gebsrmvn_3xn_kernelILj128ELj2ELj4E21rocsparse_complex_numIdEEEvi20rocsparse_direction_NS_24const_host_device_scalarIT2_EEPKiS8_PKS5_SA_S6_PS5_21rocsparse_index_base_b
                                        ; -- End function
	.section	.AMDGPU.csdata,"",@progbits
; Kernel info:
; codeLenInByte = 2760
; NumSgprs: 20
; NumVgprs: 62
; ScratchSize: 0
; MemoryBound: 0
; FloatMode: 240
; IeeeMode: 1
; LDSByteSize: 2048 bytes/workgroup (compile time only)
; SGPRBlocks: 2
; VGPRBlocks: 7
; NumSGPRsForWavesPerEU: 20
; NumVGPRsForWavesPerEU: 62
; Occupancy: 16
; WaveLimiterHint : 1
; COMPUTE_PGM_RSRC2:SCRATCH_EN: 0
; COMPUTE_PGM_RSRC2:USER_SGPR: 15
; COMPUTE_PGM_RSRC2:TRAP_HANDLER: 0
; COMPUTE_PGM_RSRC2:TGID_X_EN: 1
; COMPUTE_PGM_RSRC2:TGID_Y_EN: 0
; COMPUTE_PGM_RSRC2:TGID_Z_EN: 0
; COMPUTE_PGM_RSRC2:TIDIG_COMP_CNT: 2
	.section	.text._ZN9rocsparseL19gebsrmvn_3xn_kernelILj128ELj2ELj8E21rocsparse_complex_numIdEEEvi20rocsparse_direction_NS_24const_host_device_scalarIT2_EEPKiS8_PKS5_SA_S6_PS5_21rocsparse_index_base_b,"axG",@progbits,_ZN9rocsparseL19gebsrmvn_3xn_kernelILj128ELj2ELj8E21rocsparse_complex_numIdEEEvi20rocsparse_direction_NS_24const_host_device_scalarIT2_EEPKiS8_PKS5_SA_S6_PS5_21rocsparse_index_base_b,comdat
	.globl	_ZN9rocsparseL19gebsrmvn_3xn_kernelILj128ELj2ELj8E21rocsparse_complex_numIdEEEvi20rocsparse_direction_NS_24const_host_device_scalarIT2_EEPKiS8_PKS5_SA_S6_PS5_21rocsparse_index_base_b ; -- Begin function _ZN9rocsparseL19gebsrmvn_3xn_kernelILj128ELj2ELj8E21rocsparse_complex_numIdEEEvi20rocsparse_direction_NS_24const_host_device_scalarIT2_EEPKiS8_PKS5_SA_S6_PS5_21rocsparse_index_base_b
	.p2align	8
	.type	_ZN9rocsparseL19gebsrmvn_3xn_kernelILj128ELj2ELj8E21rocsparse_complex_numIdEEEvi20rocsparse_direction_NS_24const_host_device_scalarIT2_EEPKiS8_PKS5_SA_S6_PS5_21rocsparse_index_base_b,@function
_ZN9rocsparseL19gebsrmvn_3xn_kernelILj128ELj2ELj8E21rocsparse_complex_numIdEEEvi20rocsparse_direction_NS_24const_host_device_scalarIT2_EEPKiS8_PKS5_SA_S6_PS5_21rocsparse_index_base_b: ; @_ZN9rocsparseL19gebsrmvn_3xn_kernelILj128ELj2ELj8E21rocsparse_complex_numIdEEEvi20rocsparse_direction_NS_24const_host_device_scalarIT2_EEPKiS8_PKS5_SA_S6_PS5_21rocsparse_index_base_b
; %bb.0:
	s_load_b64 s[12:13], s[2:3], 0x50
	s_load_b64 s[16:17], s[0:1], 0x4
	s_load_b128 s[8:11], s[2:3], 0x8
	v_bfe_u32 v1, v0, 10, 10
	s_mov_b64 s[0:1], src_shared_base
	s_load_b128 s[4:7], s[2:3], 0x38
	v_and_b32_e32 v10, 0x3ff, v0
	v_bfe_u32 v0, v0, 20, 10
	s_waitcnt lgkmcnt(0)
	s_bitcmp1_b32 s13, 0
	v_mul_u32_u24_e32 v1, s17, v1
	s_cselect_b32 s0, -1, 0
	s_delay_alu instid0(SALU_CYCLE_1)
	s_and_b32 vcc_lo, s0, exec_lo
	s_cselect_b32 s13, s1, s9
	s_lshr_b32 s14, s16, 16
	v_dual_mov_b32 v2, s4 :: v_dual_mov_b32 v3, s5
	s_mul_i32 s14, s14, s17
	v_mov_b32_e32 v6, s13
	v_mad_u32_u24 v1, s14, v10, v1
	s_delay_alu instid0(VALU_DEP_1) | instskip(SKIP_1) | instid1(VALU_DEP_2)
	v_add_lshl_u32 v4, v1, v0, 3
	v_dual_mov_b32 v0, s8 :: v_dual_mov_b32 v1, s9
	v_add_nc_u32_e32 v5, 0x400, v4
	ds_store_2addr_stride64_b64 v4, v[2:3], v[0:1] offset1:2
	v_dual_mov_b32 v2, s10 :: v_dual_mov_b32 v3, s11
	v_cndmask_b32_e64 v5, s8, v5, s0
	s_xor_b32 s10, s0, -1
	flat_load_b64 v[0:1], v[5:6]
	s_cbranch_vccnz .LBB117_2
; %bb.1:
	v_dual_mov_b32 v2, s8 :: v_dual_mov_b32 v3, s9
	flat_load_b64 v[2:3], v[2:3] offset:8
.LBB117_2:
	s_and_b32 s8, s0, exec_lo
	s_cselect_b32 s1, s1, s5
	v_cndmask_b32_e64 v4, s4, v4, s0
	v_dual_mov_b32 v5, s1 :: v_dual_mov_b32 v6, s6
	v_mov_b32_e32 v7, s7
	s_and_not1_b32 vcc_lo, exec_lo, s10
	flat_load_b64 v[4:5], v[4:5]
	s_cbranch_vccnz .LBB117_4
; %bb.3:
	v_dual_mov_b32 v7, s5 :: v_dual_mov_b32 v6, s4
	flat_load_b64 v[6:7], v[6:7] offset:8
.LBB117_4:
	s_waitcnt vmcnt(1) lgkmcnt(1)
	v_cmp_eq_f64_e32 vcc_lo, 0, v[0:1]
	v_cmp_eq_f64_e64 s0, 0, v[2:3]
	s_delay_alu instid0(VALU_DEP_1)
	s_and_b32 s4, vcc_lo, s0
	s_mov_b32 s0, -1
	s_and_saveexec_b32 s1, s4
	s_cbranch_execz .LBB117_6
; %bb.5:
	s_waitcnt vmcnt(0) lgkmcnt(0)
	v_cmp_neq_f64_e32 vcc_lo, 1.0, v[4:5]
	v_cmp_neq_f64_e64 s0, 0, v[6:7]
	s_delay_alu instid0(VALU_DEP_1) | instskip(NEXT) | instid1(SALU_CYCLE_1)
	s_or_b32 s0, vcc_lo, s0
	s_or_not1_b32 s0, s0, exec_lo
.LBB117_6:
	s_or_b32 exec_lo, exec_lo, s1
	s_and_saveexec_b32 s1, s0
	s_cbranch_execz .LBB117_25
; %bb.7:
	s_load_b64 s[0:1], s[2:3], 0x0
	v_lshrrev_b32_e32 v8, 3, v10
	s_delay_alu instid0(VALU_DEP_1) | instskip(SKIP_1) | instid1(VALU_DEP_1)
	v_lshl_or_b32 v8, s15, 4, v8
	s_waitcnt lgkmcnt(0)
	v_cmp_gt_i32_e32 vcc_lo, s0, v8
	s_and_b32 exec_lo, exec_lo, vcc_lo
	s_cbranch_execz .LBB117_25
; %bb.8:
	s_load_b256 s[4:11], s[2:3], 0x18
	v_ashrrev_i32_e32 v9, 31, v8
	v_and_b32_e32 v33, 7, v10
	s_cmp_lg_u32 s1, 0
	s_delay_alu instid0(VALU_DEP_2) | instskip(SKIP_1) | instid1(VALU_DEP_1)
	v_lshlrev_b64 v[11:12], 2, v[8:9]
	s_waitcnt lgkmcnt(0)
	v_add_co_u32 v11, vcc_lo, s4, v11
	s_delay_alu instid0(VALU_DEP_2) | instskip(SKIP_4) | instid1(VALU_DEP_2)
	v_add_co_ci_u32_e32 v12, vcc_lo, s5, v12, vcc_lo
	global_load_b64 v[11:12], v[11:12], off
	s_waitcnt vmcnt(0)
	v_subrev_nc_u32_e32 v9, s12, v11
	v_subrev_nc_u32_e32 v28, s12, v12
	v_add_nc_u32_e32 v19, v9, v33
	s_delay_alu instid0(VALU_DEP_1)
	v_cmp_lt_i32_e64 s0, v19, v28
	s_cbranch_scc0 .LBB117_14
; %bb.9:
	v_mov_b32_e32 v9, 0
	v_mov_b32_e32 v10, 0
	s_delay_alu instid0(VALU_DEP_1)
	v_dual_mov_b32 v12, v10 :: v_dual_mov_b32 v11, v9
	v_dual_mov_b32 v14, v10 :: v_dual_mov_b32 v13, v9
	;; [unrolled: 1-line block ×5, first 2 shown]
	s_and_saveexec_b32 s1, s0
	s_cbranch_execz .LBB117_13
; %bb.10:
	v_dual_mov_b32 v9, 0 :: v_dual_mov_b32 v26, v19
	v_dual_mov_b32 v10, 0 :: v_dual_mov_b32 v25, 0
	v_mad_u64_u32 v[23:24], null, v19, 6, 5
	s_mov_b32 s4, 0
	s_delay_alu instid0(VALU_DEP_2)
	v_dual_mov_b32 v12, v10 :: v_dual_mov_b32 v11, v9
	v_dual_mov_b32 v14, v10 :: v_dual_mov_b32 v13, v9
	;; [unrolled: 1-line block ×5, first 2 shown]
.LBB117_11:                             ; =>This Inner Loop Header: Depth=1
	v_ashrrev_i32_e32 v27, 31, v26
	v_dual_mov_b32 v43, v25 :: v_dual_add_nc_u32 v24, -5, v23
	s_delay_alu instid0(VALU_DEP_2) | instskip(SKIP_1) | instid1(VALU_DEP_2)
	v_lshlrev_b64 v[29:30], 2, v[26:27]
	v_add_nc_u32_e32 v26, 8, v26
	v_add_co_u32 v29, vcc_lo, s6, v29
	s_delay_alu instid0(VALU_DEP_3) | instskip(SKIP_3) | instid1(VALU_DEP_1)
	v_add_co_ci_u32_e32 v30, vcc_lo, s7, v30, vcc_lo
	global_load_b32 v20, v[29:30], off
	v_lshlrev_b64 v[29:30], 4, v[24:25]
	v_add_nc_u32_e32 v24, -3, v23
	v_lshlrev_b64 v[31:32], 4, v[24:25]
	s_delay_alu instid0(VALU_DEP_3) | instskip(NEXT) | instid1(VALU_DEP_4)
	v_add_co_u32 v34, vcc_lo, s8, v29
	v_add_co_ci_u32_e32 v35, vcc_lo, s9, v30, vcc_lo
	v_mov_b32_e32 v24, v25
	s_delay_alu instid0(VALU_DEP_4)
	v_add_co_u32 v38, vcc_lo, s8, v31
	v_add_co_ci_u32_e32 v39, vcc_lo, s9, v32, vcc_lo
	s_clause 0x2
	global_load_b128 v[29:32], v[34:35], off offset:16
	global_load_b128 v[34:37], v[34:35], off
	global_load_b128 v[38:41], v[38:39], off
	v_lshlrev_b64 v[50:51], 4, v[23:24]
	v_add_nc_u32_e32 v24, -2, v23
	s_waitcnt vmcnt(3)
	v_subrev_nc_u32_e32 v20, s12, v20
	s_delay_alu instid0(VALU_DEP_1) | instskip(NEXT) | instid1(VALU_DEP_1)
	v_lshlrev_b32_e32 v42, 1, v20
	v_lshlrev_b64 v[42:43], 4, v[42:43]
	s_delay_alu instid0(VALU_DEP_1) | instskip(NEXT) | instid1(VALU_DEP_2)
	v_add_co_u32 v46, vcc_lo, s10, v42
	v_add_co_ci_u32_e32 v47, vcc_lo, s11, v43, vcc_lo
	v_add_co_u32 v58, vcc_lo, s8, v50
	v_add_co_ci_u32_e32 v59, vcc_lo, s9, v51, vcc_lo
	s_clause 0x1
	global_load_b128 v[42:45], v[46:47], off
	global_load_b128 v[46:49], v[46:47], off offset:16
	v_lshlrev_b64 v[50:51], 4, v[24:25]
	v_add_nc_u32_e32 v24, -1, v23
	v_add_nc_u32_e32 v23, 48, v23
	s_delay_alu instid0(VALU_DEP_2) | instskip(NEXT) | instid1(VALU_DEP_4)
	v_lshlrev_b64 v[52:53], 4, v[24:25]
	v_add_co_u32 v50, vcc_lo, s8, v50
	v_add_co_ci_u32_e32 v51, vcc_lo, s9, v51, vcc_lo
	s_delay_alu instid0(VALU_DEP_3) | instskip(NEXT) | instid1(VALU_DEP_4)
	v_add_co_u32 v54, vcc_lo, s8, v52
	v_add_co_ci_u32_e32 v55, vcc_lo, s9, v53, vcc_lo
	s_clause 0x2
	global_load_b128 v[50:53], v[50:51], off
	global_load_b128 v[54:57], v[54:55], off
	global_load_b128 v[58:61], v[58:59], off
	v_cmp_ge_i32_e32 vcc_lo, v26, v28
	s_or_b32 s4, vcc_lo, s4
	s_waitcnt vmcnt(4)
	v_fma_f64 v[11:12], v[34:35], v[42:43], v[11:12]
	v_fma_f64 v[9:10], v[36:37], v[42:43], v[9:10]
	;; [unrolled: 1-line block ×6, first 2 shown]
	v_fma_f64 v[11:12], -v[36:37], v[44:45], v[11:12]
	v_fma_f64 v[9:10], v[34:35], v[44:45], v[9:10]
	v_fma_f64 v[17:18], -v[31:32], v[44:45], v[17:18]
	v_fma_f64 v[20:21], v[29:30], v[44:45], v[20:21]
	v_fma_f64 v[13:14], -v[40:41], v[44:45], v[13:14]
	v_fma_f64 v[15:16], v[38:39], v[44:45], v[15:16]
	s_waitcnt vmcnt(2)
	v_fma_f64 v[11:12], v[50:51], v[46:47], v[11:12]
	v_fma_f64 v[9:10], v[52:53], v[46:47], v[9:10]
	s_waitcnt vmcnt(1)
	v_fma_f64 v[17:18], v[54:55], v[46:47], v[17:18]
	v_fma_f64 v[20:21], v[56:57], v[46:47], v[20:21]
	;; [unrolled: 3-line block ×3, first 2 shown]
	v_fma_f64 v[11:12], -v[52:53], v[48:49], v[11:12]
	v_fma_f64 v[9:10], v[50:51], v[48:49], v[9:10]
	v_fma_f64 v[17:18], -v[56:57], v[48:49], v[17:18]
	v_fma_f64 v[21:22], v[54:55], v[48:49], v[20:21]
	;; [unrolled: 2-line block ×3, first 2 shown]
	s_and_not1_b32 exec_lo, exec_lo, s4
	s_cbranch_execnz .LBB117_11
; %bb.12:
	s_or_b32 exec_lo, exec_lo, s4
.LBB117_13:
	s_delay_alu instid0(SALU_CYCLE_1)
	s_or_b32 exec_lo, exec_lo, s1
	s_cbranch_execz .LBB117_15
	s_branch .LBB117_20
.LBB117_14:
                                        ; implicit-def: $vgpr9_vgpr10
                                        ; implicit-def: $vgpr11_vgpr12
                                        ; implicit-def: $vgpr13_vgpr14
                                        ; implicit-def: $vgpr15_vgpr16
                                        ; implicit-def: $vgpr17_vgpr18
                                        ; implicit-def: $vgpr21_vgpr22
.LBB117_15:
	v_mov_b32_e32 v9, 0
	v_mov_b32_e32 v10, 0
	s_delay_alu instid0(VALU_DEP_1)
	v_dual_mov_b32 v12, v10 :: v_dual_mov_b32 v11, v9
	v_dual_mov_b32 v14, v10 :: v_dual_mov_b32 v13, v9
	;; [unrolled: 1-line block ×5, first 2 shown]
	s_and_saveexec_b32 s1, s0
	s_cbranch_execz .LBB117_19
; %bb.16:
	v_dual_mov_b32 v9, 0 :: v_dual_mov_b32 v26, 0
	v_mov_b32_e32 v10, 0
	v_mad_u64_u32 v[23:24], null, v19, 6, 5
	s_mov_b32 s0, 0
	s_delay_alu instid0(VALU_DEP_2)
	v_dual_mov_b32 v12, v10 :: v_dual_mov_b32 v11, v9
	v_dual_mov_b32 v14, v10 :: v_dual_mov_b32 v13, v9
	;; [unrolled: 1-line block ×5, first 2 shown]
.LBB117_17:                             ; =>This Inner Loop Header: Depth=1
	v_ashrrev_i32_e32 v20, 31, v19
	v_dual_mov_b32 v32, v26 :: v_dual_add_nc_u32 v29, -3, v23
	v_dual_mov_b32 v30, v26 :: v_dual_add_nc_u32 v31, -1, v23
	s_delay_alu instid0(VALU_DEP_3) | instskip(SKIP_1) | instid1(VALU_DEP_3)
	v_lshlrev_b64 v[24:25], 2, v[19:20]
	v_add_nc_u32_e32 v19, 8, v19
	v_lshlrev_b64 v[31:32], 4, v[31:32]
	s_delay_alu instid0(VALU_DEP_4) | instskip(NEXT) | instid1(VALU_DEP_4)
	v_lshlrev_b64 v[29:30], 4, v[29:30]
	v_add_co_u32 v24, vcc_lo, s6, v24
	v_add_co_ci_u32_e32 v25, vcc_lo, s7, v25, vcc_lo
	global_load_b32 v20, v[24:25], off
	v_add_nc_u32_e32 v25, -5, v23
	s_delay_alu instid0(VALU_DEP_1) | instskip(NEXT) | instid1(VALU_DEP_1)
	v_lshlrev_b64 v[24:25], 4, v[25:26]
	v_add_co_u32 v24, vcc_lo, s8, v24
	s_delay_alu instid0(VALU_DEP_2)
	v_add_co_ci_u32_e32 v25, vcc_lo, s9, v25, vcc_lo
	v_add_co_u32 v38, vcc_lo, s8, v29
	v_add_co_ci_u32_e32 v39, vcc_lo, s9, v30, vcc_lo
	v_add_co_u32 v42, vcc_lo, s8, v31
	v_add_co_ci_u32_e32 v43, vcc_lo, s9, v32, vcc_lo
	s_clause 0x3
	global_load_b128 v[29:32], v[24:25], off offset:16
	global_load_b128 v[34:37], v[24:25], off
	global_load_b128 v[38:41], v[38:39], off
	global_load_b128 v[42:45], v[42:43], off
	s_waitcnt vmcnt(4)
	v_subrev_nc_u32_e32 v20, s12, v20
	s_delay_alu instid0(VALU_DEP_1) | instskip(NEXT) | instid1(VALU_DEP_1)
	v_dual_mov_b32 v47, v26 :: v_dual_lshlrev_b32 v46, 1, v20
	v_lshlrev_b64 v[24:25], 4, v[46:47]
	s_delay_alu instid0(VALU_DEP_1) | instskip(NEXT) | instid1(VALU_DEP_2)
	v_add_co_u32 v24, vcc_lo, s10, v24
	v_add_co_ci_u32_e32 v25, vcc_lo, s11, v25, vcc_lo
	s_clause 0x1
	global_load_b128 v[46:49], v[24:25], off
	global_load_b128 v[50:53], v[24:25], off offset:16
	v_dual_mov_b32 v24, v26 :: v_dual_add_nc_u32 v25, -2, v23
	s_delay_alu instid0(VALU_DEP_1) | instskip(NEXT) | instid1(VALU_DEP_2)
	v_lshlrev_b64 v[54:55], 4, v[23:24]
	v_lshlrev_b64 v[24:25], 4, v[25:26]
	v_add_nc_u32_e32 v23, 48, v23
	s_delay_alu instid0(VALU_DEP_3) | instskip(NEXT) | instid1(VALU_DEP_4)
	v_add_co_u32 v58, vcc_lo, s8, v54
	v_add_co_ci_u32_e32 v59, vcc_lo, s9, v55, vcc_lo
	s_delay_alu instid0(VALU_DEP_4)
	v_add_co_u32 v24, vcc_lo, s8, v24
	v_add_co_ci_u32_e32 v25, vcc_lo, s9, v25, vcc_lo
	v_cmp_ge_i32_e32 vcc_lo, v19, v28
	s_clause 0x1
	global_load_b128 v[54:57], v[24:25], off
	global_load_b128 v[58:61], v[58:59], off
	s_or_b32 s0, vcc_lo, s0
	s_waitcnt vmcnt(3)
	v_fma_f64 v[11:12], v[34:35], v[46:47], v[11:12]
	v_fma_f64 v[9:10], v[36:37], v[46:47], v[9:10]
	;; [unrolled: 1-line block ×6, first 2 shown]
	v_fma_f64 v[11:12], -v[36:37], v[48:49], v[11:12]
	v_fma_f64 v[9:10], v[34:35], v[48:49], v[9:10]
	v_fma_f64 v[17:18], -v[40:41], v[48:49], v[17:18]
	v_fma_f64 v[20:21], v[38:39], v[48:49], v[20:21]
	;; [unrolled: 2-line block ×3, first 2 shown]
	s_waitcnt vmcnt(2)
	v_fma_f64 v[11:12], v[29:30], v[50:51], v[11:12]
	v_fma_f64 v[9:10], v[31:32], v[50:51], v[9:10]
	s_waitcnt vmcnt(1)
	v_fma_f64 v[17:18], v[54:55], v[50:51], v[17:18]
	v_fma_f64 v[20:21], v[56:57], v[50:51], v[20:21]
	;; [unrolled: 3-line block ×3, first 2 shown]
	v_fma_f64 v[11:12], -v[31:32], v[52:53], v[11:12]
	v_fma_f64 v[9:10], v[29:30], v[52:53], v[9:10]
	v_fma_f64 v[17:18], -v[56:57], v[52:53], v[17:18]
	v_fma_f64 v[21:22], v[54:55], v[52:53], v[20:21]
	;; [unrolled: 2-line block ×3, first 2 shown]
	s_and_not1_b32 exec_lo, exec_lo, s0
	s_cbranch_execnz .LBB117_17
; %bb.18:
	s_or_b32 exec_lo, exec_lo, s0
.LBB117_19:
	s_delay_alu instid0(SALU_CYCLE_1)
	s_or_b32 exec_lo, exec_lo, s1
.LBB117_20:
	v_mbcnt_lo_u32_b32 v34, -1, 0
	s_delay_alu instid0(VALU_DEP_1) | instskip(NEXT) | instid1(VALU_DEP_1)
	v_xor_b32_e32 v19, 4, v34
	v_cmp_gt_i32_e32 vcc_lo, 32, v19
	v_cndmask_b32_e32 v19, v34, v19, vcc_lo
	s_delay_alu instid0(VALU_DEP_1)
	v_lshlrev_b32_e32 v32, 2, v19
	ds_bpermute_b32 v19, v32, v11
	ds_bpermute_b32 v20, v32, v12
	;; [unrolled: 1-line block ×4, first 2 shown]
	s_waitcnt lgkmcnt(2)
	v_add_f64 v[11:12], v[11:12], v[19:20]
	s_waitcnt lgkmcnt(0)
	v_add_f64 v[19:20], v[9:10], v[23:24]
	v_xor_b32_e32 v9, 2, v34
	s_delay_alu instid0(VALU_DEP_1)
	v_cmp_gt_i32_e32 vcc_lo, 32, v9
	v_cndmask_b32_e32 v9, v34, v9, vcc_lo
	ds_bpermute_b32 v25, v32, v17
	ds_bpermute_b32 v26, v32, v18
	;; [unrolled: 1-line block ×8, first 2 shown]
	s_waitcnt lgkmcnt(6)
	v_add_f64 v[17:18], v[17:18], v[25:26]
	s_waitcnt lgkmcnt(4)
	v_add_f64 v[21:22], v[21:22], v[27:28]
	;; [unrolled: 2-line block ×4, first 2 shown]
	v_lshlrev_b32_e32 v32, 2, v9
	ds_bpermute_b32 v9, v32, v11
	ds_bpermute_b32 v10, v32, v12
	;; [unrolled: 1-line block ×4, first 2 shown]
	s_waitcnt lgkmcnt(2)
	v_add_f64 v[9:10], v[11:12], v[9:10]
	s_waitcnt lgkmcnt(0)
	v_add_f64 v[19:20], v[19:20], v[23:24]
	ds_bpermute_b32 v25, v32, v17
	ds_bpermute_b32 v26, v32, v18
	ds_bpermute_b32 v27, v32, v21
	ds_bpermute_b32 v28, v32, v22
	ds_bpermute_b32 v29, v32, v13
	ds_bpermute_b32 v30, v32, v14
	ds_bpermute_b32 v31, v32, v15
	ds_bpermute_b32 v32, v32, v16
	s_waitcnt lgkmcnt(6)
	v_add_f64 v[11:12], v[17:18], v[25:26]
	s_waitcnt lgkmcnt(4)
	v_add_f64 v[17:18], v[21:22], v[27:28]
	v_xor_b32_e32 v21, 1, v34
	s_waitcnt lgkmcnt(2)
	v_add_f64 v[13:14], v[13:14], v[29:30]
	s_waitcnt lgkmcnt(0)
	v_add_f64 v[15:16], v[15:16], v[31:32]
	v_cmp_gt_i32_e32 vcc_lo, 32, v21
	v_cndmask_b32_e32 v21, v34, v21, vcc_lo
	v_cmp_eq_u32_e32 vcc_lo, 7, v33
	s_delay_alu instid0(VALU_DEP_2)
	v_lshlrev_b32_e32 v24, 2, v21
	ds_bpermute_b32 v31, v24, v9
	ds_bpermute_b32 v32, v24, v10
	;; [unrolled: 1-line block ×12, first 2 shown]
	s_and_b32 exec_lo, exec_lo, vcc_lo
	s_cbranch_execz .LBB117_25
; %bb.21:
	v_cmp_eq_f64_e32 vcc_lo, 0, v[4:5]
	v_cmp_eq_f64_e64 s0, 0, v[6:7]
	s_waitcnt lgkmcnt(10)
	v_add_f64 v[9:10], v[9:10], v[31:32]
	s_waitcnt lgkmcnt(8)
	v_add_f64 v[19:20], v[19:20], v[29:30]
	;; [unrolled: 2-line block ×6, first 2 shown]
	s_load_b64 s[2:3], s[2:3], 0x48
	s_and_b32 s0, vcc_lo, s0
	s_delay_alu instid0(SALU_CYCLE_1) | instskip(NEXT) | instid1(SALU_CYCLE_1)
	s_and_saveexec_b32 s1, s0
	s_xor_b32 s0, exec_lo, s1
	s_cbranch_execz .LBB117_23
; %bb.22:
	v_mul_f64 v[4:5], v[19:20], -v[2:3]
	v_mul_f64 v[6:7], v[0:1], v[19:20]
	v_mul_f64 v[19:20], v[17:18], -v[2:3]
	v_mul_f64 v[17:18], v[0:1], v[17:18]
	;; [unrolled: 2-line block ×3, first 2 shown]
	v_fma_f64 v[4:5], v[0:1], v[9:10], v[4:5]
	v_fma_f64 v[6:7], v[2:3], v[9:10], v[6:7]
	;; [unrolled: 1-line block ×6, first 2 shown]
	v_lshl_add_u32 v13, v8, 1, v8
                                        ; implicit-def: $vgpr8
                                        ; implicit-def: $vgpr19_vgpr20
                                        ; implicit-def: $vgpr17_vgpr18
                                        ; implicit-def: $vgpr15_vgpr16
	s_delay_alu instid0(VALU_DEP_1) | instskip(NEXT) | instid1(VALU_DEP_1)
	v_ashrrev_i32_e32 v14, 31, v13
	v_lshlrev_b64 v[13:14], 4, v[13:14]
	s_waitcnt lgkmcnt(0)
	s_delay_alu instid0(VALU_DEP_1) | instskip(NEXT) | instid1(VALU_DEP_2)
	v_add_co_u32 v13, vcc_lo, s2, v13
	v_add_co_ci_u32_e32 v14, vcc_lo, s3, v14, vcc_lo
	s_clause 0x2
	global_store_b128 v[13:14], v[4:7], off
	global_store_b128 v[13:14], v[9:12], off offset:16
	global_store_b128 v[13:14], v[0:3], off offset:32
                                        ; implicit-def: $vgpr0_vgpr1
                                        ; implicit-def: $vgpr2_vgpr3
                                        ; implicit-def: $vgpr4_vgpr5
                                        ; implicit-def: $vgpr6_vgpr7
                                        ; implicit-def: $vgpr9_vgpr10
                                        ; implicit-def: $vgpr11_vgpr12
                                        ; implicit-def: $vgpr13_vgpr14
.LBB117_23:
	s_and_not1_saveexec_b32 s0, s0
	s_cbranch_execz .LBB117_25
; %bb.24:
	v_lshl_add_u32 v21, v8, 1, v8
	v_mul_f64 v[35:36], v[19:20], -v[2:3]
	v_mul_f64 v[19:20], v[0:1], v[19:20]
	v_mul_f64 v[37:38], v[17:18], -v[2:3]
	v_mul_f64 v[17:18], v[0:1], v[17:18]
	v_ashrrev_i32_e32 v22, 31, v21
	v_mul_f64 v[39:40], v[15:16], -v[2:3]
	v_mul_f64 v[15:16], v[0:1], v[15:16]
	s_delay_alu instid0(VALU_DEP_3) | instskip(SKIP_1) | instid1(VALU_DEP_1)
	v_lshlrev_b64 v[21:22], 4, v[21:22]
	s_waitcnt lgkmcnt(0)
	v_add_co_u32 v33, vcc_lo, s2, v21
	s_delay_alu instid0(VALU_DEP_2)
	v_add_co_ci_u32_e32 v34, vcc_lo, s3, v22, vcc_lo
	s_clause 0x2
	global_load_b128 v[21:24], v[33:34], off
	global_load_b128 v[25:28], v[33:34], off offset:16
	global_load_b128 v[29:32], v[33:34], off offset:32
	v_fma_f64 v[35:36], v[0:1], v[9:10], v[35:36]
	v_fma_f64 v[8:9], v[2:3], v[9:10], v[19:20]
	;; [unrolled: 1-line block ×6, first 2 shown]
	s_waitcnt vmcnt(2)
	v_fma_f64 v[12:13], v[4:5], v[21:22], v[35:36]
	v_fma_f64 v[8:9], v[6:7], v[21:22], v[8:9]
	s_waitcnt vmcnt(1)
	v_fma_f64 v[14:15], v[4:5], v[25:26], v[19:20]
	v_fma_f64 v[10:11], v[6:7], v[25:26], v[10:11]
	;; [unrolled: 3-line block ×3, first 2 shown]
	v_fma_f64 v[0:1], -v[6:7], v[23:24], v[12:13]
	v_fma_f64 v[2:3], v[4:5], v[23:24], v[8:9]
	v_fma_f64 v[8:9], -v[6:7], v[27:28], v[14:15]
	v_fma_f64 v[10:11], v[4:5], v[27:28], v[10:11]
	;; [unrolled: 2-line block ×3, first 2 shown]
	s_clause 0x2
	global_store_b128 v[33:34], v[0:3], off
	global_store_b128 v[33:34], v[8:11], off offset:16
	global_store_b128 v[33:34], v[12:15], off offset:32
.LBB117_25:
	s_nop 0
	s_sendmsg sendmsg(MSG_DEALLOC_VGPRS)
	s_endpgm
	.section	.rodata,"a",@progbits
	.p2align	6, 0x0
	.amdhsa_kernel _ZN9rocsparseL19gebsrmvn_3xn_kernelILj128ELj2ELj8E21rocsparse_complex_numIdEEEvi20rocsparse_direction_NS_24const_host_device_scalarIT2_EEPKiS8_PKS5_SA_S6_PS5_21rocsparse_index_base_b
		.amdhsa_group_segment_fixed_size 2048
		.amdhsa_private_segment_fixed_size 0
		.amdhsa_kernarg_size 88
		.amdhsa_user_sgpr_count 15
		.amdhsa_user_sgpr_dispatch_ptr 1
		.amdhsa_user_sgpr_queue_ptr 0
		.amdhsa_user_sgpr_kernarg_segment_ptr 1
		.amdhsa_user_sgpr_dispatch_id 0
		.amdhsa_user_sgpr_private_segment_size 0
		.amdhsa_wavefront_size32 1
		.amdhsa_uses_dynamic_stack 0
		.amdhsa_enable_private_segment 0
		.amdhsa_system_sgpr_workgroup_id_x 1
		.amdhsa_system_sgpr_workgroup_id_y 0
		.amdhsa_system_sgpr_workgroup_id_z 0
		.amdhsa_system_sgpr_workgroup_info 0
		.amdhsa_system_vgpr_workitem_id 2
		.amdhsa_next_free_vgpr 62
		.amdhsa_next_free_sgpr 18
		.amdhsa_reserve_vcc 1
		.amdhsa_float_round_mode_32 0
		.amdhsa_float_round_mode_16_64 0
		.amdhsa_float_denorm_mode_32 3
		.amdhsa_float_denorm_mode_16_64 3
		.amdhsa_dx10_clamp 1
		.amdhsa_ieee_mode 1
		.amdhsa_fp16_overflow 0
		.amdhsa_workgroup_processor_mode 1
		.amdhsa_memory_ordered 1
		.amdhsa_forward_progress 0
		.amdhsa_shared_vgpr_count 0
		.amdhsa_exception_fp_ieee_invalid_op 0
		.amdhsa_exception_fp_denorm_src 0
		.amdhsa_exception_fp_ieee_div_zero 0
		.amdhsa_exception_fp_ieee_overflow 0
		.amdhsa_exception_fp_ieee_underflow 0
		.amdhsa_exception_fp_ieee_inexact 0
		.amdhsa_exception_int_div_zero 0
	.end_amdhsa_kernel
	.section	.text._ZN9rocsparseL19gebsrmvn_3xn_kernelILj128ELj2ELj8E21rocsparse_complex_numIdEEEvi20rocsparse_direction_NS_24const_host_device_scalarIT2_EEPKiS8_PKS5_SA_S6_PS5_21rocsparse_index_base_b,"axG",@progbits,_ZN9rocsparseL19gebsrmvn_3xn_kernelILj128ELj2ELj8E21rocsparse_complex_numIdEEEvi20rocsparse_direction_NS_24const_host_device_scalarIT2_EEPKiS8_PKS5_SA_S6_PS5_21rocsparse_index_base_b,comdat
.Lfunc_end117:
	.size	_ZN9rocsparseL19gebsrmvn_3xn_kernelILj128ELj2ELj8E21rocsparse_complex_numIdEEEvi20rocsparse_direction_NS_24const_host_device_scalarIT2_EEPKiS8_PKS5_SA_S6_PS5_21rocsparse_index_base_b, .Lfunc_end117-_ZN9rocsparseL19gebsrmvn_3xn_kernelILj128ELj2ELj8E21rocsparse_complex_numIdEEEvi20rocsparse_direction_NS_24const_host_device_scalarIT2_EEPKiS8_PKS5_SA_S6_PS5_21rocsparse_index_base_b
                                        ; -- End function
	.section	.AMDGPU.csdata,"",@progbits
; Kernel info:
; codeLenInByte = 2948
; NumSgprs: 20
; NumVgprs: 62
; ScratchSize: 0
; MemoryBound: 0
; FloatMode: 240
; IeeeMode: 1
; LDSByteSize: 2048 bytes/workgroup (compile time only)
; SGPRBlocks: 2
; VGPRBlocks: 7
; NumSGPRsForWavesPerEU: 20
; NumVGPRsForWavesPerEU: 62
; Occupancy: 16
; WaveLimiterHint : 1
; COMPUTE_PGM_RSRC2:SCRATCH_EN: 0
; COMPUTE_PGM_RSRC2:USER_SGPR: 15
; COMPUTE_PGM_RSRC2:TRAP_HANDLER: 0
; COMPUTE_PGM_RSRC2:TGID_X_EN: 1
; COMPUTE_PGM_RSRC2:TGID_Y_EN: 0
; COMPUTE_PGM_RSRC2:TGID_Z_EN: 0
; COMPUTE_PGM_RSRC2:TIDIG_COMP_CNT: 2
	.section	.text._ZN9rocsparseL19gebsrmvn_3xn_kernelILj128ELj2ELj16E21rocsparse_complex_numIdEEEvi20rocsparse_direction_NS_24const_host_device_scalarIT2_EEPKiS8_PKS5_SA_S6_PS5_21rocsparse_index_base_b,"axG",@progbits,_ZN9rocsparseL19gebsrmvn_3xn_kernelILj128ELj2ELj16E21rocsparse_complex_numIdEEEvi20rocsparse_direction_NS_24const_host_device_scalarIT2_EEPKiS8_PKS5_SA_S6_PS5_21rocsparse_index_base_b,comdat
	.globl	_ZN9rocsparseL19gebsrmvn_3xn_kernelILj128ELj2ELj16E21rocsparse_complex_numIdEEEvi20rocsparse_direction_NS_24const_host_device_scalarIT2_EEPKiS8_PKS5_SA_S6_PS5_21rocsparse_index_base_b ; -- Begin function _ZN9rocsparseL19gebsrmvn_3xn_kernelILj128ELj2ELj16E21rocsparse_complex_numIdEEEvi20rocsparse_direction_NS_24const_host_device_scalarIT2_EEPKiS8_PKS5_SA_S6_PS5_21rocsparse_index_base_b
	.p2align	8
	.type	_ZN9rocsparseL19gebsrmvn_3xn_kernelILj128ELj2ELj16E21rocsparse_complex_numIdEEEvi20rocsparse_direction_NS_24const_host_device_scalarIT2_EEPKiS8_PKS5_SA_S6_PS5_21rocsparse_index_base_b,@function
_ZN9rocsparseL19gebsrmvn_3xn_kernelILj128ELj2ELj16E21rocsparse_complex_numIdEEEvi20rocsparse_direction_NS_24const_host_device_scalarIT2_EEPKiS8_PKS5_SA_S6_PS5_21rocsparse_index_base_b: ; @_ZN9rocsparseL19gebsrmvn_3xn_kernelILj128ELj2ELj16E21rocsparse_complex_numIdEEEvi20rocsparse_direction_NS_24const_host_device_scalarIT2_EEPKiS8_PKS5_SA_S6_PS5_21rocsparse_index_base_b
; %bb.0:
	s_load_b64 s[12:13], s[2:3], 0x50
	s_load_b64 s[16:17], s[0:1], 0x4
	s_load_b128 s[8:11], s[2:3], 0x8
	v_bfe_u32 v1, v0, 10, 10
	s_mov_b64 s[0:1], src_shared_base
	s_load_b128 s[4:7], s[2:3], 0x38
	v_and_b32_e32 v10, 0x3ff, v0
	v_bfe_u32 v0, v0, 20, 10
	s_waitcnt lgkmcnt(0)
	s_bitcmp1_b32 s13, 0
	v_mul_u32_u24_e32 v1, s17, v1
	s_cselect_b32 s0, -1, 0
	s_delay_alu instid0(SALU_CYCLE_1)
	s_and_b32 vcc_lo, s0, exec_lo
	s_cselect_b32 s13, s1, s9
	s_lshr_b32 s14, s16, 16
	v_dual_mov_b32 v2, s4 :: v_dual_mov_b32 v3, s5
	s_mul_i32 s14, s14, s17
	v_mov_b32_e32 v6, s13
	v_mad_u32_u24 v1, s14, v10, v1
	s_delay_alu instid0(VALU_DEP_1) | instskip(SKIP_1) | instid1(VALU_DEP_2)
	v_add_lshl_u32 v4, v1, v0, 3
	v_dual_mov_b32 v0, s8 :: v_dual_mov_b32 v1, s9
	v_add_nc_u32_e32 v5, 0x400, v4
	ds_store_2addr_stride64_b64 v4, v[2:3], v[0:1] offset1:2
	v_dual_mov_b32 v2, s10 :: v_dual_mov_b32 v3, s11
	v_cndmask_b32_e64 v5, s8, v5, s0
	s_xor_b32 s10, s0, -1
	flat_load_b64 v[0:1], v[5:6]
	s_cbranch_vccnz .LBB118_2
; %bb.1:
	v_dual_mov_b32 v2, s8 :: v_dual_mov_b32 v3, s9
	flat_load_b64 v[2:3], v[2:3] offset:8
.LBB118_2:
	s_and_b32 s8, s0, exec_lo
	s_cselect_b32 s1, s1, s5
	v_cndmask_b32_e64 v4, s4, v4, s0
	v_dual_mov_b32 v5, s1 :: v_dual_mov_b32 v6, s6
	v_mov_b32_e32 v7, s7
	s_and_not1_b32 vcc_lo, exec_lo, s10
	flat_load_b64 v[4:5], v[4:5]
	s_cbranch_vccnz .LBB118_4
; %bb.3:
	v_dual_mov_b32 v7, s5 :: v_dual_mov_b32 v6, s4
	flat_load_b64 v[6:7], v[6:7] offset:8
.LBB118_4:
	s_waitcnt vmcnt(1) lgkmcnt(1)
	v_cmp_eq_f64_e32 vcc_lo, 0, v[0:1]
	v_cmp_eq_f64_e64 s0, 0, v[2:3]
	s_delay_alu instid0(VALU_DEP_1)
	s_and_b32 s4, vcc_lo, s0
	s_mov_b32 s0, -1
	s_and_saveexec_b32 s1, s4
	s_cbranch_execz .LBB118_6
; %bb.5:
	s_waitcnt vmcnt(0) lgkmcnt(0)
	v_cmp_neq_f64_e32 vcc_lo, 1.0, v[4:5]
	v_cmp_neq_f64_e64 s0, 0, v[6:7]
	s_delay_alu instid0(VALU_DEP_1) | instskip(NEXT) | instid1(SALU_CYCLE_1)
	s_or_b32 s0, vcc_lo, s0
	s_or_not1_b32 s0, s0, exec_lo
.LBB118_6:
	s_or_b32 exec_lo, exec_lo, s1
	s_and_saveexec_b32 s1, s0
	s_cbranch_execz .LBB118_25
; %bb.7:
	s_load_b64 s[0:1], s[2:3], 0x0
	v_lshrrev_b32_e32 v8, 4, v10
	s_delay_alu instid0(VALU_DEP_1) | instskip(SKIP_1) | instid1(VALU_DEP_1)
	v_lshl_or_b32 v8, s15, 3, v8
	s_waitcnt lgkmcnt(0)
	v_cmp_gt_i32_e32 vcc_lo, s0, v8
	s_and_b32 exec_lo, exec_lo, vcc_lo
	s_cbranch_execz .LBB118_25
; %bb.8:
	s_load_b256 s[4:11], s[2:3], 0x18
	v_ashrrev_i32_e32 v9, 31, v8
	v_and_b32_e32 v33, 15, v10
	s_cmp_lg_u32 s1, 0
	s_delay_alu instid0(VALU_DEP_2) | instskip(SKIP_1) | instid1(VALU_DEP_1)
	v_lshlrev_b64 v[11:12], 2, v[8:9]
	s_waitcnt lgkmcnt(0)
	v_add_co_u32 v11, vcc_lo, s4, v11
	s_delay_alu instid0(VALU_DEP_2) | instskip(SKIP_4) | instid1(VALU_DEP_2)
	v_add_co_ci_u32_e32 v12, vcc_lo, s5, v12, vcc_lo
	global_load_b64 v[11:12], v[11:12], off
	s_waitcnt vmcnt(0)
	v_subrev_nc_u32_e32 v9, s12, v11
	v_subrev_nc_u32_e32 v27, s12, v12
	v_add_nc_u32_e32 v21, v9, v33
	s_delay_alu instid0(VALU_DEP_1)
	v_cmp_lt_i32_e64 s0, v21, v27
	s_cbranch_scc0 .LBB118_14
; %bb.9:
	v_mov_b32_e32 v9, 0
	v_mov_b32_e32 v10, 0
	s_delay_alu instid0(VALU_DEP_1)
	v_dual_mov_b32 v12, v10 :: v_dual_mov_b32 v11, v9
	v_dual_mov_b32 v14, v10 :: v_dual_mov_b32 v13, v9
	;; [unrolled: 1-line block ×5, first 2 shown]
	s_and_saveexec_b32 s1, s0
	s_cbranch_execz .LBB118_13
; %bb.10:
	v_dual_mov_b32 v9, 0 :: v_dual_mov_b32 v24, 0
	v_dual_mov_b32 v10, 0 :: v_dual_mov_b32 v25, v21
	v_mad_u64_u32 v[22:23], null, v21, 6, 5
	s_mov_b32 s4, 0
	s_delay_alu instid0(VALU_DEP_2)
	v_dual_mov_b32 v12, v10 :: v_dual_mov_b32 v11, v9
	v_dual_mov_b32 v14, v10 :: v_dual_mov_b32 v13, v9
	v_dual_mov_b32 v16, v10 :: v_dual_mov_b32 v15, v9
	v_dual_mov_b32 v18, v10 :: v_dual_mov_b32 v17, v9
	v_dual_mov_b32 v20, v10 :: v_dual_mov_b32 v19, v9
.LBB118_11:                             ; =>This Inner Loop Header: Depth=1
	v_ashrrev_i32_e32 v26, 31, v25
	v_add_nc_u32_e32 v23, -5, v22
	s_delay_alu instid0(VALU_DEP_2) | instskip(SKIP_1) | instid1(VALU_DEP_2)
	v_lshlrev_b64 v[28:29], 2, v[25:26]
	v_add_nc_u32_e32 v25, 16, v25
	v_add_co_u32 v28, vcc_lo, s6, v28
	s_delay_alu instid0(VALU_DEP_3) | instskip(SKIP_3) | instid1(VALU_DEP_1)
	v_add_co_ci_u32_e32 v29, vcc_lo, s7, v29, vcc_lo
	global_load_b32 v26, v[28:29], off
	v_lshlrev_b64 v[28:29], 4, v[23:24]
	v_add_nc_u32_e32 v23, -3, v22
	v_lshlrev_b64 v[30:31], 4, v[23:24]
	s_delay_alu instid0(VALU_DEP_3) | instskip(NEXT) | instid1(VALU_DEP_4)
	v_add_co_u32 v34, vcc_lo, s8, v28
	v_add_co_ci_u32_e32 v35, vcc_lo, s9, v29, vcc_lo
	s_delay_alu instid0(VALU_DEP_3) | instskip(NEXT) | instid1(VALU_DEP_4)
	v_add_co_u32 v38, vcc_lo, s8, v30
	v_add_co_ci_u32_e32 v39, vcc_lo, s9, v31, vcc_lo
	s_clause 0x2
	global_load_b128 v[28:31], v[34:35], off offset:16
	global_load_b128 v[34:37], v[34:35], off
	global_load_b128 v[38:41], v[38:39], off
	s_waitcnt vmcnt(3)
	v_subrev_nc_u32_e32 v23, s12, v26
	s_delay_alu instid0(VALU_DEP_1) | instskip(SKIP_1) | instid1(VALU_DEP_2)
	v_dual_mov_b32 v43, v24 :: v_dual_lshlrev_b32 v42, 1, v23
	v_mov_b32_e32 v23, v24
	v_lshlrev_b64 v[42:43], 4, v[42:43]
	s_delay_alu instid0(VALU_DEP_2) | instskip(SKIP_1) | instid1(VALU_DEP_3)
	v_lshlrev_b64 v[50:51], 4, v[22:23]
	v_add_nc_u32_e32 v23, -2, v22
	v_add_co_u32 v46, vcc_lo, s10, v42
	s_delay_alu instid0(VALU_DEP_4) | instskip(NEXT) | instid1(VALU_DEP_4)
	v_add_co_ci_u32_e32 v47, vcc_lo, s11, v43, vcc_lo
	v_add_co_u32 v58, vcc_lo, s8, v50
	v_add_co_ci_u32_e32 v59, vcc_lo, s9, v51, vcc_lo
	s_clause 0x1
	global_load_b128 v[42:45], v[46:47], off
	global_load_b128 v[46:49], v[46:47], off offset:16
	v_lshlrev_b64 v[50:51], 4, v[23:24]
	v_add_nc_u32_e32 v23, -1, v22
	v_add_nc_u32_e32 v22, 0x60, v22
	s_delay_alu instid0(VALU_DEP_2) | instskip(NEXT) | instid1(VALU_DEP_4)
	v_lshlrev_b64 v[52:53], 4, v[23:24]
	v_add_co_u32 v50, vcc_lo, s8, v50
	v_add_co_ci_u32_e32 v51, vcc_lo, s9, v51, vcc_lo
	s_delay_alu instid0(VALU_DEP_3) | instskip(NEXT) | instid1(VALU_DEP_4)
	v_add_co_u32 v54, vcc_lo, s8, v52
	v_add_co_ci_u32_e32 v55, vcc_lo, s9, v53, vcc_lo
	s_clause 0x2
	global_load_b128 v[50:53], v[50:51], off
	global_load_b128 v[54:57], v[54:55], off
	;; [unrolled: 1-line block ×3, first 2 shown]
	v_cmp_ge_i32_e32 vcc_lo, v25, v27
	s_or_b32 s4, vcc_lo, s4
	s_waitcnt vmcnt(4)
	v_fma_f64 v[11:12], v[34:35], v[42:43], v[11:12]
	v_fma_f64 v[9:10], v[36:37], v[42:43], v[9:10]
	;; [unrolled: 1-line block ×6, first 2 shown]
	v_fma_f64 v[11:12], -v[36:37], v[44:45], v[11:12]
	v_fma_f64 v[9:10], v[34:35], v[44:45], v[9:10]
	v_fma_f64 v[17:18], -v[30:31], v[44:45], v[17:18]
	v_fma_f64 v[19:20], v[28:29], v[44:45], v[19:20]
	;; [unrolled: 2-line block ×3, first 2 shown]
	s_waitcnt vmcnt(2)
	v_fma_f64 v[11:12], v[50:51], v[46:47], v[11:12]
	v_fma_f64 v[9:10], v[52:53], v[46:47], v[9:10]
	s_waitcnt vmcnt(1)
	v_fma_f64 v[17:18], v[54:55], v[46:47], v[17:18]
	v_fma_f64 v[19:20], v[56:57], v[46:47], v[19:20]
	;; [unrolled: 3-line block ×3, first 2 shown]
	v_fma_f64 v[11:12], -v[52:53], v[48:49], v[11:12]
	v_fma_f64 v[9:10], v[50:51], v[48:49], v[9:10]
	v_fma_f64 v[17:18], -v[56:57], v[48:49], v[17:18]
	v_fma_f64 v[19:20], v[54:55], v[48:49], v[19:20]
	v_fma_f64 v[13:14], -v[60:61], v[48:49], v[13:14]
	v_fma_f64 v[15:16], v[58:59], v[48:49], v[15:16]
	s_and_not1_b32 exec_lo, exec_lo, s4
	s_cbranch_execnz .LBB118_11
; %bb.12:
	s_or_b32 exec_lo, exec_lo, s4
.LBB118_13:
	s_delay_alu instid0(SALU_CYCLE_1)
	s_or_b32 exec_lo, exec_lo, s1
	s_cbranch_execz .LBB118_15
	s_branch .LBB118_20
.LBB118_14:
                                        ; implicit-def: $vgpr9_vgpr10
                                        ; implicit-def: $vgpr11_vgpr12
                                        ; implicit-def: $vgpr13_vgpr14
                                        ; implicit-def: $vgpr15_vgpr16
                                        ; implicit-def: $vgpr17_vgpr18
                                        ; implicit-def: $vgpr19_vgpr20
.LBB118_15:
	v_mov_b32_e32 v9, 0
	v_mov_b32_e32 v10, 0
	s_delay_alu instid0(VALU_DEP_1)
	v_dual_mov_b32 v12, v10 :: v_dual_mov_b32 v11, v9
	v_dual_mov_b32 v14, v10 :: v_dual_mov_b32 v13, v9
	;; [unrolled: 1-line block ×5, first 2 shown]
	s_and_saveexec_b32 s1, s0
	s_cbranch_execz .LBB118_19
; %bb.16:
	v_dual_mov_b32 v9, 0 :: v_dual_mov_b32 v26, 0
	v_mov_b32_e32 v10, 0
	v_mad_u64_u32 v[23:24], null, v21, 6, 5
	s_mov_b32 s0, 0
	s_delay_alu instid0(VALU_DEP_2)
	v_dual_mov_b32 v12, v10 :: v_dual_mov_b32 v11, v9
	v_dual_mov_b32 v14, v10 :: v_dual_mov_b32 v13, v9
	;; [unrolled: 1-line block ×5, first 2 shown]
.LBB118_17:                             ; =>This Inner Loop Header: Depth=1
	v_ashrrev_i32_e32 v22, 31, v21
	v_dual_mov_b32 v47, v26 :: v_dual_add_nc_u32 v28, -3, v23
	v_dual_mov_b32 v29, v26 :: v_dual_add_nc_u32 v30, -1, v23
	s_delay_alu instid0(VALU_DEP_3) | instskip(SKIP_1) | instid1(VALU_DEP_3)
	v_lshlrev_b64 v[24:25], 2, v[21:22]
	v_add_nc_u32_e32 v21, 16, v21
	v_lshlrev_b64 v[28:29], 4, v[28:29]
	s_delay_alu instid0(VALU_DEP_3) | instskip(NEXT) | instid1(VALU_DEP_4)
	v_add_co_u32 v24, vcc_lo, s6, v24
	v_add_co_ci_u32_e32 v25, vcc_lo, s7, v25, vcc_lo
	global_load_b32 v22, v[24:25], off
	v_add_nc_u32_e32 v25, -5, v23
	s_delay_alu instid0(VALU_DEP_1) | instskip(NEXT) | instid1(VALU_DEP_1)
	v_lshlrev_b64 v[24:25], 4, v[25:26]
	v_add_co_u32 v24, vcc_lo, s8, v24
	s_delay_alu instid0(VALU_DEP_2) | instskip(SKIP_4) | instid1(VALU_DEP_1)
	v_add_co_ci_u32_e32 v25, vcc_lo, s9, v25, vcc_lo
	v_add_co_u32 v38, vcc_lo, s8, v28
	v_add_co_ci_u32_e32 v39, vcc_lo, s9, v29, vcc_lo
	s_waitcnt vmcnt(0)
	v_subrev_nc_u32_e32 v22, s12, v22
	v_dual_mov_b32 v31, v26 :: v_dual_lshlrev_b32 v46, 1, v22
	s_delay_alu instid0(VALU_DEP_1) | instskip(NEXT) | instid1(VALU_DEP_1)
	v_lshlrev_b64 v[30:31], 4, v[30:31]
	v_add_co_u32 v42, vcc_lo, s8, v30
	s_delay_alu instid0(VALU_DEP_2)
	v_add_co_ci_u32_e32 v43, vcc_lo, s9, v31, vcc_lo
	s_clause 0x3
	global_load_b128 v[28:31], v[24:25], off offset:16
	global_load_b128 v[34:37], v[24:25], off
	global_load_b128 v[38:41], v[38:39], off
	;; [unrolled: 1-line block ×3, first 2 shown]
	v_lshlrev_b64 v[24:25], 4, v[46:47]
	s_delay_alu instid0(VALU_DEP_1) | instskip(NEXT) | instid1(VALU_DEP_2)
	v_add_co_u32 v24, vcc_lo, s10, v24
	v_add_co_ci_u32_e32 v25, vcc_lo, s11, v25, vcc_lo
	s_clause 0x1
	global_load_b128 v[46:49], v[24:25], off
	global_load_b128 v[50:53], v[24:25], off offset:16
	v_dual_mov_b32 v24, v26 :: v_dual_add_nc_u32 v25, -2, v23
	s_delay_alu instid0(VALU_DEP_1) | instskip(NEXT) | instid1(VALU_DEP_2)
	v_lshlrev_b64 v[54:55], 4, v[23:24]
	v_lshlrev_b64 v[24:25], 4, v[25:26]
	v_add_nc_u32_e32 v23, 0x60, v23
	s_delay_alu instid0(VALU_DEP_3) | instskip(NEXT) | instid1(VALU_DEP_4)
	v_add_co_u32 v58, vcc_lo, s8, v54
	v_add_co_ci_u32_e32 v59, vcc_lo, s9, v55, vcc_lo
	s_delay_alu instid0(VALU_DEP_4)
	v_add_co_u32 v24, vcc_lo, s8, v24
	v_add_co_ci_u32_e32 v25, vcc_lo, s9, v25, vcc_lo
	s_clause 0x1
	global_load_b128 v[54:57], v[24:25], off
	global_load_b128 v[58:61], v[58:59], off
	v_cmp_ge_i32_e32 vcc_lo, v21, v27
	s_or_b32 s0, vcc_lo, s0
	s_waitcnt vmcnt(3)
	v_fma_f64 v[11:12], v[34:35], v[46:47], v[11:12]
	v_fma_f64 v[9:10], v[36:37], v[46:47], v[9:10]
	;; [unrolled: 1-line block ×6, first 2 shown]
	v_fma_f64 v[11:12], -v[36:37], v[48:49], v[11:12]
	v_fma_f64 v[9:10], v[34:35], v[48:49], v[9:10]
	v_fma_f64 v[17:18], -v[40:41], v[48:49], v[17:18]
	v_fma_f64 v[19:20], v[38:39], v[48:49], v[19:20]
	;; [unrolled: 2-line block ×3, first 2 shown]
	s_waitcnt vmcnt(2)
	v_fma_f64 v[11:12], v[28:29], v[50:51], v[11:12]
	v_fma_f64 v[9:10], v[30:31], v[50:51], v[9:10]
	s_waitcnt vmcnt(1)
	v_fma_f64 v[17:18], v[54:55], v[50:51], v[17:18]
	v_fma_f64 v[19:20], v[56:57], v[50:51], v[19:20]
	;; [unrolled: 3-line block ×3, first 2 shown]
	v_fma_f64 v[11:12], -v[30:31], v[52:53], v[11:12]
	v_fma_f64 v[9:10], v[28:29], v[52:53], v[9:10]
	v_fma_f64 v[17:18], -v[56:57], v[52:53], v[17:18]
	v_fma_f64 v[19:20], v[54:55], v[52:53], v[19:20]
	;; [unrolled: 2-line block ×3, first 2 shown]
	s_and_not1_b32 exec_lo, exec_lo, s0
	s_cbranch_execnz .LBB118_17
; %bb.18:
	s_or_b32 exec_lo, exec_lo, s0
.LBB118_19:
	s_delay_alu instid0(SALU_CYCLE_1)
	s_or_b32 exec_lo, exec_lo, s1
.LBB118_20:
	v_mbcnt_lo_u32_b32 v34, -1, 0
	s_delay_alu instid0(VALU_DEP_1) | instskip(NEXT) | instid1(VALU_DEP_1)
	v_xor_b32_e32 v21, 8, v34
	v_cmp_gt_i32_e32 vcc_lo, 32, v21
	v_cndmask_b32_e32 v21, v34, v21, vcc_lo
	s_delay_alu instid0(VALU_DEP_1)
	v_lshlrev_b32_e32 v32, 2, v21
	ds_bpermute_b32 v21, v32, v11
	ds_bpermute_b32 v22, v32, v12
	;; [unrolled: 1-line block ×12, first 2 shown]
	s_waitcnt lgkmcnt(10)
	v_add_f64 v[11:12], v[11:12], v[21:22]
	v_xor_b32_e32 v21, 4, v34
	s_waitcnt lgkmcnt(8)
	v_add_f64 v[9:10], v[9:10], v[23:24]
	s_waitcnt lgkmcnt(6)
	v_add_f64 v[17:18], v[17:18], v[25:26]
	;; [unrolled: 2-line block ×3, first 2 shown]
	v_cmp_gt_i32_e32 vcc_lo, 32, v21
	s_waitcnt lgkmcnt(2)
	v_add_f64 v[13:14], v[13:14], v[29:30]
	s_waitcnt lgkmcnt(0)
	v_add_f64 v[15:16], v[15:16], v[31:32]
	v_cndmask_b32_e32 v21, v34, v21, vcc_lo
	s_delay_alu instid0(VALU_DEP_1)
	v_lshlrev_b32_e32 v32, 2, v21
	ds_bpermute_b32 v21, v32, v11
	ds_bpermute_b32 v22, v32, v12
	;; [unrolled: 1-line block ×12, first 2 shown]
	s_waitcnt lgkmcnt(10)
	v_add_f64 v[11:12], v[11:12], v[21:22]
	s_waitcnt lgkmcnt(8)
	v_add_f64 v[21:22], v[9:10], v[23:24]
	v_xor_b32_e32 v9, 2, v34
	s_waitcnt lgkmcnt(6)
	v_add_f64 v[17:18], v[17:18], v[25:26]
	s_waitcnt lgkmcnt(4)
	v_add_f64 v[23:24], v[19:20], v[27:28]
	;; [unrolled: 2-line block ×3, first 2 shown]
	v_cmp_gt_i32_e32 vcc_lo, 32, v9
	s_waitcnt lgkmcnt(0)
	v_add_f64 v[15:16], v[15:16], v[31:32]
	v_cndmask_b32_e32 v9, v34, v9, vcc_lo
	s_delay_alu instid0(VALU_DEP_1)
	v_lshlrev_b32_e32 v32, 2, v9
	ds_bpermute_b32 v9, v32, v11
	ds_bpermute_b32 v10, v32, v12
	;; [unrolled: 1-line block ×12, first 2 shown]
	s_waitcnt lgkmcnt(10)
	v_add_f64 v[9:10], v[11:12], v[9:10]
	s_waitcnt lgkmcnt(8)
	v_add_f64 v[19:20], v[21:22], v[19:20]
	v_xor_b32_e32 v21, 1, v34
	s_waitcnt lgkmcnt(6)
	v_add_f64 v[11:12], v[17:18], v[25:26]
	s_waitcnt lgkmcnt(4)
	v_add_f64 v[17:18], v[23:24], v[27:28]
	;; [unrolled: 2-line block ×3, first 2 shown]
	v_cmp_gt_i32_e32 vcc_lo, 32, v21
	s_waitcnt lgkmcnt(0)
	v_add_f64 v[15:16], v[15:16], v[31:32]
	v_cndmask_b32_e32 v21, v34, v21, vcc_lo
	v_cmp_eq_u32_e32 vcc_lo, 15, v33
	s_delay_alu instid0(VALU_DEP_2)
	v_lshlrev_b32_e32 v24, 2, v21
	ds_bpermute_b32 v31, v24, v9
	ds_bpermute_b32 v32, v24, v10
	;; [unrolled: 1-line block ×12, first 2 shown]
	s_and_b32 exec_lo, exec_lo, vcc_lo
	s_cbranch_execz .LBB118_25
; %bb.21:
	v_cmp_eq_f64_e32 vcc_lo, 0, v[4:5]
	v_cmp_eq_f64_e64 s0, 0, v[6:7]
	s_waitcnt lgkmcnt(10)
	v_add_f64 v[9:10], v[9:10], v[31:32]
	s_waitcnt lgkmcnt(8)
	v_add_f64 v[19:20], v[19:20], v[29:30]
	;; [unrolled: 2-line block ×6, first 2 shown]
	s_load_b64 s[2:3], s[2:3], 0x48
	s_and_b32 s0, vcc_lo, s0
	s_delay_alu instid0(SALU_CYCLE_1) | instskip(NEXT) | instid1(SALU_CYCLE_1)
	s_and_saveexec_b32 s1, s0
	s_xor_b32 s0, exec_lo, s1
	s_cbranch_execz .LBB118_23
; %bb.22:
	v_mul_f64 v[4:5], v[19:20], -v[2:3]
	v_mul_f64 v[6:7], v[0:1], v[19:20]
	v_mul_f64 v[19:20], v[17:18], -v[2:3]
	v_mul_f64 v[17:18], v[0:1], v[17:18]
	;; [unrolled: 2-line block ×3, first 2 shown]
	v_fma_f64 v[4:5], v[0:1], v[9:10], v[4:5]
	v_fma_f64 v[6:7], v[2:3], v[9:10], v[6:7]
	;; [unrolled: 1-line block ×6, first 2 shown]
	v_lshl_add_u32 v13, v8, 1, v8
                                        ; implicit-def: $vgpr8
                                        ; implicit-def: $vgpr19_vgpr20
                                        ; implicit-def: $vgpr17_vgpr18
                                        ; implicit-def: $vgpr15_vgpr16
	s_delay_alu instid0(VALU_DEP_1) | instskip(NEXT) | instid1(VALU_DEP_1)
	v_ashrrev_i32_e32 v14, 31, v13
	v_lshlrev_b64 v[13:14], 4, v[13:14]
	s_waitcnt lgkmcnt(0)
	s_delay_alu instid0(VALU_DEP_1) | instskip(NEXT) | instid1(VALU_DEP_2)
	v_add_co_u32 v13, vcc_lo, s2, v13
	v_add_co_ci_u32_e32 v14, vcc_lo, s3, v14, vcc_lo
	s_clause 0x2
	global_store_b128 v[13:14], v[4:7], off
	global_store_b128 v[13:14], v[9:12], off offset:16
	global_store_b128 v[13:14], v[0:3], off offset:32
                                        ; implicit-def: $vgpr0_vgpr1
                                        ; implicit-def: $vgpr2_vgpr3
                                        ; implicit-def: $vgpr4_vgpr5
                                        ; implicit-def: $vgpr6_vgpr7
                                        ; implicit-def: $vgpr9_vgpr10
                                        ; implicit-def: $vgpr11_vgpr12
                                        ; implicit-def: $vgpr13_vgpr14
.LBB118_23:
	s_and_not1_saveexec_b32 s0, s0
	s_cbranch_execz .LBB118_25
; %bb.24:
	v_lshl_add_u32 v21, v8, 1, v8
	v_mul_f64 v[35:36], v[19:20], -v[2:3]
	v_mul_f64 v[19:20], v[0:1], v[19:20]
	v_mul_f64 v[37:38], v[17:18], -v[2:3]
	v_mul_f64 v[17:18], v[0:1], v[17:18]
	v_ashrrev_i32_e32 v22, 31, v21
	v_mul_f64 v[39:40], v[15:16], -v[2:3]
	v_mul_f64 v[15:16], v[0:1], v[15:16]
	s_delay_alu instid0(VALU_DEP_3) | instskip(SKIP_1) | instid1(VALU_DEP_1)
	v_lshlrev_b64 v[21:22], 4, v[21:22]
	s_waitcnt lgkmcnt(0)
	v_add_co_u32 v33, vcc_lo, s2, v21
	s_delay_alu instid0(VALU_DEP_2)
	v_add_co_ci_u32_e32 v34, vcc_lo, s3, v22, vcc_lo
	s_clause 0x2
	global_load_b128 v[21:24], v[33:34], off
	global_load_b128 v[25:28], v[33:34], off offset:16
	global_load_b128 v[29:32], v[33:34], off offset:32
	v_fma_f64 v[35:36], v[0:1], v[9:10], v[35:36]
	v_fma_f64 v[8:9], v[2:3], v[9:10], v[19:20]
	;; [unrolled: 1-line block ×6, first 2 shown]
	s_waitcnt vmcnt(2)
	v_fma_f64 v[12:13], v[4:5], v[21:22], v[35:36]
	v_fma_f64 v[8:9], v[6:7], v[21:22], v[8:9]
	s_waitcnt vmcnt(1)
	v_fma_f64 v[14:15], v[4:5], v[25:26], v[19:20]
	v_fma_f64 v[10:11], v[6:7], v[25:26], v[10:11]
	;; [unrolled: 3-line block ×3, first 2 shown]
	v_fma_f64 v[0:1], -v[6:7], v[23:24], v[12:13]
	v_fma_f64 v[2:3], v[4:5], v[23:24], v[8:9]
	v_fma_f64 v[8:9], -v[6:7], v[27:28], v[14:15]
	v_fma_f64 v[10:11], v[4:5], v[27:28], v[10:11]
	;; [unrolled: 2-line block ×3, first 2 shown]
	s_clause 0x2
	global_store_b128 v[33:34], v[0:3], off
	global_store_b128 v[33:34], v[8:11], off offset:16
	global_store_b128 v[33:34], v[12:15], off offset:32
.LBB118_25:
	s_nop 0
	s_sendmsg sendmsg(MSG_DEALLOC_VGPRS)
	s_endpgm
	.section	.rodata,"a",@progbits
	.p2align	6, 0x0
	.amdhsa_kernel _ZN9rocsparseL19gebsrmvn_3xn_kernelILj128ELj2ELj16E21rocsparse_complex_numIdEEEvi20rocsparse_direction_NS_24const_host_device_scalarIT2_EEPKiS8_PKS5_SA_S6_PS5_21rocsparse_index_base_b
		.amdhsa_group_segment_fixed_size 2048
		.amdhsa_private_segment_fixed_size 0
		.amdhsa_kernarg_size 88
		.amdhsa_user_sgpr_count 15
		.amdhsa_user_sgpr_dispatch_ptr 1
		.amdhsa_user_sgpr_queue_ptr 0
		.amdhsa_user_sgpr_kernarg_segment_ptr 1
		.amdhsa_user_sgpr_dispatch_id 0
		.amdhsa_user_sgpr_private_segment_size 0
		.amdhsa_wavefront_size32 1
		.amdhsa_uses_dynamic_stack 0
		.amdhsa_enable_private_segment 0
		.amdhsa_system_sgpr_workgroup_id_x 1
		.amdhsa_system_sgpr_workgroup_id_y 0
		.amdhsa_system_sgpr_workgroup_id_z 0
		.amdhsa_system_sgpr_workgroup_info 0
		.amdhsa_system_vgpr_workitem_id 2
		.amdhsa_next_free_vgpr 62
		.amdhsa_next_free_sgpr 18
		.amdhsa_reserve_vcc 1
		.amdhsa_float_round_mode_32 0
		.amdhsa_float_round_mode_16_64 0
		.amdhsa_float_denorm_mode_32 3
		.amdhsa_float_denorm_mode_16_64 3
		.amdhsa_dx10_clamp 1
		.amdhsa_ieee_mode 1
		.amdhsa_fp16_overflow 0
		.amdhsa_workgroup_processor_mode 1
		.amdhsa_memory_ordered 1
		.amdhsa_forward_progress 0
		.amdhsa_shared_vgpr_count 0
		.amdhsa_exception_fp_ieee_invalid_op 0
		.amdhsa_exception_fp_denorm_src 0
		.amdhsa_exception_fp_ieee_div_zero 0
		.amdhsa_exception_fp_ieee_overflow 0
		.amdhsa_exception_fp_ieee_underflow 0
		.amdhsa_exception_fp_ieee_inexact 0
		.amdhsa_exception_int_div_zero 0
	.end_amdhsa_kernel
	.section	.text._ZN9rocsparseL19gebsrmvn_3xn_kernelILj128ELj2ELj16E21rocsparse_complex_numIdEEEvi20rocsparse_direction_NS_24const_host_device_scalarIT2_EEPKiS8_PKS5_SA_S6_PS5_21rocsparse_index_base_b,"axG",@progbits,_ZN9rocsparseL19gebsrmvn_3xn_kernelILj128ELj2ELj16E21rocsparse_complex_numIdEEEvi20rocsparse_direction_NS_24const_host_device_scalarIT2_EEPKiS8_PKS5_SA_S6_PS5_21rocsparse_index_base_b,comdat
.Lfunc_end118:
	.size	_ZN9rocsparseL19gebsrmvn_3xn_kernelILj128ELj2ELj16E21rocsparse_complex_numIdEEEvi20rocsparse_direction_NS_24const_host_device_scalarIT2_EEPKiS8_PKS5_SA_S6_PS5_21rocsparse_index_base_b, .Lfunc_end118-_ZN9rocsparseL19gebsrmvn_3xn_kernelILj128ELj2ELj16E21rocsparse_complex_numIdEEEvi20rocsparse_direction_NS_24const_host_device_scalarIT2_EEPKiS8_PKS5_SA_S6_PS5_21rocsparse_index_base_b
                                        ; -- End function
	.section	.AMDGPU.csdata,"",@progbits
; Kernel info:
; codeLenInByte = 3152
; NumSgprs: 20
; NumVgprs: 62
; ScratchSize: 0
; MemoryBound: 0
; FloatMode: 240
; IeeeMode: 1
; LDSByteSize: 2048 bytes/workgroup (compile time only)
; SGPRBlocks: 2
; VGPRBlocks: 7
; NumSGPRsForWavesPerEU: 20
; NumVGPRsForWavesPerEU: 62
; Occupancy: 16
; WaveLimiterHint : 1
; COMPUTE_PGM_RSRC2:SCRATCH_EN: 0
; COMPUTE_PGM_RSRC2:USER_SGPR: 15
; COMPUTE_PGM_RSRC2:TRAP_HANDLER: 0
; COMPUTE_PGM_RSRC2:TGID_X_EN: 1
; COMPUTE_PGM_RSRC2:TGID_Y_EN: 0
; COMPUTE_PGM_RSRC2:TGID_Z_EN: 0
; COMPUTE_PGM_RSRC2:TIDIG_COMP_CNT: 2
	.section	.text._ZN9rocsparseL19gebsrmvn_3xn_kernelILj128ELj2ELj32E21rocsparse_complex_numIdEEEvi20rocsparse_direction_NS_24const_host_device_scalarIT2_EEPKiS8_PKS5_SA_S6_PS5_21rocsparse_index_base_b,"axG",@progbits,_ZN9rocsparseL19gebsrmvn_3xn_kernelILj128ELj2ELj32E21rocsparse_complex_numIdEEEvi20rocsparse_direction_NS_24const_host_device_scalarIT2_EEPKiS8_PKS5_SA_S6_PS5_21rocsparse_index_base_b,comdat
	.globl	_ZN9rocsparseL19gebsrmvn_3xn_kernelILj128ELj2ELj32E21rocsparse_complex_numIdEEEvi20rocsparse_direction_NS_24const_host_device_scalarIT2_EEPKiS8_PKS5_SA_S6_PS5_21rocsparse_index_base_b ; -- Begin function _ZN9rocsparseL19gebsrmvn_3xn_kernelILj128ELj2ELj32E21rocsparse_complex_numIdEEEvi20rocsparse_direction_NS_24const_host_device_scalarIT2_EEPKiS8_PKS5_SA_S6_PS5_21rocsparse_index_base_b
	.p2align	8
	.type	_ZN9rocsparseL19gebsrmvn_3xn_kernelILj128ELj2ELj32E21rocsparse_complex_numIdEEEvi20rocsparse_direction_NS_24const_host_device_scalarIT2_EEPKiS8_PKS5_SA_S6_PS5_21rocsparse_index_base_b,@function
_ZN9rocsparseL19gebsrmvn_3xn_kernelILj128ELj2ELj32E21rocsparse_complex_numIdEEEvi20rocsparse_direction_NS_24const_host_device_scalarIT2_EEPKiS8_PKS5_SA_S6_PS5_21rocsparse_index_base_b: ; @_ZN9rocsparseL19gebsrmvn_3xn_kernelILj128ELj2ELj32E21rocsparse_complex_numIdEEEvi20rocsparse_direction_NS_24const_host_device_scalarIT2_EEPKiS8_PKS5_SA_S6_PS5_21rocsparse_index_base_b
; %bb.0:
	s_load_b64 s[12:13], s[2:3], 0x50
	s_load_b64 s[16:17], s[0:1], 0x4
	s_load_b128 s[8:11], s[2:3], 0x8
	v_bfe_u32 v1, v0, 10, 10
	s_mov_b64 s[0:1], src_shared_base
	s_load_b128 s[4:7], s[2:3], 0x38
	v_and_b32_e32 v10, 0x3ff, v0
	v_bfe_u32 v0, v0, 20, 10
	s_waitcnt lgkmcnt(0)
	s_bitcmp1_b32 s13, 0
	v_mul_u32_u24_e32 v1, s17, v1
	s_cselect_b32 s0, -1, 0
	s_delay_alu instid0(SALU_CYCLE_1)
	s_and_b32 vcc_lo, s0, exec_lo
	s_cselect_b32 s13, s1, s9
	s_lshr_b32 s14, s16, 16
	v_dual_mov_b32 v2, s4 :: v_dual_mov_b32 v3, s5
	s_mul_i32 s14, s14, s17
	v_mov_b32_e32 v6, s13
	v_mad_u32_u24 v1, s14, v10, v1
	s_delay_alu instid0(VALU_DEP_1) | instskip(SKIP_1) | instid1(VALU_DEP_2)
	v_add_lshl_u32 v4, v1, v0, 3
	v_dual_mov_b32 v0, s8 :: v_dual_mov_b32 v1, s9
	v_add_nc_u32_e32 v5, 0x400, v4
	ds_store_2addr_stride64_b64 v4, v[2:3], v[0:1] offset1:2
	v_dual_mov_b32 v2, s10 :: v_dual_mov_b32 v3, s11
	v_cndmask_b32_e64 v5, s8, v5, s0
	s_xor_b32 s10, s0, -1
	flat_load_b64 v[0:1], v[5:6]
	s_cbranch_vccnz .LBB119_2
; %bb.1:
	v_dual_mov_b32 v2, s8 :: v_dual_mov_b32 v3, s9
	flat_load_b64 v[2:3], v[2:3] offset:8
.LBB119_2:
	s_and_b32 s8, s0, exec_lo
	s_cselect_b32 s1, s1, s5
	v_cndmask_b32_e64 v4, s4, v4, s0
	v_dual_mov_b32 v5, s1 :: v_dual_mov_b32 v6, s6
	v_mov_b32_e32 v7, s7
	s_and_not1_b32 vcc_lo, exec_lo, s10
	flat_load_b64 v[4:5], v[4:5]
	s_cbranch_vccnz .LBB119_4
; %bb.3:
	v_dual_mov_b32 v7, s5 :: v_dual_mov_b32 v6, s4
	flat_load_b64 v[6:7], v[6:7] offset:8
.LBB119_4:
	s_waitcnt vmcnt(1) lgkmcnt(1)
	v_cmp_eq_f64_e32 vcc_lo, 0, v[0:1]
	v_cmp_eq_f64_e64 s0, 0, v[2:3]
	s_delay_alu instid0(VALU_DEP_1)
	s_and_b32 s4, vcc_lo, s0
	s_mov_b32 s0, -1
	s_and_saveexec_b32 s1, s4
	s_cbranch_execz .LBB119_6
; %bb.5:
	s_waitcnt vmcnt(0) lgkmcnt(0)
	v_cmp_neq_f64_e32 vcc_lo, 1.0, v[4:5]
	v_cmp_neq_f64_e64 s0, 0, v[6:7]
	s_delay_alu instid0(VALU_DEP_1) | instskip(NEXT) | instid1(SALU_CYCLE_1)
	s_or_b32 s0, vcc_lo, s0
	s_or_not1_b32 s0, s0, exec_lo
.LBB119_6:
	s_or_b32 exec_lo, exec_lo, s1
	s_and_saveexec_b32 s1, s0
	s_cbranch_execz .LBB119_25
; %bb.7:
	s_load_b64 s[0:1], s[2:3], 0x0
	v_lshrrev_b32_e32 v8, 5, v10
	s_delay_alu instid0(VALU_DEP_1) | instskip(SKIP_1) | instid1(VALU_DEP_1)
	v_lshl_or_b32 v8, s15, 2, v8
	s_waitcnt lgkmcnt(0)
	v_cmp_gt_i32_e32 vcc_lo, s0, v8
	s_and_b32 exec_lo, exec_lo, vcc_lo
	s_cbranch_execz .LBB119_25
; %bb.8:
	s_load_b256 s[4:11], s[2:3], 0x18
	v_ashrrev_i32_e32 v9, 31, v8
	v_and_b32_e32 v33, 31, v10
	s_cmp_lg_u32 s1, 0
	s_delay_alu instid0(VALU_DEP_2) | instskip(SKIP_1) | instid1(VALU_DEP_1)
	v_lshlrev_b64 v[11:12], 2, v[8:9]
	s_waitcnt lgkmcnt(0)
	v_add_co_u32 v11, vcc_lo, s4, v11
	s_delay_alu instid0(VALU_DEP_2) | instskip(SKIP_4) | instid1(VALU_DEP_2)
	v_add_co_ci_u32_e32 v12, vcc_lo, s5, v12, vcc_lo
	global_load_b64 v[11:12], v[11:12], off
	s_waitcnt vmcnt(0)
	v_subrev_nc_u32_e32 v9, s12, v11
	v_subrev_nc_u32_e32 v27, s12, v12
	v_add_nc_u32_e32 v21, v9, v33
	s_delay_alu instid0(VALU_DEP_1)
	v_cmp_lt_i32_e64 s0, v21, v27
	s_cbranch_scc0 .LBB119_14
; %bb.9:
	v_mov_b32_e32 v9, 0
	v_mov_b32_e32 v10, 0
	s_delay_alu instid0(VALU_DEP_1)
	v_dual_mov_b32 v12, v10 :: v_dual_mov_b32 v11, v9
	v_dual_mov_b32 v14, v10 :: v_dual_mov_b32 v13, v9
	;; [unrolled: 1-line block ×5, first 2 shown]
	s_and_saveexec_b32 s1, s0
	s_cbranch_execz .LBB119_13
; %bb.10:
	v_dual_mov_b32 v9, 0 :: v_dual_mov_b32 v24, 0
	v_dual_mov_b32 v10, 0 :: v_dual_mov_b32 v25, v21
	v_mad_u64_u32 v[22:23], null, v21, 6, 5
	s_mov_b32 s4, 0
	s_delay_alu instid0(VALU_DEP_2)
	v_dual_mov_b32 v12, v10 :: v_dual_mov_b32 v11, v9
	v_dual_mov_b32 v14, v10 :: v_dual_mov_b32 v13, v9
	;; [unrolled: 1-line block ×5, first 2 shown]
.LBB119_11:                             ; =>This Inner Loop Header: Depth=1
	v_ashrrev_i32_e32 v26, 31, v25
	v_add_nc_u32_e32 v23, -5, v22
	s_delay_alu instid0(VALU_DEP_2) | instskip(SKIP_1) | instid1(VALU_DEP_2)
	v_lshlrev_b64 v[28:29], 2, v[25:26]
	v_add_nc_u32_e32 v25, 32, v25
	v_add_co_u32 v28, vcc_lo, s6, v28
	s_delay_alu instid0(VALU_DEP_3) | instskip(SKIP_3) | instid1(VALU_DEP_1)
	v_add_co_ci_u32_e32 v29, vcc_lo, s7, v29, vcc_lo
	global_load_b32 v26, v[28:29], off
	v_lshlrev_b64 v[28:29], 4, v[23:24]
	v_add_nc_u32_e32 v23, -3, v22
	v_lshlrev_b64 v[30:31], 4, v[23:24]
	s_delay_alu instid0(VALU_DEP_3) | instskip(NEXT) | instid1(VALU_DEP_4)
	v_add_co_u32 v34, vcc_lo, s8, v28
	v_add_co_ci_u32_e32 v35, vcc_lo, s9, v29, vcc_lo
	s_delay_alu instid0(VALU_DEP_3) | instskip(NEXT) | instid1(VALU_DEP_4)
	v_add_co_u32 v38, vcc_lo, s8, v30
	v_add_co_ci_u32_e32 v39, vcc_lo, s9, v31, vcc_lo
	s_clause 0x2
	global_load_b128 v[28:31], v[34:35], off offset:16
	global_load_b128 v[34:37], v[34:35], off
	global_load_b128 v[38:41], v[38:39], off
	s_waitcnt vmcnt(3)
	v_subrev_nc_u32_e32 v23, s12, v26
	s_delay_alu instid0(VALU_DEP_1) | instskip(SKIP_1) | instid1(VALU_DEP_2)
	v_dual_mov_b32 v43, v24 :: v_dual_lshlrev_b32 v42, 1, v23
	v_mov_b32_e32 v23, v24
	v_lshlrev_b64 v[42:43], 4, v[42:43]
	s_delay_alu instid0(VALU_DEP_2) | instskip(SKIP_1) | instid1(VALU_DEP_3)
	v_lshlrev_b64 v[50:51], 4, v[22:23]
	v_add_nc_u32_e32 v23, -2, v22
	v_add_co_u32 v46, vcc_lo, s10, v42
	s_delay_alu instid0(VALU_DEP_4) | instskip(NEXT) | instid1(VALU_DEP_4)
	v_add_co_ci_u32_e32 v47, vcc_lo, s11, v43, vcc_lo
	v_add_co_u32 v58, vcc_lo, s8, v50
	v_add_co_ci_u32_e32 v59, vcc_lo, s9, v51, vcc_lo
	s_clause 0x1
	global_load_b128 v[42:45], v[46:47], off
	global_load_b128 v[46:49], v[46:47], off offset:16
	v_lshlrev_b64 v[50:51], 4, v[23:24]
	v_add_nc_u32_e32 v23, -1, v22
	v_add_nc_u32_e32 v22, 0xc0, v22
	s_delay_alu instid0(VALU_DEP_2) | instskip(NEXT) | instid1(VALU_DEP_4)
	v_lshlrev_b64 v[52:53], 4, v[23:24]
	v_add_co_u32 v50, vcc_lo, s8, v50
	v_add_co_ci_u32_e32 v51, vcc_lo, s9, v51, vcc_lo
	s_delay_alu instid0(VALU_DEP_3) | instskip(NEXT) | instid1(VALU_DEP_4)
	v_add_co_u32 v54, vcc_lo, s8, v52
	v_add_co_ci_u32_e32 v55, vcc_lo, s9, v53, vcc_lo
	s_clause 0x2
	global_load_b128 v[50:53], v[50:51], off
	global_load_b128 v[54:57], v[54:55], off
	;; [unrolled: 1-line block ×3, first 2 shown]
	v_cmp_ge_i32_e32 vcc_lo, v25, v27
	s_or_b32 s4, vcc_lo, s4
	s_waitcnt vmcnt(4)
	v_fma_f64 v[11:12], v[34:35], v[42:43], v[11:12]
	v_fma_f64 v[9:10], v[36:37], v[42:43], v[9:10]
	;; [unrolled: 1-line block ×6, first 2 shown]
	v_fma_f64 v[11:12], -v[36:37], v[44:45], v[11:12]
	v_fma_f64 v[9:10], v[34:35], v[44:45], v[9:10]
	v_fma_f64 v[17:18], -v[30:31], v[44:45], v[17:18]
	v_fma_f64 v[19:20], v[28:29], v[44:45], v[19:20]
	;; [unrolled: 2-line block ×3, first 2 shown]
	s_waitcnt vmcnt(2)
	v_fma_f64 v[11:12], v[50:51], v[46:47], v[11:12]
	v_fma_f64 v[9:10], v[52:53], v[46:47], v[9:10]
	s_waitcnt vmcnt(1)
	v_fma_f64 v[17:18], v[54:55], v[46:47], v[17:18]
	v_fma_f64 v[19:20], v[56:57], v[46:47], v[19:20]
	;; [unrolled: 3-line block ×3, first 2 shown]
	v_fma_f64 v[11:12], -v[52:53], v[48:49], v[11:12]
	v_fma_f64 v[9:10], v[50:51], v[48:49], v[9:10]
	v_fma_f64 v[17:18], -v[56:57], v[48:49], v[17:18]
	v_fma_f64 v[19:20], v[54:55], v[48:49], v[19:20]
	;; [unrolled: 2-line block ×3, first 2 shown]
	s_and_not1_b32 exec_lo, exec_lo, s4
	s_cbranch_execnz .LBB119_11
; %bb.12:
	s_or_b32 exec_lo, exec_lo, s4
.LBB119_13:
	s_delay_alu instid0(SALU_CYCLE_1)
	s_or_b32 exec_lo, exec_lo, s1
	s_cbranch_execz .LBB119_15
	s_branch .LBB119_20
.LBB119_14:
                                        ; implicit-def: $vgpr9_vgpr10
                                        ; implicit-def: $vgpr11_vgpr12
                                        ; implicit-def: $vgpr13_vgpr14
                                        ; implicit-def: $vgpr15_vgpr16
                                        ; implicit-def: $vgpr17_vgpr18
                                        ; implicit-def: $vgpr19_vgpr20
.LBB119_15:
	v_mov_b32_e32 v9, 0
	v_mov_b32_e32 v10, 0
	s_delay_alu instid0(VALU_DEP_1)
	v_dual_mov_b32 v12, v10 :: v_dual_mov_b32 v11, v9
	v_dual_mov_b32 v14, v10 :: v_dual_mov_b32 v13, v9
	v_dual_mov_b32 v16, v10 :: v_dual_mov_b32 v15, v9
	v_dual_mov_b32 v18, v10 :: v_dual_mov_b32 v17, v9
	v_dual_mov_b32 v20, v10 :: v_dual_mov_b32 v19, v9
	s_and_saveexec_b32 s1, s0
	s_cbranch_execz .LBB119_19
; %bb.16:
	v_dual_mov_b32 v9, 0 :: v_dual_mov_b32 v26, 0
	v_mov_b32_e32 v10, 0
	v_mad_u64_u32 v[23:24], null, v21, 6, 5
	s_mov_b32 s0, 0
	s_delay_alu instid0(VALU_DEP_2)
	v_dual_mov_b32 v12, v10 :: v_dual_mov_b32 v11, v9
	v_dual_mov_b32 v14, v10 :: v_dual_mov_b32 v13, v9
	;; [unrolled: 1-line block ×5, first 2 shown]
.LBB119_17:                             ; =>This Inner Loop Header: Depth=1
	v_ashrrev_i32_e32 v22, 31, v21
	v_dual_mov_b32 v47, v26 :: v_dual_add_nc_u32 v28, -3, v23
	v_dual_mov_b32 v29, v26 :: v_dual_add_nc_u32 v30, -1, v23
	s_delay_alu instid0(VALU_DEP_3) | instskip(SKIP_1) | instid1(VALU_DEP_3)
	v_lshlrev_b64 v[24:25], 2, v[21:22]
	v_add_nc_u32_e32 v21, 32, v21
	v_lshlrev_b64 v[28:29], 4, v[28:29]
	s_delay_alu instid0(VALU_DEP_3) | instskip(NEXT) | instid1(VALU_DEP_4)
	v_add_co_u32 v24, vcc_lo, s6, v24
	v_add_co_ci_u32_e32 v25, vcc_lo, s7, v25, vcc_lo
	global_load_b32 v22, v[24:25], off
	v_add_nc_u32_e32 v25, -5, v23
	s_delay_alu instid0(VALU_DEP_1) | instskip(NEXT) | instid1(VALU_DEP_1)
	v_lshlrev_b64 v[24:25], 4, v[25:26]
	v_add_co_u32 v24, vcc_lo, s8, v24
	s_delay_alu instid0(VALU_DEP_2) | instskip(SKIP_4) | instid1(VALU_DEP_1)
	v_add_co_ci_u32_e32 v25, vcc_lo, s9, v25, vcc_lo
	v_add_co_u32 v38, vcc_lo, s8, v28
	v_add_co_ci_u32_e32 v39, vcc_lo, s9, v29, vcc_lo
	s_waitcnt vmcnt(0)
	v_subrev_nc_u32_e32 v22, s12, v22
	v_dual_mov_b32 v31, v26 :: v_dual_lshlrev_b32 v46, 1, v22
	s_delay_alu instid0(VALU_DEP_1) | instskip(NEXT) | instid1(VALU_DEP_1)
	v_lshlrev_b64 v[30:31], 4, v[30:31]
	v_add_co_u32 v42, vcc_lo, s8, v30
	s_delay_alu instid0(VALU_DEP_2)
	v_add_co_ci_u32_e32 v43, vcc_lo, s9, v31, vcc_lo
	s_clause 0x3
	global_load_b128 v[28:31], v[24:25], off offset:16
	global_load_b128 v[34:37], v[24:25], off
	global_load_b128 v[38:41], v[38:39], off
	;; [unrolled: 1-line block ×3, first 2 shown]
	v_lshlrev_b64 v[24:25], 4, v[46:47]
	s_delay_alu instid0(VALU_DEP_1) | instskip(NEXT) | instid1(VALU_DEP_2)
	v_add_co_u32 v24, vcc_lo, s10, v24
	v_add_co_ci_u32_e32 v25, vcc_lo, s11, v25, vcc_lo
	s_clause 0x1
	global_load_b128 v[46:49], v[24:25], off
	global_load_b128 v[50:53], v[24:25], off offset:16
	v_dual_mov_b32 v24, v26 :: v_dual_add_nc_u32 v25, -2, v23
	s_delay_alu instid0(VALU_DEP_1) | instskip(NEXT) | instid1(VALU_DEP_2)
	v_lshlrev_b64 v[54:55], 4, v[23:24]
	v_lshlrev_b64 v[24:25], 4, v[25:26]
	v_add_nc_u32_e32 v23, 0xc0, v23
	s_delay_alu instid0(VALU_DEP_3) | instskip(NEXT) | instid1(VALU_DEP_4)
	v_add_co_u32 v58, vcc_lo, s8, v54
	v_add_co_ci_u32_e32 v59, vcc_lo, s9, v55, vcc_lo
	s_delay_alu instid0(VALU_DEP_4)
	v_add_co_u32 v24, vcc_lo, s8, v24
	v_add_co_ci_u32_e32 v25, vcc_lo, s9, v25, vcc_lo
	s_clause 0x1
	global_load_b128 v[54:57], v[24:25], off
	global_load_b128 v[58:61], v[58:59], off
	v_cmp_ge_i32_e32 vcc_lo, v21, v27
	s_or_b32 s0, vcc_lo, s0
	s_waitcnt vmcnt(3)
	v_fma_f64 v[11:12], v[34:35], v[46:47], v[11:12]
	v_fma_f64 v[9:10], v[36:37], v[46:47], v[9:10]
	;; [unrolled: 1-line block ×6, first 2 shown]
	v_fma_f64 v[11:12], -v[36:37], v[48:49], v[11:12]
	v_fma_f64 v[9:10], v[34:35], v[48:49], v[9:10]
	v_fma_f64 v[17:18], -v[40:41], v[48:49], v[17:18]
	v_fma_f64 v[19:20], v[38:39], v[48:49], v[19:20]
	;; [unrolled: 2-line block ×3, first 2 shown]
	s_waitcnt vmcnt(2)
	v_fma_f64 v[11:12], v[28:29], v[50:51], v[11:12]
	v_fma_f64 v[9:10], v[30:31], v[50:51], v[9:10]
	s_waitcnt vmcnt(1)
	v_fma_f64 v[17:18], v[54:55], v[50:51], v[17:18]
	v_fma_f64 v[19:20], v[56:57], v[50:51], v[19:20]
	;; [unrolled: 3-line block ×3, first 2 shown]
	v_fma_f64 v[11:12], -v[30:31], v[52:53], v[11:12]
	v_fma_f64 v[9:10], v[28:29], v[52:53], v[9:10]
	v_fma_f64 v[17:18], -v[56:57], v[52:53], v[17:18]
	v_fma_f64 v[19:20], v[54:55], v[52:53], v[19:20]
	v_fma_f64 v[13:14], -v[60:61], v[52:53], v[13:14]
	v_fma_f64 v[15:16], v[58:59], v[52:53], v[15:16]
	s_and_not1_b32 exec_lo, exec_lo, s0
	s_cbranch_execnz .LBB119_17
; %bb.18:
	s_or_b32 exec_lo, exec_lo, s0
.LBB119_19:
	s_delay_alu instid0(SALU_CYCLE_1)
	s_or_b32 exec_lo, exec_lo, s1
.LBB119_20:
	v_mbcnt_lo_u32_b32 v34, -1, 0
	s_delay_alu instid0(VALU_DEP_1) | instskip(NEXT) | instid1(VALU_DEP_1)
	v_xor_b32_e32 v21, 16, v34
	v_cmp_gt_i32_e32 vcc_lo, 32, v21
	v_cndmask_b32_e32 v21, v34, v21, vcc_lo
	s_delay_alu instid0(VALU_DEP_1)
	v_lshlrev_b32_e32 v32, 2, v21
	ds_bpermute_b32 v21, v32, v11
	ds_bpermute_b32 v22, v32, v12
	;; [unrolled: 1-line block ×12, first 2 shown]
	s_waitcnt lgkmcnt(10)
	v_add_f64 v[11:12], v[11:12], v[21:22]
	v_xor_b32_e32 v21, 8, v34
	s_waitcnt lgkmcnt(8)
	v_add_f64 v[9:10], v[9:10], v[23:24]
	s_waitcnt lgkmcnt(6)
	v_add_f64 v[17:18], v[17:18], v[25:26]
	;; [unrolled: 2-line block ×3, first 2 shown]
	v_cmp_gt_i32_e32 vcc_lo, 32, v21
	s_waitcnt lgkmcnt(2)
	v_add_f64 v[13:14], v[13:14], v[29:30]
	s_waitcnt lgkmcnt(0)
	v_add_f64 v[15:16], v[15:16], v[31:32]
	v_cndmask_b32_e32 v21, v34, v21, vcc_lo
	s_delay_alu instid0(VALU_DEP_1)
	v_lshlrev_b32_e32 v32, 2, v21
	ds_bpermute_b32 v21, v32, v11
	ds_bpermute_b32 v22, v32, v12
	;; [unrolled: 1-line block ×12, first 2 shown]
	s_waitcnt lgkmcnt(10)
	v_add_f64 v[11:12], v[11:12], v[21:22]
	v_xor_b32_e32 v21, 4, v34
	s_waitcnt lgkmcnt(8)
	v_add_f64 v[9:10], v[9:10], v[23:24]
	s_waitcnt lgkmcnt(6)
	v_add_f64 v[17:18], v[17:18], v[25:26]
	;; [unrolled: 2-line block ×3, first 2 shown]
	v_cmp_gt_i32_e32 vcc_lo, 32, v21
	s_waitcnt lgkmcnt(2)
	v_add_f64 v[13:14], v[13:14], v[29:30]
	s_waitcnt lgkmcnt(0)
	v_add_f64 v[15:16], v[15:16], v[31:32]
	v_cndmask_b32_e32 v21, v34, v21, vcc_lo
	s_delay_alu instid0(VALU_DEP_1)
	v_lshlrev_b32_e32 v32, 2, v21
	ds_bpermute_b32 v21, v32, v11
	ds_bpermute_b32 v22, v32, v12
	;; [unrolled: 1-line block ×12, first 2 shown]
	s_waitcnt lgkmcnt(10)
	v_add_f64 v[11:12], v[11:12], v[21:22]
	s_waitcnt lgkmcnt(8)
	v_add_f64 v[21:22], v[9:10], v[23:24]
	v_xor_b32_e32 v9, 2, v34
	s_waitcnt lgkmcnt(6)
	v_add_f64 v[17:18], v[17:18], v[25:26]
	s_waitcnt lgkmcnt(4)
	v_add_f64 v[23:24], v[19:20], v[27:28]
	;; [unrolled: 2-line block ×3, first 2 shown]
	v_cmp_gt_i32_e32 vcc_lo, 32, v9
	s_waitcnt lgkmcnt(0)
	v_add_f64 v[15:16], v[15:16], v[31:32]
	v_cndmask_b32_e32 v9, v34, v9, vcc_lo
	s_delay_alu instid0(VALU_DEP_1)
	v_lshlrev_b32_e32 v32, 2, v9
	ds_bpermute_b32 v9, v32, v11
	ds_bpermute_b32 v10, v32, v12
	ds_bpermute_b32 v19, v32, v21
	ds_bpermute_b32 v20, v32, v22
	ds_bpermute_b32 v25, v32, v17
	ds_bpermute_b32 v26, v32, v18
	ds_bpermute_b32 v27, v32, v23
	ds_bpermute_b32 v28, v32, v24
	ds_bpermute_b32 v29, v32, v13
	ds_bpermute_b32 v30, v32, v14
	ds_bpermute_b32 v31, v32, v15
	ds_bpermute_b32 v32, v32, v16
	s_waitcnt lgkmcnt(10)
	v_add_f64 v[9:10], v[11:12], v[9:10]
	s_waitcnt lgkmcnt(8)
	v_add_f64 v[19:20], v[21:22], v[19:20]
	v_xor_b32_e32 v21, 1, v34
	s_waitcnt lgkmcnt(6)
	v_add_f64 v[11:12], v[17:18], v[25:26]
	s_waitcnt lgkmcnt(4)
	v_add_f64 v[17:18], v[23:24], v[27:28]
	;; [unrolled: 2-line block ×3, first 2 shown]
	v_cmp_gt_i32_e32 vcc_lo, 32, v21
	s_waitcnt lgkmcnt(0)
	v_add_f64 v[15:16], v[15:16], v[31:32]
	v_cndmask_b32_e32 v21, v34, v21, vcc_lo
	v_cmp_eq_u32_e32 vcc_lo, 31, v33
	s_delay_alu instid0(VALU_DEP_2)
	v_lshlrev_b32_e32 v24, 2, v21
	ds_bpermute_b32 v31, v24, v9
	ds_bpermute_b32 v32, v24, v10
	;; [unrolled: 1-line block ×12, first 2 shown]
	s_and_b32 exec_lo, exec_lo, vcc_lo
	s_cbranch_execz .LBB119_25
; %bb.21:
	v_cmp_eq_f64_e32 vcc_lo, 0, v[4:5]
	v_cmp_eq_f64_e64 s0, 0, v[6:7]
	s_waitcnt lgkmcnt(10)
	v_add_f64 v[9:10], v[9:10], v[31:32]
	s_waitcnt lgkmcnt(8)
	v_add_f64 v[19:20], v[19:20], v[29:30]
	s_waitcnt lgkmcnt(6)
	v_add_f64 v[11:12], v[11:12], v[27:28]
	s_waitcnt lgkmcnt(4)
	v_add_f64 v[17:18], v[17:18], v[25:26]
	s_waitcnt lgkmcnt(2)
	v_add_f64 v[13:14], v[13:14], v[21:22]
	s_waitcnt lgkmcnt(0)
	v_add_f64 v[15:16], v[15:16], v[23:24]
	s_load_b64 s[2:3], s[2:3], 0x48
	s_and_b32 s0, vcc_lo, s0
	s_delay_alu instid0(SALU_CYCLE_1) | instskip(NEXT) | instid1(SALU_CYCLE_1)
	s_and_saveexec_b32 s1, s0
	s_xor_b32 s0, exec_lo, s1
	s_cbranch_execz .LBB119_23
; %bb.22:
	v_mul_f64 v[4:5], v[19:20], -v[2:3]
	v_mul_f64 v[6:7], v[0:1], v[19:20]
	v_mul_f64 v[19:20], v[17:18], -v[2:3]
	v_mul_f64 v[17:18], v[0:1], v[17:18]
	v_mul_f64 v[21:22], v[15:16], -v[2:3]
	v_mul_f64 v[15:16], v[0:1], v[15:16]
	v_fma_f64 v[4:5], v[0:1], v[9:10], v[4:5]
	v_fma_f64 v[6:7], v[2:3], v[9:10], v[6:7]
	;; [unrolled: 1-line block ×6, first 2 shown]
	v_lshl_add_u32 v13, v8, 1, v8
                                        ; implicit-def: $vgpr8
                                        ; implicit-def: $vgpr19_vgpr20
                                        ; implicit-def: $vgpr17_vgpr18
                                        ; implicit-def: $vgpr15_vgpr16
	s_delay_alu instid0(VALU_DEP_1) | instskip(NEXT) | instid1(VALU_DEP_1)
	v_ashrrev_i32_e32 v14, 31, v13
	v_lshlrev_b64 v[13:14], 4, v[13:14]
	s_waitcnt lgkmcnt(0)
	s_delay_alu instid0(VALU_DEP_1) | instskip(NEXT) | instid1(VALU_DEP_2)
	v_add_co_u32 v13, vcc_lo, s2, v13
	v_add_co_ci_u32_e32 v14, vcc_lo, s3, v14, vcc_lo
	s_clause 0x2
	global_store_b128 v[13:14], v[4:7], off
	global_store_b128 v[13:14], v[9:12], off offset:16
	global_store_b128 v[13:14], v[0:3], off offset:32
                                        ; implicit-def: $vgpr0_vgpr1
                                        ; implicit-def: $vgpr2_vgpr3
                                        ; implicit-def: $vgpr4_vgpr5
                                        ; implicit-def: $vgpr6_vgpr7
                                        ; implicit-def: $vgpr9_vgpr10
                                        ; implicit-def: $vgpr11_vgpr12
                                        ; implicit-def: $vgpr13_vgpr14
.LBB119_23:
	s_and_not1_saveexec_b32 s0, s0
	s_cbranch_execz .LBB119_25
; %bb.24:
	v_lshl_add_u32 v21, v8, 1, v8
	v_mul_f64 v[35:36], v[19:20], -v[2:3]
	v_mul_f64 v[19:20], v[0:1], v[19:20]
	v_mul_f64 v[37:38], v[17:18], -v[2:3]
	v_mul_f64 v[17:18], v[0:1], v[17:18]
	v_ashrrev_i32_e32 v22, 31, v21
	v_mul_f64 v[39:40], v[15:16], -v[2:3]
	v_mul_f64 v[15:16], v[0:1], v[15:16]
	s_delay_alu instid0(VALU_DEP_3) | instskip(SKIP_1) | instid1(VALU_DEP_1)
	v_lshlrev_b64 v[21:22], 4, v[21:22]
	s_waitcnt lgkmcnt(0)
	v_add_co_u32 v33, vcc_lo, s2, v21
	s_delay_alu instid0(VALU_DEP_2)
	v_add_co_ci_u32_e32 v34, vcc_lo, s3, v22, vcc_lo
	s_clause 0x2
	global_load_b128 v[21:24], v[33:34], off
	global_load_b128 v[25:28], v[33:34], off offset:16
	global_load_b128 v[29:32], v[33:34], off offset:32
	v_fma_f64 v[35:36], v[0:1], v[9:10], v[35:36]
	v_fma_f64 v[8:9], v[2:3], v[9:10], v[19:20]
	;; [unrolled: 1-line block ×6, first 2 shown]
	s_waitcnt vmcnt(2)
	v_fma_f64 v[12:13], v[4:5], v[21:22], v[35:36]
	v_fma_f64 v[8:9], v[6:7], v[21:22], v[8:9]
	s_waitcnt vmcnt(1)
	v_fma_f64 v[14:15], v[4:5], v[25:26], v[19:20]
	v_fma_f64 v[10:11], v[6:7], v[25:26], v[10:11]
	s_waitcnt vmcnt(0)
	v_fma_f64 v[16:17], v[4:5], v[29:30], v[0:1]
	v_fma_f64 v[18:19], v[6:7], v[29:30], v[2:3]
	v_fma_f64 v[0:1], -v[6:7], v[23:24], v[12:13]
	v_fma_f64 v[2:3], v[4:5], v[23:24], v[8:9]
	v_fma_f64 v[8:9], -v[6:7], v[27:28], v[14:15]
	v_fma_f64 v[10:11], v[4:5], v[27:28], v[10:11]
	;; [unrolled: 2-line block ×3, first 2 shown]
	s_clause 0x2
	global_store_b128 v[33:34], v[0:3], off
	global_store_b128 v[33:34], v[8:11], off offset:16
	global_store_b128 v[33:34], v[12:15], off offset:32
.LBB119_25:
	s_nop 0
	s_sendmsg sendmsg(MSG_DEALLOC_VGPRS)
	s_endpgm
	.section	.rodata,"a",@progbits
	.p2align	6, 0x0
	.amdhsa_kernel _ZN9rocsparseL19gebsrmvn_3xn_kernelILj128ELj2ELj32E21rocsparse_complex_numIdEEEvi20rocsparse_direction_NS_24const_host_device_scalarIT2_EEPKiS8_PKS5_SA_S6_PS5_21rocsparse_index_base_b
		.amdhsa_group_segment_fixed_size 2048
		.amdhsa_private_segment_fixed_size 0
		.amdhsa_kernarg_size 88
		.amdhsa_user_sgpr_count 15
		.amdhsa_user_sgpr_dispatch_ptr 1
		.amdhsa_user_sgpr_queue_ptr 0
		.amdhsa_user_sgpr_kernarg_segment_ptr 1
		.amdhsa_user_sgpr_dispatch_id 0
		.amdhsa_user_sgpr_private_segment_size 0
		.amdhsa_wavefront_size32 1
		.amdhsa_uses_dynamic_stack 0
		.amdhsa_enable_private_segment 0
		.amdhsa_system_sgpr_workgroup_id_x 1
		.amdhsa_system_sgpr_workgroup_id_y 0
		.amdhsa_system_sgpr_workgroup_id_z 0
		.amdhsa_system_sgpr_workgroup_info 0
		.amdhsa_system_vgpr_workitem_id 2
		.amdhsa_next_free_vgpr 62
		.amdhsa_next_free_sgpr 18
		.amdhsa_reserve_vcc 1
		.amdhsa_float_round_mode_32 0
		.amdhsa_float_round_mode_16_64 0
		.amdhsa_float_denorm_mode_32 3
		.amdhsa_float_denorm_mode_16_64 3
		.amdhsa_dx10_clamp 1
		.amdhsa_ieee_mode 1
		.amdhsa_fp16_overflow 0
		.amdhsa_workgroup_processor_mode 1
		.amdhsa_memory_ordered 1
		.amdhsa_forward_progress 0
		.amdhsa_shared_vgpr_count 0
		.amdhsa_exception_fp_ieee_invalid_op 0
		.amdhsa_exception_fp_denorm_src 0
		.amdhsa_exception_fp_ieee_div_zero 0
		.amdhsa_exception_fp_ieee_overflow 0
		.amdhsa_exception_fp_ieee_underflow 0
		.amdhsa_exception_fp_ieee_inexact 0
		.amdhsa_exception_int_div_zero 0
	.end_amdhsa_kernel
	.section	.text._ZN9rocsparseL19gebsrmvn_3xn_kernelILj128ELj2ELj32E21rocsparse_complex_numIdEEEvi20rocsparse_direction_NS_24const_host_device_scalarIT2_EEPKiS8_PKS5_SA_S6_PS5_21rocsparse_index_base_b,"axG",@progbits,_ZN9rocsparseL19gebsrmvn_3xn_kernelILj128ELj2ELj32E21rocsparse_complex_numIdEEEvi20rocsparse_direction_NS_24const_host_device_scalarIT2_EEPKiS8_PKS5_SA_S6_PS5_21rocsparse_index_base_b,comdat
.Lfunc_end119:
	.size	_ZN9rocsparseL19gebsrmvn_3xn_kernelILj128ELj2ELj32E21rocsparse_complex_numIdEEEvi20rocsparse_direction_NS_24const_host_device_scalarIT2_EEPKiS8_PKS5_SA_S6_PS5_21rocsparse_index_base_b, .Lfunc_end119-_ZN9rocsparseL19gebsrmvn_3xn_kernelILj128ELj2ELj32E21rocsparse_complex_numIdEEEvi20rocsparse_direction_NS_24const_host_device_scalarIT2_EEPKiS8_PKS5_SA_S6_PS5_21rocsparse_index_base_b
                                        ; -- End function
	.section	.AMDGPU.csdata,"",@progbits
; Kernel info:
; codeLenInByte = 3340
; NumSgprs: 20
; NumVgprs: 62
; ScratchSize: 0
; MemoryBound: 0
; FloatMode: 240
; IeeeMode: 1
; LDSByteSize: 2048 bytes/workgroup (compile time only)
; SGPRBlocks: 2
; VGPRBlocks: 7
; NumSGPRsForWavesPerEU: 20
; NumVGPRsForWavesPerEU: 62
; Occupancy: 16
; WaveLimiterHint : 1
; COMPUTE_PGM_RSRC2:SCRATCH_EN: 0
; COMPUTE_PGM_RSRC2:USER_SGPR: 15
; COMPUTE_PGM_RSRC2:TRAP_HANDLER: 0
; COMPUTE_PGM_RSRC2:TGID_X_EN: 1
; COMPUTE_PGM_RSRC2:TGID_Y_EN: 0
; COMPUTE_PGM_RSRC2:TGID_Z_EN: 0
; COMPUTE_PGM_RSRC2:TIDIG_COMP_CNT: 2
	.section	.text._ZN9rocsparseL19gebsrmvn_3xn_kernelILj128ELj2ELj64E21rocsparse_complex_numIdEEEvi20rocsparse_direction_NS_24const_host_device_scalarIT2_EEPKiS8_PKS5_SA_S6_PS5_21rocsparse_index_base_b,"axG",@progbits,_ZN9rocsparseL19gebsrmvn_3xn_kernelILj128ELj2ELj64E21rocsparse_complex_numIdEEEvi20rocsparse_direction_NS_24const_host_device_scalarIT2_EEPKiS8_PKS5_SA_S6_PS5_21rocsparse_index_base_b,comdat
	.globl	_ZN9rocsparseL19gebsrmvn_3xn_kernelILj128ELj2ELj64E21rocsparse_complex_numIdEEEvi20rocsparse_direction_NS_24const_host_device_scalarIT2_EEPKiS8_PKS5_SA_S6_PS5_21rocsparse_index_base_b ; -- Begin function _ZN9rocsparseL19gebsrmvn_3xn_kernelILj128ELj2ELj64E21rocsparse_complex_numIdEEEvi20rocsparse_direction_NS_24const_host_device_scalarIT2_EEPKiS8_PKS5_SA_S6_PS5_21rocsparse_index_base_b
	.p2align	8
	.type	_ZN9rocsparseL19gebsrmvn_3xn_kernelILj128ELj2ELj64E21rocsparse_complex_numIdEEEvi20rocsparse_direction_NS_24const_host_device_scalarIT2_EEPKiS8_PKS5_SA_S6_PS5_21rocsparse_index_base_b,@function
_ZN9rocsparseL19gebsrmvn_3xn_kernelILj128ELj2ELj64E21rocsparse_complex_numIdEEEvi20rocsparse_direction_NS_24const_host_device_scalarIT2_EEPKiS8_PKS5_SA_S6_PS5_21rocsparse_index_base_b: ; @_ZN9rocsparseL19gebsrmvn_3xn_kernelILj128ELj2ELj64E21rocsparse_complex_numIdEEEvi20rocsparse_direction_NS_24const_host_device_scalarIT2_EEPKiS8_PKS5_SA_S6_PS5_21rocsparse_index_base_b
; %bb.0:
	s_load_b64 s[12:13], s[2:3], 0x50
	s_load_b64 s[16:17], s[0:1], 0x4
	s_load_b128 s[8:11], s[2:3], 0x8
	v_bfe_u32 v1, v0, 10, 10
	s_mov_b64 s[0:1], src_shared_base
	s_load_b128 s[4:7], s[2:3], 0x38
	v_and_b32_e32 v10, 0x3ff, v0
	v_bfe_u32 v0, v0, 20, 10
	s_waitcnt lgkmcnt(0)
	s_bitcmp1_b32 s13, 0
	v_mul_u32_u24_e32 v1, s17, v1
	s_cselect_b32 s0, -1, 0
	s_delay_alu instid0(SALU_CYCLE_1)
	s_and_b32 vcc_lo, s0, exec_lo
	s_cselect_b32 s13, s1, s9
	s_lshr_b32 s14, s16, 16
	v_dual_mov_b32 v2, s4 :: v_dual_mov_b32 v3, s5
	s_mul_i32 s14, s14, s17
	v_mov_b32_e32 v6, s13
	v_mad_u32_u24 v1, s14, v10, v1
	s_delay_alu instid0(VALU_DEP_1) | instskip(SKIP_1) | instid1(VALU_DEP_2)
	v_add_lshl_u32 v4, v1, v0, 3
	v_dual_mov_b32 v0, s8 :: v_dual_mov_b32 v1, s9
	v_add_nc_u32_e32 v5, 0x400, v4
	ds_store_2addr_stride64_b64 v4, v[2:3], v[0:1] offset1:2
	v_dual_mov_b32 v2, s10 :: v_dual_mov_b32 v3, s11
	v_cndmask_b32_e64 v5, s8, v5, s0
	s_xor_b32 s10, s0, -1
	flat_load_b64 v[0:1], v[5:6]
	s_cbranch_vccnz .LBB120_2
; %bb.1:
	v_dual_mov_b32 v2, s8 :: v_dual_mov_b32 v3, s9
	flat_load_b64 v[2:3], v[2:3] offset:8
.LBB120_2:
	s_and_b32 s8, s0, exec_lo
	s_cselect_b32 s1, s1, s5
	v_cndmask_b32_e64 v4, s4, v4, s0
	v_dual_mov_b32 v5, s1 :: v_dual_mov_b32 v6, s6
	v_mov_b32_e32 v7, s7
	s_and_not1_b32 vcc_lo, exec_lo, s10
	flat_load_b64 v[4:5], v[4:5]
	s_cbranch_vccnz .LBB120_4
; %bb.3:
	v_dual_mov_b32 v7, s5 :: v_dual_mov_b32 v6, s4
	flat_load_b64 v[6:7], v[6:7] offset:8
.LBB120_4:
	s_waitcnt vmcnt(1) lgkmcnt(1)
	v_cmp_eq_f64_e32 vcc_lo, 0, v[0:1]
	v_cmp_eq_f64_e64 s0, 0, v[2:3]
	s_delay_alu instid0(VALU_DEP_1)
	s_and_b32 s4, vcc_lo, s0
	s_mov_b32 s0, -1
	s_and_saveexec_b32 s1, s4
	s_cbranch_execz .LBB120_6
; %bb.5:
	s_waitcnt vmcnt(0) lgkmcnt(0)
	v_cmp_neq_f64_e32 vcc_lo, 1.0, v[4:5]
	v_cmp_neq_f64_e64 s0, 0, v[6:7]
	s_delay_alu instid0(VALU_DEP_1) | instskip(NEXT) | instid1(SALU_CYCLE_1)
	s_or_b32 s0, vcc_lo, s0
	s_or_not1_b32 s0, s0, exec_lo
.LBB120_6:
	s_or_b32 exec_lo, exec_lo, s1
	s_and_saveexec_b32 s1, s0
	s_cbranch_execz .LBB120_25
; %bb.7:
	s_load_b64 s[0:1], s[2:3], 0x0
	v_lshrrev_b32_e32 v8, 6, v10
	s_delay_alu instid0(VALU_DEP_1) | instskip(SKIP_1) | instid1(VALU_DEP_1)
	v_lshl_or_b32 v8, s15, 1, v8
	s_waitcnt lgkmcnt(0)
	v_cmp_gt_i32_e32 vcc_lo, s0, v8
	s_and_b32 exec_lo, exec_lo, vcc_lo
	s_cbranch_execz .LBB120_25
; %bb.8:
	s_load_b256 s[4:11], s[2:3], 0x18
	v_ashrrev_i32_e32 v9, 31, v8
	v_and_b32_e32 v33, 63, v10
	s_cmp_lg_u32 s1, 0
	s_delay_alu instid0(VALU_DEP_2) | instskip(SKIP_1) | instid1(VALU_DEP_1)
	v_lshlrev_b64 v[11:12], 2, v[8:9]
	s_waitcnt lgkmcnt(0)
	v_add_co_u32 v11, vcc_lo, s4, v11
	s_delay_alu instid0(VALU_DEP_2) | instskip(SKIP_4) | instid1(VALU_DEP_2)
	v_add_co_ci_u32_e32 v12, vcc_lo, s5, v12, vcc_lo
	global_load_b64 v[11:12], v[11:12], off
	s_waitcnt vmcnt(0)
	v_subrev_nc_u32_e32 v9, s12, v11
	v_subrev_nc_u32_e32 v27, s12, v12
	v_add_nc_u32_e32 v21, v9, v33
	s_delay_alu instid0(VALU_DEP_1)
	v_cmp_lt_i32_e64 s0, v21, v27
	s_cbranch_scc0 .LBB120_14
; %bb.9:
	v_mov_b32_e32 v9, 0
	v_mov_b32_e32 v10, 0
	s_delay_alu instid0(VALU_DEP_1)
	v_dual_mov_b32 v12, v10 :: v_dual_mov_b32 v11, v9
	v_dual_mov_b32 v14, v10 :: v_dual_mov_b32 v13, v9
	;; [unrolled: 1-line block ×5, first 2 shown]
	s_and_saveexec_b32 s1, s0
	s_cbranch_execz .LBB120_13
; %bb.10:
	v_dual_mov_b32 v9, 0 :: v_dual_mov_b32 v24, 0
	v_dual_mov_b32 v10, 0 :: v_dual_mov_b32 v25, v21
	v_mad_u64_u32 v[22:23], null, v21, 6, 5
	s_mov_b32 s4, 0
	s_delay_alu instid0(VALU_DEP_2)
	v_dual_mov_b32 v12, v10 :: v_dual_mov_b32 v11, v9
	v_dual_mov_b32 v14, v10 :: v_dual_mov_b32 v13, v9
	v_dual_mov_b32 v16, v10 :: v_dual_mov_b32 v15, v9
	v_dual_mov_b32 v18, v10 :: v_dual_mov_b32 v17, v9
	v_dual_mov_b32 v20, v10 :: v_dual_mov_b32 v19, v9
.LBB120_11:                             ; =>This Inner Loop Header: Depth=1
	v_ashrrev_i32_e32 v26, 31, v25
	v_add_nc_u32_e32 v23, -5, v22
	s_delay_alu instid0(VALU_DEP_2) | instskip(SKIP_1) | instid1(VALU_DEP_2)
	v_lshlrev_b64 v[28:29], 2, v[25:26]
	v_add_nc_u32_e32 v25, 64, v25
	v_add_co_u32 v28, vcc_lo, s6, v28
	s_delay_alu instid0(VALU_DEP_3) | instskip(SKIP_3) | instid1(VALU_DEP_1)
	v_add_co_ci_u32_e32 v29, vcc_lo, s7, v29, vcc_lo
	global_load_b32 v26, v[28:29], off
	v_lshlrev_b64 v[28:29], 4, v[23:24]
	v_add_nc_u32_e32 v23, -3, v22
	v_lshlrev_b64 v[30:31], 4, v[23:24]
	s_delay_alu instid0(VALU_DEP_3) | instskip(NEXT) | instid1(VALU_DEP_4)
	v_add_co_u32 v34, vcc_lo, s8, v28
	v_add_co_ci_u32_e32 v35, vcc_lo, s9, v29, vcc_lo
	s_delay_alu instid0(VALU_DEP_3) | instskip(NEXT) | instid1(VALU_DEP_4)
	v_add_co_u32 v38, vcc_lo, s8, v30
	v_add_co_ci_u32_e32 v39, vcc_lo, s9, v31, vcc_lo
	s_clause 0x2
	global_load_b128 v[28:31], v[34:35], off offset:16
	global_load_b128 v[34:37], v[34:35], off
	global_load_b128 v[38:41], v[38:39], off
	s_waitcnt vmcnt(3)
	v_subrev_nc_u32_e32 v23, s12, v26
	s_delay_alu instid0(VALU_DEP_1) | instskip(SKIP_1) | instid1(VALU_DEP_2)
	v_dual_mov_b32 v43, v24 :: v_dual_lshlrev_b32 v42, 1, v23
	v_mov_b32_e32 v23, v24
	v_lshlrev_b64 v[42:43], 4, v[42:43]
	s_delay_alu instid0(VALU_DEP_2) | instskip(SKIP_1) | instid1(VALU_DEP_3)
	v_lshlrev_b64 v[50:51], 4, v[22:23]
	v_add_nc_u32_e32 v23, -2, v22
	v_add_co_u32 v46, vcc_lo, s10, v42
	s_delay_alu instid0(VALU_DEP_4) | instskip(NEXT) | instid1(VALU_DEP_4)
	v_add_co_ci_u32_e32 v47, vcc_lo, s11, v43, vcc_lo
	v_add_co_u32 v58, vcc_lo, s8, v50
	v_add_co_ci_u32_e32 v59, vcc_lo, s9, v51, vcc_lo
	s_clause 0x1
	global_load_b128 v[42:45], v[46:47], off
	global_load_b128 v[46:49], v[46:47], off offset:16
	v_lshlrev_b64 v[50:51], 4, v[23:24]
	v_add_nc_u32_e32 v23, -1, v22
	v_add_nc_u32_e32 v22, 0x180, v22
	s_delay_alu instid0(VALU_DEP_2) | instskip(NEXT) | instid1(VALU_DEP_4)
	v_lshlrev_b64 v[52:53], 4, v[23:24]
	v_add_co_u32 v50, vcc_lo, s8, v50
	v_add_co_ci_u32_e32 v51, vcc_lo, s9, v51, vcc_lo
	s_delay_alu instid0(VALU_DEP_3) | instskip(NEXT) | instid1(VALU_DEP_4)
	v_add_co_u32 v54, vcc_lo, s8, v52
	v_add_co_ci_u32_e32 v55, vcc_lo, s9, v53, vcc_lo
	s_clause 0x2
	global_load_b128 v[50:53], v[50:51], off
	global_load_b128 v[54:57], v[54:55], off
	global_load_b128 v[58:61], v[58:59], off
	v_cmp_ge_i32_e32 vcc_lo, v25, v27
	s_or_b32 s4, vcc_lo, s4
	s_waitcnt vmcnt(4)
	v_fma_f64 v[11:12], v[34:35], v[42:43], v[11:12]
	v_fma_f64 v[9:10], v[36:37], v[42:43], v[9:10]
	;; [unrolled: 1-line block ×6, first 2 shown]
	v_fma_f64 v[11:12], -v[36:37], v[44:45], v[11:12]
	v_fma_f64 v[9:10], v[34:35], v[44:45], v[9:10]
	v_fma_f64 v[17:18], -v[30:31], v[44:45], v[17:18]
	v_fma_f64 v[19:20], v[28:29], v[44:45], v[19:20]
	;; [unrolled: 2-line block ×3, first 2 shown]
	s_waitcnt vmcnt(2)
	v_fma_f64 v[11:12], v[50:51], v[46:47], v[11:12]
	v_fma_f64 v[9:10], v[52:53], v[46:47], v[9:10]
	s_waitcnt vmcnt(1)
	v_fma_f64 v[17:18], v[54:55], v[46:47], v[17:18]
	v_fma_f64 v[19:20], v[56:57], v[46:47], v[19:20]
	;; [unrolled: 3-line block ×3, first 2 shown]
	v_fma_f64 v[11:12], -v[52:53], v[48:49], v[11:12]
	v_fma_f64 v[9:10], v[50:51], v[48:49], v[9:10]
	v_fma_f64 v[17:18], -v[56:57], v[48:49], v[17:18]
	v_fma_f64 v[19:20], v[54:55], v[48:49], v[19:20]
	;; [unrolled: 2-line block ×3, first 2 shown]
	s_and_not1_b32 exec_lo, exec_lo, s4
	s_cbranch_execnz .LBB120_11
; %bb.12:
	s_or_b32 exec_lo, exec_lo, s4
.LBB120_13:
	s_delay_alu instid0(SALU_CYCLE_1)
	s_or_b32 exec_lo, exec_lo, s1
	s_cbranch_execz .LBB120_15
	s_branch .LBB120_20
.LBB120_14:
                                        ; implicit-def: $vgpr9_vgpr10
                                        ; implicit-def: $vgpr11_vgpr12
                                        ; implicit-def: $vgpr13_vgpr14
                                        ; implicit-def: $vgpr15_vgpr16
                                        ; implicit-def: $vgpr17_vgpr18
                                        ; implicit-def: $vgpr19_vgpr20
.LBB120_15:
	v_mov_b32_e32 v9, 0
	v_mov_b32_e32 v10, 0
	s_delay_alu instid0(VALU_DEP_1)
	v_dual_mov_b32 v12, v10 :: v_dual_mov_b32 v11, v9
	v_dual_mov_b32 v14, v10 :: v_dual_mov_b32 v13, v9
	;; [unrolled: 1-line block ×5, first 2 shown]
	s_and_saveexec_b32 s1, s0
	s_cbranch_execz .LBB120_19
; %bb.16:
	v_dual_mov_b32 v9, 0 :: v_dual_mov_b32 v26, 0
	v_mov_b32_e32 v10, 0
	v_mad_u64_u32 v[23:24], null, v21, 6, 5
	s_mov_b32 s0, 0
	s_delay_alu instid0(VALU_DEP_2)
	v_dual_mov_b32 v12, v10 :: v_dual_mov_b32 v11, v9
	v_dual_mov_b32 v14, v10 :: v_dual_mov_b32 v13, v9
	;; [unrolled: 1-line block ×5, first 2 shown]
.LBB120_17:                             ; =>This Inner Loop Header: Depth=1
	v_ashrrev_i32_e32 v22, 31, v21
	v_dual_mov_b32 v47, v26 :: v_dual_add_nc_u32 v28, -3, v23
	v_dual_mov_b32 v29, v26 :: v_dual_add_nc_u32 v30, -1, v23
	s_delay_alu instid0(VALU_DEP_3) | instskip(SKIP_1) | instid1(VALU_DEP_3)
	v_lshlrev_b64 v[24:25], 2, v[21:22]
	v_add_nc_u32_e32 v21, 64, v21
	v_lshlrev_b64 v[28:29], 4, v[28:29]
	s_delay_alu instid0(VALU_DEP_3) | instskip(NEXT) | instid1(VALU_DEP_4)
	v_add_co_u32 v24, vcc_lo, s6, v24
	v_add_co_ci_u32_e32 v25, vcc_lo, s7, v25, vcc_lo
	global_load_b32 v22, v[24:25], off
	v_add_nc_u32_e32 v25, -5, v23
	s_delay_alu instid0(VALU_DEP_1) | instskip(NEXT) | instid1(VALU_DEP_1)
	v_lshlrev_b64 v[24:25], 4, v[25:26]
	v_add_co_u32 v24, vcc_lo, s8, v24
	s_delay_alu instid0(VALU_DEP_2) | instskip(SKIP_4) | instid1(VALU_DEP_1)
	v_add_co_ci_u32_e32 v25, vcc_lo, s9, v25, vcc_lo
	v_add_co_u32 v38, vcc_lo, s8, v28
	v_add_co_ci_u32_e32 v39, vcc_lo, s9, v29, vcc_lo
	s_waitcnt vmcnt(0)
	v_subrev_nc_u32_e32 v22, s12, v22
	v_dual_mov_b32 v31, v26 :: v_dual_lshlrev_b32 v46, 1, v22
	s_delay_alu instid0(VALU_DEP_1) | instskip(NEXT) | instid1(VALU_DEP_1)
	v_lshlrev_b64 v[30:31], 4, v[30:31]
	v_add_co_u32 v42, vcc_lo, s8, v30
	s_delay_alu instid0(VALU_DEP_2)
	v_add_co_ci_u32_e32 v43, vcc_lo, s9, v31, vcc_lo
	s_clause 0x3
	global_load_b128 v[28:31], v[24:25], off offset:16
	global_load_b128 v[34:37], v[24:25], off
	global_load_b128 v[38:41], v[38:39], off
	;; [unrolled: 1-line block ×3, first 2 shown]
	v_lshlrev_b64 v[24:25], 4, v[46:47]
	s_delay_alu instid0(VALU_DEP_1) | instskip(NEXT) | instid1(VALU_DEP_2)
	v_add_co_u32 v24, vcc_lo, s10, v24
	v_add_co_ci_u32_e32 v25, vcc_lo, s11, v25, vcc_lo
	s_clause 0x1
	global_load_b128 v[46:49], v[24:25], off
	global_load_b128 v[50:53], v[24:25], off offset:16
	v_dual_mov_b32 v24, v26 :: v_dual_add_nc_u32 v25, -2, v23
	s_delay_alu instid0(VALU_DEP_1) | instskip(NEXT) | instid1(VALU_DEP_2)
	v_lshlrev_b64 v[54:55], 4, v[23:24]
	v_lshlrev_b64 v[24:25], 4, v[25:26]
	v_add_nc_u32_e32 v23, 0x180, v23
	s_delay_alu instid0(VALU_DEP_3) | instskip(NEXT) | instid1(VALU_DEP_4)
	v_add_co_u32 v58, vcc_lo, s8, v54
	v_add_co_ci_u32_e32 v59, vcc_lo, s9, v55, vcc_lo
	s_delay_alu instid0(VALU_DEP_4)
	v_add_co_u32 v24, vcc_lo, s8, v24
	v_add_co_ci_u32_e32 v25, vcc_lo, s9, v25, vcc_lo
	s_clause 0x1
	global_load_b128 v[54:57], v[24:25], off
	global_load_b128 v[58:61], v[58:59], off
	v_cmp_ge_i32_e32 vcc_lo, v21, v27
	s_or_b32 s0, vcc_lo, s0
	s_waitcnt vmcnt(3)
	v_fma_f64 v[11:12], v[34:35], v[46:47], v[11:12]
	v_fma_f64 v[9:10], v[36:37], v[46:47], v[9:10]
	;; [unrolled: 1-line block ×6, first 2 shown]
	v_fma_f64 v[11:12], -v[36:37], v[48:49], v[11:12]
	v_fma_f64 v[9:10], v[34:35], v[48:49], v[9:10]
	v_fma_f64 v[17:18], -v[40:41], v[48:49], v[17:18]
	v_fma_f64 v[19:20], v[38:39], v[48:49], v[19:20]
	;; [unrolled: 2-line block ×3, first 2 shown]
	s_waitcnt vmcnt(2)
	v_fma_f64 v[11:12], v[28:29], v[50:51], v[11:12]
	v_fma_f64 v[9:10], v[30:31], v[50:51], v[9:10]
	s_waitcnt vmcnt(1)
	v_fma_f64 v[17:18], v[54:55], v[50:51], v[17:18]
	v_fma_f64 v[19:20], v[56:57], v[50:51], v[19:20]
	;; [unrolled: 3-line block ×3, first 2 shown]
	v_fma_f64 v[11:12], -v[30:31], v[52:53], v[11:12]
	v_fma_f64 v[9:10], v[28:29], v[52:53], v[9:10]
	v_fma_f64 v[17:18], -v[56:57], v[52:53], v[17:18]
	v_fma_f64 v[19:20], v[54:55], v[52:53], v[19:20]
	;; [unrolled: 2-line block ×3, first 2 shown]
	s_and_not1_b32 exec_lo, exec_lo, s0
	s_cbranch_execnz .LBB120_17
; %bb.18:
	s_or_b32 exec_lo, exec_lo, s0
.LBB120_19:
	s_delay_alu instid0(SALU_CYCLE_1)
	s_or_b32 exec_lo, exec_lo, s1
.LBB120_20:
	v_mbcnt_lo_u32_b32 v34, -1, 0
	s_delay_alu instid0(VALU_DEP_1) | instskip(NEXT) | instid1(VALU_DEP_1)
	v_or_b32_e32 v21, 32, v34
	v_cmp_gt_i32_e32 vcc_lo, 32, v21
	v_cndmask_b32_e32 v21, v34, v21, vcc_lo
	s_delay_alu instid0(VALU_DEP_1)
	v_lshlrev_b32_e32 v32, 2, v21
	ds_bpermute_b32 v21, v32, v11
	ds_bpermute_b32 v22, v32, v12
	ds_bpermute_b32 v23, v32, v9
	ds_bpermute_b32 v24, v32, v10
	ds_bpermute_b32 v25, v32, v17
	ds_bpermute_b32 v26, v32, v18
	ds_bpermute_b32 v27, v32, v19
	ds_bpermute_b32 v28, v32, v20
	ds_bpermute_b32 v29, v32, v13
	ds_bpermute_b32 v30, v32, v14
	ds_bpermute_b32 v31, v32, v15
	ds_bpermute_b32 v32, v32, v16
	s_waitcnt lgkmcnt(10)
	v_add_f64 v[11:12], v[11:12], v[21:22]
	v_xor_b32_e32 v21, 16, v34
	s_waitcnt lgkmcnt(8)
	v_add_f64 v[9:10], v[9:10], v[23:24]
	s_waitcnt lgkmcnt(6)
	v_add_f64 v[17:18], v[17:18], v[25:26]
	s_waitcnt lgkmcnt(4)
	v_add_f64 v[19:20], v[19:20], v[27:28]
	v_cmp_gt_i32_e32 vcc_lo, 32, v21
	s_waitcnt lgkmcnt(2)
	v_add_f64 v[13:14], v[13:14], v[29:30]
	s_waitcnt lgkmcnt(0)
	v_add_f64 v[15:16], v[15:16], v[31:32]
	v_cndmask_b32_e32 v21, v34, v21, vcc_lo
	s_delay_alu instid0(VALU_DEP_1)
	v_lshlrev_b32_e32 v32, 2, v21
	ds_bpermute_b32 v21, v32, v11
	ds_bpermute_b32 v22, v32, v12
	ds_bpermute_b32 v23, v32, v9
	ds_bpermute_b32 v24, v32, v10
	ds_bpermute_b32 v25, v32, v17
	ds_bpermute_b32 v26, v32, v18
	ds_bpermute_b32 v27, v32, v19
	ds_bpermute_b32 v28, v32, v20
	ds_bpermute_b32 v29, v32, v13
	ds_bpermute_b32 v30, v32, v14
	ds_bpermute_b32 v31, v32, v15
	ds_bpermute_b32 v32, v32, v16
	s_waitcnt lgkmcnt(10)
	v_add_f64 v[11:12], v[11:12], v[21:22]
	v_xor_b32_e32 v21, 8, v34
	s_waitcnt lgkmcnt(8)
	v_add_f64 v[9:10], v[9:10], v[23:24]
	s_waitcnt lgkmcnt(6)
	v_add_f64 v[17:18], v[17:18], v[25:26]
	s_waitcnt lgkmcnt(4)
	v_add_f64 v[19:20], v[19:20], v[27:28]
	v_cmp_gt_i32_e32 vcc_lo, 32, v21
	s_waitcnt lgkmcnt(2)
	v_add_f64 v[13:14], v[13:14], v[29:30]
	s_waitcnt lgkmcnt(0)
	v_add_f64 v[15:16], v[15:16], v[31:32]
	;; [unrolled: 29-line block ×3, first 2 shown]
	v_cndmask_b32_e32 v21, v34, v21, vcc_lo
	s_delay_alu instid0(VALU_DEP_1)
	v_lshlrev_b32_e32 v32, 2, v21
	ds_bpermute_b32 v21, v32, v11
	ds_bpermute_b32 v22, v32, v12
	;; [unrolled: 1-line block ×12, first 2 shown]
	s_waitcnt lgkmcnt(10)
	v_add_f64 v[11:12], v[11:12], v[21:22]
	s_waitcnt lgkmcnt(8)
	v_add_f64 v[21:22], v[9:10], v[23:24]
	v_xor_b32_e32 v9, 2, v34
	s_waitcnt lgkmcnt(6)
	v_add_f64 v[17:18], v[17:18], v[25:26]
	s_waitcnt lgkmcnt(4)
	v_add_f64 v[23:24], v[19:20], v[27:28]
	;; [unrolled: 2-line block ×3, first 2 shown]
	v_cmp_gt_i32_e32 vcc_lo, 32, v9
	s_waitcnt lgkmcnt(0)
	v_add_f64 v[15:16], v[15:16], v[31:32]
	v_cndmask_b32_e32 v9, v34, v9, vcc_lo
	s_delay_alu instid0(VALU_DEP_1)
	v_lshlrev_b32_e32 v32, 2, v9
	ds_bpermute_b32 v9, v32, v11
	ds_bpermute_b32 v10, v32, v12
	;; [unrolled: 1-line block ×12, first 2 shown]
	s_waitcnt lgkmcnt(10)
	v_add_f64 v[9:10], v[11:12], v[9:10]
	s_waitcnt lgkmcnt(8)
	v_add_f64 v[19:20], v[21:22], v[19:20]
	v_xor_b32_e32 v21, 1, v34
	s_waitcnt lgkmcnt(6)
	v_add_f64 v[11:12], v[17:18], v[25:26]
	s_waitcnt lgkmcnt(4)
	v_add_f64 v[17:18], v[23:24], v[27:28]
	;; [unrolled: 2-line block ×3, first 2 shown]
	v_cmp_gt_i32_e32 vcc_lo, 32, v21
	s_waitcnt lgkmcnt(0)
	v_add_f64 v[15:16], v[15:16], v[31:32]
	v_cndmask_b32_e32 v21, v34, v21, vcc_lo
	v_cmp_eq_u32_e32 vcc_lo, 63, v33
	s_delay_alu instid0(VALU_DEP_2)
	v_lshlrev_b32_e32 v24, 2, v21
	ds_bpermute_b32 v31, v24, v9
	ds_bpermute_b32 v32, v24, v10
	;; [unrolled: 1-line block ×12, first 2 shown]
	s_and_b32 exec_lo, exec_lo, vcc_lo
	s_cbranch_execz .LBB120_25
; %bb.21:
	v_cmp_eq_f64_e32 vcc_lo, 0, v[4:5]
	v_cmp_eq_f64_e64 s0, 0, v[6:7]
	s_waitcnt lgkmcnt(10)
	v_add_f64 v[9:10], v[9:10], v[31:32]
	s_waitcnt lgkmcnt(8)
	v_add_f64 v[19:20], v[19:20], v[29:30]
	;; [unrolled: 2-line block ×6, first 2 shown]
	s_load_b64 s[2:3], s[2:3], 0x48
	s_and_b32 s0, vcc_lo, s0
	s_delay_alu instid0(SALU_CYCLE_1) | instskip(NEXT) | instid1(SALU_CYCLE_1)
	s_and_saveexec_b32 s1, s0
	s_xor_b32 s0, exec_lo, s1
	s_cbranch_execz .LBB120_23
; %bb.22:
	v_mul_f64 v[4:5], v[19:20], -v[2:3]
	v_mul_f64 v[6:7], v[0:1], v[19:20]
	v_mul_f64 v[19:20], v[17:18], -v[2:3]
	v_mul_f64 v[17:18], v[0:1], v[17:18]
	;; [unrolled: 2-line block ×3, first 2 shown]
	v_fma_f64 v[4:5], v[0:1], v[9:10], v[4:5]
	v_fma_f64 v[6:7], v[2:3], v[9:10], v[6:7]
	;; [unrolled: 1-line block ×6, first 2 shown]
	v_lshl_add_u32 v13, v8, 1, v8
                                        ; implicit-def: $vgpr8
                                        ; implicit-def: $vgpr19_vgpr20
                                        ; implicit-def: $vgpr17_vgpr18
                                        ; implicit-def: $vgpr15_vgpr16
	s_delay_alu instid0(VALU_DEP_1) | instskip(NEXT) | instid1(VALU_DEP_1)
	v_ashrrev_i32_e32 v14, 31, v13
	v_lshlrev_b64 v[13:14], 4, v[13:14]
	s_waitcnt lgkmcnt(0)
	s_delay_alu instid0(VALU_DEP_1) | instskip(NEXT) | instid1(VALU_DEP_2)
	v_add_co_u32 v13, vcc_lo, s2, v13
	v_add_co_ci_u32_e32 v14, vcc_lo, s3, v14, vcc_lo
	s_clause 0x2
	global_store_b128 v[13:14], v[4:7], off
	global_store_b128 v[13:14], v[9:12], off offset:16
	global_store_b128 v[13:14], v[0:3], off offset:32
                                        ; implicit-def: $vgpr0_vgpr1
                                        ; implicit-def: $vgpr2_vgpr3
                                        ; implicit-def: $vgpr4_vgpr5
                                        ; implicit-def: $vgpr6_vgpr7
                                        ; implicit-def: $vgpr9_vgpr10
                                        ; implicit-def: $vgpr11_vgpr12
                                        ; implicit-def: $vgpr13_vgpr14
.LBB120_23:
	s_and_not1_saveexec_b32 s0, s0
	s_cbranch_execz .LBB120_25
; %bb.24:
	v_lshl_add_u32 v21, v8, 1, v8
	v_mul_f64 v[35:36], v[19:20], -v[2:3]
	v_mul_f64 v[19:20], v[0:1], v[19:20]
	v_mul_f64 v[37:38], v[17:18], -v[2:3]
	v_mul_f64 v[17:18], v[0:1], v[17:18]
	v_ashrrev_i32_e32 v22, 31, v21
	v_mul_f64 v[39:40], v[15:16], -v[2:3]
	v_mul_f64 v[15:16], v[0:1], v[15:16]
	s_delay_alu instid0(VALU_DEP_3) | instskip(SKIP_1) | instid1(VALU_DEP_1)
	v_lshlrev_b64 v[21:22], 4, v[21:22]
	s_waitcnt lgkmcnt(0)
	v_add_co_u32 v33, vcc_lo, s2, v21
	s_delay_alu instid0(VALU_DEP_2)
	v_add_co_ci_u32_e32 v34, vcc_lo, s3, v22, vcc_lo
	s_clause 0x2
	global_load_b128 v[21:24], v[33:34], off
	global_load_b128 v[25:28], v[33:34], off offset:16
	global_load_b128 v[29:32], v[33:34], off offset:32
	v_fma_f64 v[35:36], v[0:1], v[9:10], v[35:36]
	v_fma_f64 v[8:9], v[2:3], v[9:10], v[19:20]
	;; [unrolled: 1-line block ×6, first 2 shown]
	s_waitcnt vmcnt(2)
	v_fma_f64 v[12:13], v[4:5], v[21:22], v[35:36]
	v_fma_f64 v[8:9], v[6:7], v[21:22], v[8:9]
	s_waitcnt vmcnt(1)
	v_fma_f64 v[14:15], v[4:5], v[25:26], v[19:20]
	v_fma_f64 v[10:11], v[6:7], v[25:26], v[10:11]
	;; [unrolled: 3-line block ×3, first 2 shown]
	v_fma_f64 v[0:1], -v[6:7], v[23:24], v[12:13]
	v_fma_f64 v[2:3], v[4:5], v[23:24], v[8:9]
	v_fma_f64 v[8:9], -v[6:7], v[27:28], v[14:15]
	v_fma_f64 v[10:11], v[4:5], v[27:28], v[10:11]
	;; [unrolled: 2-line block ×3, first 2 shown]
	s_clause 0x2
	global_store_b128 v[33:34], v[0:3], off
	global_store_b128 v[33:34], v[8:11], off offset:16
	global_store_b128 v[33:34], v[12:15], off offset:32
.LBB120_25:
	s_nop 0
	s_sendmsg sendmsg(MSG_DEALLOC_VGPRS)
	s_endpgm
	.section	.rodata,"a",@progbits
	.p2align	6, 0x0
	.amdhsa_kernel _ZN9rocsparseL19gebsrmvn_3xn_kernelILj128ELj2ELj64E21rocsparse_complex_numIdEEEvi20rocsparse_direction_NS_24const_host_device_scalarIT2_EEPKiS8_PKS5_SA_S6_PS5_21rocsparse_index_base_b
		.amdhsa_group_segment_fixed_size 2048
		.amdhsa_private_segment_fixed_size 0
		.amdhsa_kernarg_size 88
		.amdhsa_user_sgpr_count 15
		.amdhsa_user_sgpr_dispatch_ptr 1
		.amdhsa_user_sgpr_queue_ptr 0
		.amdhsa_user_sgpr_kernarg_segment_ptr 1
		.amdhsa_user_sgpr_dispatch_id 0
		.amdhsa_user_sgpr_private_segment_size 0
		.amdhsa_wavefront_size32 1
		.amdhsa_uses_dynamic_stack 0
		.amdhsa_enable_private_segment 0
		.amdhsa_system_sgpr_workgroup_id_x 1
		.amdhsa_system_sgpr_workgroup_id_y 0
		.amdhsa_system_sgpr_workgroup_id_z 0
		.amdhsa_system_sgpr_workgroup_info 0
		.amdhsa_system_vgpr_workitem_id 2
		.amdhsa_next_free_vgpr 62
		.amdhsa_next_free_sgpr 18
		.amdhsa_reserve_vcc 1
		.amdhsa_float_round_mode_32 0
		.amdhsa_float_round_mode_16_64 0
		.amdhsa_float_denorm_mode_32 3
		.amdhsa_float_denorm_mode_16_64 3
		.amdhsa_dx10_clamp 1
		.amdhsa_ieee_mode 1
		.amdhsa_fp16_overflow 0
		.amdhsa_workgroup_processor_mode 1
		.amdhsa_memory_ordered 1
		.amdhsa_forward_progress 0
		.amdhsa_shared_vgpr_count 0
		.amdhsa_exception_fp_ieee_invalid_op 0
		.amdhsa_exception_fp_denorm_src 0
		.amdhsa_exception_fp_ieee_div_zero 0
		.amdhsa_exception_fp_ieee_overflow 0
		.amdhsa_exception_fp_ieee_underflow 0
		.amdhsa_exception_fp_ieee_inexact 0
		.amdhsa_exception_int_div_zero 0
	.end_amdhsa_kernel
	.section	.text._ZN9rocsparseL19gebsrmvn_3xn_kernelILj128ELj2ELj64E21rocsparse_complex_numIdEEEvi20rocsparse_direction_NS_24const_host_device_scalarIT2_EEPKiS8_PKS5_SA_S6_PS5_21rocsparse_index_base_b,"axG",@progbits,_ZN9rocsparseL19gebsrmvn_3xn_kernelILj128ELj2ELj64E21rocsparse_complex_numIdEEEvi20rocsparse_direction_NS_24const_host_device_scalarIT2_EEPKiS8_PKS5_SA_S6_PS5_21rocsparse_index_base_b,comdat
.Lfunc_end120:
	.size	_ZN9rocsparseL19gebsrmvn_3xn_kernelILj128ELj2ELj64E21rocsparse_complex_numIdEEEvi20rocsparse_direction_NS_24const_host_device_scalarIT2_EEPKiS8_PKS5_SA_S6_PS5_21rocsparse_index_base_b, .Lfunc_end120-_ZN9rocsparseL19gebsrmvn_3xn_kernelILj128ELj2ELj64E21rocsparse_complex_numIdEEEvi20rocsparse_direction_NS_24const_host_device_scalarIT2_EEPKiS8_PKS5_SA_S6_PS5_21rocsparse_index_base_b
                                        ; -- End function
	.section	.AMDGPU.csdata,"",@progbits
; Kernel info:
; codeLenInByte = 3528
; NumSgprs: 20
; NumVgprs: 62
; ScratchSize: 0
; MemoryBound: 0
; FloatMode: 240
; IeeeMode: 1
; LDSByteSize: 2048 bytes/workgroup (compile time only)
; SGPRBlocks: 2
; VGPRBlocks: 7
; NumSGPRsForWavesPerEU: 20
; NumVGPRsForWavesPerEU: 62
; Occupancy: 16
; WaveLimiterHint : 1
; COMPUTE_PGM_RSRC2:SCRATCH_EN: 0
; COMPUTE_PGM_RSRC2:USER_SGPR: 15
; COMPUTE_PGM_RSRC2:TRAP_HANDLER: 0
; COMPUTE_PGM_RSRC2:TGID_X_EN: 1
; COMPUTE_PGM_RSRC2:TGID_Y_EN: 0
; COMPUTE_PGM_RSRC2:TGID_Z_EN: 0
; COMPUTE_PGM_RSRC2:TIDIG_COMP_CNT: 2
	.section	.text._ZN9rocsparseL19gebsrmvn_3xn_kernelILj128ELj4ELj4E21rocsparse_complex_numIdEEEvi20rocsparse_direction_NS_24const_host_device_scalarIT2_EEPKiS8_PKS5_SA_S6_PS5_21rocsparse_index_base_b,"axG",@progbits,_ZN9rocsparseL19gebsrmvn_3xn_kernelILj128ELj4ELj4E21rocsparse_complex_numIdEEEvi20rocsparse_direction_NS_24const_host_device_scalarIT2_EEPKiS8_PKS5_SA_S6_PS5_21rocsparse_index_base_b,comdat
	.globl	_ZN9rocsparseL19gebsrmvn_3xn_kernelILj128ELj4ELj4E21rocsparse_complex_numIdEEEvi20rocsparse_direction_NS_24const_host_device_scalarIT2_EEPKiS8_PKS5_SA_S6_PS5_21rocsparse_index_base_b ; -- Begin function _ZN9rocsparseL19gebsrmvn_3xn_kernelILj128ELj4ELj4E21rocsparse_complex_numIdEEEvi20rocsparse_direction_NS_24const_host_device_scalarIT2_EEPKiS8_PKS5_SA_S6_PS5_21rocsparse_index_base_b
	.p2align	8
	.type	_ZN9rocsparseL19gebsrmvn_3xn_kernelILj128ELj4ELj4E21rocsparse_complex_numIdEEEvi20rocsparse_direction_NS_24const_host_device_scalarIT2_EEPKiS8_PKS5_SA_S6_PS5_21rocsparse_index_base_b,@function
_ZN9rocsparseL19gebsrmvn_3xn_kernelILj128ELj4ELj4E21rocsparse_complex_numIdEEEvi20rocsparse_direction_NS_24const_host_device_scalarIT2_EEPKiS8_PKS5_SA_S6_PS5_21rocsparse_index_base_b: ; @_ZN9rocsparseL19gebsrmvn_3xn_kernelILj128ELj4ELj4E21rocsparse_complex_numIdEEEvi20rocsparse_direction_NS_24const_host_device_scalarIT2_EEPKiS8_PKS5_SA_S6_PS5_21rocsparse_index_base_b
; %bb.0:
	s_load_b64 s[12:13], s[2:3], 0x50
	s_load_b64 s[16:17], s[0:1], 0x4
	s_load_b128 s[8:11], s[2:3], 0x8
	v_bfe_u32 v1, v0, 10, 10
	s_mov_b64 s[0:1], src_shared_base
	s_load_b128 s[4:7], s[2:3], 0x38
	v_and_b32_e32 v10, 0x3ff, v0
	v_bfe_u32 v0, v0, 20, 10
	s_waitcnt lgkmcnt(0)
	s_bitcmp1_b32 s13, 0
	v_mul_u32_u24_e32 v1, s17, v1
	s_cselect_b32 s0, -1, 0
	s_delay_alu instid0(SALU_CYCLE_1)
	s_and_b32 vcc_lo, s0, exec_lo
	s_cselect_b32 s13, s1, s9
	s_lshr_b32 s14, s16, 16
	v_dual_mov_b32 v2, s4 :: v_dual_mov_b32 v3, s5
	s_mul_i32 s14, s14, s17
	v_mov_b32_e32 v6, s13
	v_mad_u32_u24 v1, s14, v10, v1
	s_delay_alu instid0(VALU_DEP_1) | instskip(SKIP_1) | instid1(VALU_DEP_2)
	v_add_lshl_u32 v4, v1, v0, 3
	v_dual_mov_b32 v0, s8 :: v_dual_mov_b32 v1, s9
	v_add_nc_u32_e32 v5, 0x400, v4
	ds_store_2addr_stride64_b64 v4, v[2:3], v[0:1] offset1:2
	v_dual_mov_b32 v2, s10 :: v_dual_mov_b32 v3, s11
	v_cndmask_b32_e64 v5, s8, v5, s0
	s_xor_b32 s10, s0, -1
	flat_load_b64 v[0:1], v[5:6]
	s_cbranch_vccnz .LBB121_2
; %bb.1:
	v_dual_mov_b32 v2, s8 :: v_dual_mov_b32 v3, s9
	flat_load_b64 v[2:3], v[2:3] offset:8
.LBB121_2:
	s_and_b32 s8, s0, exec_lo
	s_cselect_b32 s1, s1, s5
	v_cndmask_b32_e64 v4, s4, v4, s0
	v_dual_mov_b32 v5, s1 :: v_dual_mov_b32 v6, s6
	v_mov_b32_e32 v7, s7
	s_and_not1_b32 vcc_lo, exec_lo, s10
	flat_load_b64 v[4:5], v[4:5]
	s_cbranch_vccnz .LBB121_4
; %bb.3:
	v_dual_mov_b32 v7, s5 :: v_dual_mov_b32 v6, s4
	flat_load_b64 v[6:7], v[6:7] offset:8
.LBB121_4:
	s_waitcnt vmcnt(1) lgkmcnt(1)
	v_cmp_eq_f64_e32 vcc_lo, 0, v[0:1]
	v_cmp_eq_f64_e64 s0, 0, v[2:3]
	s_delay_alu instid0(VALU_DEP_1)
	s_and_b32 s4, vcc_lo, s0
	s_mov_b32 s0, -1
	s_and_saveexec_b32 s1, s4
	s_cbranch_execz .LBB121_6
; %bb.5:
	s_waitcnt vmcnt(0) lgkmcnt(0)
	v_cmp_neq_f64_e32 vcc_lo, 1.0, v[4:5]
	v_cmp_neq_f64_e64 s0, 0, v[6:7]
	s_delay_alu instid0(VALU_DEP_1) | instskip(NEXT) | instid1(SALU_CYCLE_1)
	s_or_b32 s0, vcc_lo, s0
	s_or_not1_b32 s0, s0, exec_lo
.LBB121_6:
	s_or_b32 exec_lo, exec_lo, s1
	s_and_saveexec_b32 s1, s0
	s_cbranch_execz .LBB121_25
; %bb.7:
	s_load_b64 s[0:1], s[2:3], 0x0
	v_lshrrev_b32_e32 v8, 2, v10
	s_delay_alu instid0(VALU_DEP_1) | instskip(SKIP_1) | instid1(VALU_DEP_1)
	v_lshl_or_b32 v8, s15, 5, v8
	s_waitcnt lgkmcnt(0)
	v_cmp_gt_i32_e32 vcc_lo, s0, v8
	s_and_b32 exec_lo, exec_lo, vcc_lo
	s_cbranch_execz .LBB121_25
; %bb.8:
	s_load_b256 s[4:11], s[2:3], 0x18
	v_ashrrev_i32_e32 v9, 31, v8
	v_and_b32_e32 v33, 3, v10
	s_cmp_lg_u32 s1, 0
	s_delay_alu instid0(VALU_DEP_2) | instskip(SKIP_1) | instid1(VALU_DEP_1)
	v_lshlrev_b64 v[11:12], 2, v[8:9]
	s_waitcnt lgkmcnt(0)
	v_add_co_u32 v11, vcc_lo, s4, v11
	s_delay_alu instid0(VALU_DEP_2) | instskip(SKIP_4) | instid1(VALU_DEP_2)
	v_add_co_ci_u32_e32 v12, vcc_lo, s5, v12, vcc_lo
	global_load_b64 v[11:12], v[11:12], off
	s_waitcnt vmcnt(0)
	v_subrev_nc_u32_e32 v9, s12, v11
	v_subrev_nc_u32_e32 v28, s12, v12
	v_add_nc_u32_e32 v9, v9, v33
	s_delay_alu instid0(VALU_DEP_1)
	v_cmp_lt_i32_e64 s0, v9, v28
	s_cbranch_scc0 .LBB121_14
; %bb.9:
	v_mov_b32_e32 v11, 0
	v_mov_b32_e32 v12, 0
	s_delay_alu instid0(VALU_DEP_1)
	v_dual_mov_b32 v14, v12 :: v_dual_mov_b32 v13, v11
	v_dual_mov_b32 v16, v12 :: v_dual_mov_b32 v15, v11
	;; [unrolled: 1-line block ×5, first 2 shown]
	s_and_saveexec_b32 s1, s0
	s_cbranch_execz .LBB121_13
; %bb.10:
	v_dual_mov_b32 v11, 0 :: v_dual_mov_b32 v26, v9
	v_dual_mov_b32 v12, 0 :: v_dual_mov_b32 v25, 0
	v_mad_u64_u32 v[23:24], null, v9, 12, 11
	s_mov_b32 s4, 0
	s_delay_alu instid0(VALU_DEP_2)
	v_dual_mov_b32 v14, v12 :: v_dual_mov_b32 v13, v11
	v_dual_mov_b32 v16, v12 :: v_dual_mov_b32 v15, v11
	;; [unrolled: 1-line block ×5, first 2 shown]
.LBB121_11:                             ; =>This Inner Loop Header: Depth=1
	v_ashrrev_i32_e32 v27, 31, v26
	v_dual_mov_b32 v47, v25 :: v_dual_add_nc_u32 v24, -11, v23
	s_delay_alu instid0(VALU_DEP_2) | instskip(SKIP_1) | instid1(VALU_DEP_2)
	v_lshlrev_b64 v[29:30], 2, v[26:27]
	v_add_nc_u32_e32 v26, 4, v26
	v_add_co_u32 v29, vcc_lo, s6, v29
	s_delay_alu instid0(VALU_DEP_3) | instskip(SKIP_3) | instid1(VALU_DEP_1)
	v_add_co_ci_u32_e32 v30, vcc_lo, s7, v30, vcc_lo
	global_load_b32 v10, v[29:30], off
	v_lshlrev_b64 v[29:30], 4, v[24:25]
	v_add_nc_u32_e32 v24, -7, v23
	v_lshlrev_b64 v[54:55], 4, v[24:25]
	s_delay_alu instid0(VALU_DEP_3) | instskip(NEXT) | instid1(VALU_DEP_4)
	v_add_co_u32 v42, vcc_lo, s8, v29
	v_add_co_ci_u32_e32 v43, vcc_lo, s9, v30, vcc_lo
	v_add_nc_u32_e32 v24, -6, v23
	s_clause 0x3
	global_load_b128 v[29:32], v[42:43], off offset:48
	global_load_b128 v[34:37], v[42:43], off offset:32
	;; [unrolled: 1-line block ×3, first 2 shown]
	global_load_b128 v[42:45], v[42:43], off
	v_lshlrev_b64 v[56:57], 4, v[24:25]
	v_add_nc_u32_e32 v24, -5, v23
	s_delay_alu instid0(VALU_DEP_1) | instskip(SKIP_1) | instid1(VALU_DEP_1)
	v_lshlrev_b64 v[62:63], 4, v[24:25]
	v_add_nc_u32_e32 v24, -4, v23
	v_lshlrev_b64 v[66:67], 4, v[24:25]
	v_add_nc_u32_e32 v24, -3, v23
	s_delay_alu instid0(VALU_DEP_1) | instskip(SKIP_1) | instid1(VALU_DEP_1)
	v_lshlrev_b64 v[68:69], 4, v[24:25]
	v_mov_b32_e32 v24, v25
	v_lshlrev_b64 v[82:83], 4, v[23:24]
	v_add_nc_u32_e32 v24, -2, v23
	s_waitcnt vmcnt(4)
	v_subrev_nc_u32_e32 v10, s12, v10
	s_delay_alu instid0(VALU_DEP_1) | instskip(NEXT) | instid1(VALU_DEP_1)
	v_lshlrev_b32_e32 v46, 2, v10
	v_lshlrev_b64 v[46:47], 4, v[46:47]
	s_delay_alu instid0(VALU_DEP_1) | instskip(NEXT) | instid1(VALU_DEP_2)
	v_add_co_u32 v78, vcc_lo, s10, v46
	v_add_co_ci_u32_e32 v79, vcc_lo, s11, v47, vcc_lo
	v_add_co_u32 v54, vcc_lo, s8, v54
	v_add_co_ci_u32_e32 v55, vcc_lo, s9, v55, vcc_lo
	s_clause 0x1
	global_load_b128 v[46:49], v[78:79], off
	global_load_b128 v[50:53], v[78:79], off offset:16
	v_add_co_u32 v58, vcc_lo, s8, v56
	v_add_co_ci_u32_e32 v59, vcc_lo, s9, v57, vcc_lo
	s_clause 0x1
	global_load_b128 v[54:57], v[54:55], off
	global_load_b128 v[58:61], v[58:59], off
	v_add_co_u32 v62, vcc_lo, s8, v62
	v_add_co_ci_u32_e32 v63, vcc_lo, s9, v63, vcc_lo
	v_add_co_u32 v66, vcc_lo, s8, v66
	v_add_co_ci_u32_e32 v67, vcc_lo, s9, v67, vcc_lo
	;; [unrolled: 2-line block ×3, first 2 shown]
	s_clause 0x2
	global_load_b128 v[62:65], v[62:63], off
	global_load_b128 v[66:69], v[66:67], off
	;; [unrolled: 1-line block ×3, first 2 shown]
	s_clause 0x1
	global_load_b128 v[74:77], v[78:79], off offset:32
	global_load_b128 v[78:81], v[78:79], off offset:48
	v_add_co_u32 v90, vcc_lo, s8, v82
	v_add_co_ci_u32_e32 v91, vcc_lo, s9, v83, vcc_lo
	v_lshlrev_b64 v[82:83], 4, v[24:25]
	v_add_nc_u32_e32 v24, -1, v23
	v_add_nc_u32_e32 v23, 48, v23
	s_delay_alu instid0(VALU_DEP_2) | instskip(NEXT) | instid1(VALU_DEP_4)
	v_lshlrev_b64 v[84:85], 4, v[24:25]
	v_add_co_u32 v82, vcc_lo, s8, v82
	v_add_co_ci_u32_e32 v83, vcc_lo, s9, v83, vcc_lo
	s_delay_alu instid0(VALU_DEP_3) | instskip(NEXT) | instid1(VALU_DEP_4)
	v_add_co_u32 v86, vcc_lo, s8, v84
	v_add_co_ci_u32_e32 v87, vcc_lo, s9, v85, vcc_lo
	s_clause 0x2
	global_load_b128 v[82:85], v[82:83], off
	global_load_b128 v[86:89], v[86:87], off
	global_load_b128 v[90:93], v[90:91], off
	v_cmp_ge_i32_e32 vcc_lo, v26, v28
	s_or_b32 s4, vcc_lo, s4
	s_waitcnt vmcnt(11)
	v_fma_f64 v[13:14], v[42:43], v[46:47], v[13:14]
	v_fma_f64 v[10:11], v[44:45], v[46:47], v[11:12]
	;; [unrolled: 1-line block ×6, first 2 shown]
	v_fma_f64 v[12:13], -v[44:45], v[48:49], v[13:14]
	v_fma_f64 v[10:11], v[42:43], v[48:49], v[10:11]
	v_fma_f64 v[19:20], -v[40:41], v[48:49], v[19:20]
	v_fma_f64 v[21:22], v[38:39], v[48:49], v[21:22]
	v_fma_f64 v[14:15], -v[36:37], v[48:49], v[15:16]
	v_fma_f64 v[16:17], v[34:35], v[48:49], v[17:18]
	s_waitcnt vmcnt(10)
	v_fma_f64 v[12:13], v[29:30], v[50:51], v[12:13]
	v_fma_f64 v[10:11], v[31:32], v[50:51], v[10:11]
	s_waitcnt vmcnt(9)
	v_fma_f64 v[18:19], v[54:55], v[50:51], v[19:20]
	v_fma_f64 v[20:21], v[56:57], v[50:51], v[21:22]
	;; [unrolled: 3-line block ×3, first 2 shown]
	v_fma_f64 v[12:13], -v[31:32], v[52:53], v[12:13]
	v_fma_f64 v[10:11], v[29:30], v[52:53], v[10:11]
	v_fma_f64 v[18:19], -v[56:57], v[52:53], v[18:19]
	v_fma_f64 v[20:21], v[54:55], v[52:53], v[20:21]
	;; [unrolled: 2-line block ×3, first 2 shown]
	s_waitcnt vmcnt(4)
	v_fma_f64 v[12:13], v[62:63], v[74:75], v[12:13]
	v_fma_f64 v[10:11], v[64:65], v[74:75], v[10:11]
	;; [unrolled: 1-line block ×6, first 2 shown]
	v_fma_f64 v[12:13], -v[64:65], v[76:77], v[12:13]
	v_fma_f64 v[10:11], v[62:63], v[76:77], v[10:11]
	v_fma_f64 v[18:19], -v[68:69], v[76:77], v[18:19]
	v_fma_f64 v[20:21], v[66:67], v[76:77], v[20:21]
	;; [unrolled: 2-line block ×3, first 2 shown]
	s_waitcnt vmcnt(2)
	v_fma_f64 v[12:13], v[82:83], v[78:79], v[12:13]
	v_fma_f64 v[10:11], v[84:85], v[78:79], v[10:11]
	s_waitcnt vmcnt(1)
	v_fma_f64 v[18:19], v[86:87], v[78:79], v[18:19]
	v_fma_f64 v[21:22], v[88:89], v[78:79], v[20:21]
	;; [unrolled: 3-line block ×3, first 2 shown]
	v_fma_f64 v[13:14], -v[84:85], v[80:81], v[12:13]
	v_fma_f64 v[11:12], v[82:83], v[80:81], v[10:11]
	v_fma_f64 v[19:20], -v[88:89], v[80:81], v[18:19]
	v_fma_f64 v[21:22], v[86:87], v[80:81], v[21:22]
	;; [unrolled: 2-line block ×3, first 2 shown]
	s_and_not1_b32 exec_lo, exec_lo, s4
	s_cbranch_execnz .LBB121_11
; %bb.12:
	s_or_b32 exec_lo, exec_lo, s4
.LBB121_13:
	s_delay_alu instid0(SALU_CYCLE_1)
	s_or_b32 exec_lo, exec_lo, s1
	s_cbranch_execz .LBB121_15
	s_branch .LBB121_20
.LBB121_14:
                                        ; implicit-def: $vgpr11_vgpr12
                                        ; implicit-def: $vgpr13_vgpr14
                                        ; implicit-def: $vgpr15_vgpr16
                                        ; implicit-def: $vgpr17_vgpr18
                                        ; implicit-def: $vgpr19_vgpr20
                                        ; implicit-def: $vgpr21_vgpr22
.LBB121_15:
	v_mov_b32_e32 v11, 0
	v_mov_b32_e32 v12, 0
	s_delay_alu instid0(VALU_DEP_1)
	v_dual_mov_b32 v14, v12 :: v_dual_mov_b32 v13, v11
	v_dual_mov_b32 v16, v12 :: v_dual_mov_b32 v15, v11
	;; [unrolled: 1-line block ×5, first 2 shown]
	s_and_saveexec_b32 s1, s0
	s_cbranch_execz .LBB121_19
; %bb.16:
	v_mov_b32_e32 v11, 0
	v_dual_mov_b32 v12, 0 :: v_dual_mov_b32 v25, 0
	v_mad_u64_u32 v[23:24], null, v9, 12, 11
	s_mov_b32 s0, 0
	s_delay_alu instid0(VALU_DEP_2)
	v_dual_mov_b32 v14, v12 :: v_dual_mov_b32 v13, v11
	v_dual_mov_b32 v16, v12 :: v_dual_mov_b32 v15, v11
	;; [unrolled: 1-line block ×5, first 2 shown]
.LBB121_17:                             ; =>This Inner Loop Header: Depth=1
	v_ashrrev_i32_e32 v10, 31, v9
	v_dual_mov_b32 v47, v25 :: v_dual_add_nc_u32 v24, -11, v23
	v_dual_mov_b32 v30, v25 :: v_dual_add_nc_u32 v29, -3, v23
	s_delay_alu instid0(VALU_DEP_3) | instskip(NEXT) | instid1(VALU_DEP_3)
	v_lshlrev_b64 v[26:27], 2, v[9:10]
	v_lshlrev_b64 v[31:32], 4, v[24:25]
	v_add_nc_u32_e32 v24, -6, v23
	v_add_nc_u32_e32 v9, 4, v9
	v_lshlrev_b64 v[29:30], 4, v[29:30]
	v_add_co_u32 v26, vcc_lo, s6, v26
	v_add_co_ci_u32_e32 v27, vcc_lo, s7, v27, vcc_lo
	v_add_co_u32 v66, vcc_lo, s8, v31
	v_add_co_ci_u32_e32 v67, vcc_lo, s9, v32, vcc_lo
	global_load_b32 v10, v[26:27], off
	v_dual_mov_b32 v27, v25 :: v_dual_add_nc_u32 v26, -7, v23
	v_lshlrev_b64 v[54:55], 4, v[24:25]
	v_add_nc_u32_e32 v24, -2, v23
	s_delay_alu instid0(VALU_DEP_3) | instskip(NEXT) | instid1(VALU_DEP_2)
	v_lshlrev_b64 v[26:27], 4, v[26:27]
	v_lshlrev_b64 v[56:57], 4, v[24:25]
	v_add_nc_u32_e32 v24, -5, v23
	s_delay_alu instid0(VALU_DEP_3) | instskip(NEXT) | instid1(VALU_DEP_4)
	v_add_co_u32 v26, vcc_lo, s8, v26
	v_add_co_ci_u32_e32 v27, vcc_lo, s9, v27, vcc_lo
	v_add_co_u32 v42, vcc_lo, s8, v29
	v_add_co_ci_u32_e32 v43, vcc_lo, s9, v30, vcc_lo
	s_clause 0x3
	global_load_b128 v[29:32], v[66:67], off offset:16
	global_load_b128 v[34:37], v[66:67], off
	global_load_b128 v[38:41], v[26:27], off
	;; [unrolled: 1-line block ×3, first 2 shown]
	v_lshlrev_b64 v[70:71], 4, v[24:25]
	v_add_nc_u32_e32 v24, -1, v23
	s_delay_alu instid0(VALU_DEP_1) | instskip(SKIP_3) | instid1(VALU_DEP_1)
	v_lshlrev_b64 v[72:73], 4, v[24:25]
	v_mov_b32_e32 v24, v25
	s_waitcnt vmcnt(4)
	v_subrev_nc_u32_e32 v10, s12, v10
	v_lshlrev_b32_e32 v46, 2, v10
	s_delay_alu instid0(VALU_DEP_1) | instskip(NEXT) | instid1(VALU_DEP_1)
	v_lshlrev_b64 v[26:27], 4, v[46:47]
	v_add_co_u32 v26, vcc_lo, s10, v26
	s_delay_alu instid0(VALU_DEP_2)
	v_add_co_ci_u32_e32 v27, vcc_lo, s11, v27, vcc_lo
	v_add_co_u32 v54, vcc_lo, s8, v54
	s_clause 0x1
	global_load_b128 v[46:49], v[26:27], off
	global_load_b128 v[50:53], v[26:27], off offset:16
	v_add_co_ci_u32_e32 v55, vcc_lo, s9, v55, vcc_lo
	v_add_co_u32 v58, vcc_lo, s8, v56
	v_add_co_ci_u32_e32 v59, vcc_lo, s9, v57, vcc_lo
	s_clause 0x1
	global_load_b128 v[54:57], v[54:55], off
	global_load_b128 v[58:61], v[58:59], off
	v_add_co_u32 v70, vcc_lo, s8, v70
	v_add_co_ci_u32_e32 v71, vcc_lo, s9, v71, vcc_lo
	v_add_co_u32 v74, vcc_lo, s8, v72
	v_add_co_ci_u32_e32 v75, vcc_lo, s9, v73, vcc_lo
	s_clause 0x3
	global_load_b128 v[62:65], v[66:67], off offset:48
	global_load_b128 v[66:69], v[66:67], off offset:32
	global_load_b128 v[70:73], v[70:71], off
	global_load_b128 v[74:77], v[74:75], off
	s_clause 0x1
	global_load_b128 v[78:81], v[26:27], off offset:32
	global_load_b128 v[82:85], v[26:27], off offset:48
	v_lshlrev_b64 v[26:27], 4, v[23:24]
	v_add_nc_u32_e32 v24, -4, v23
	v_add_nc_u32_e32 v23, 48, v23
	s_delay_alu instid0(VALU_DEP_2) | instskip(NEXT) | instid1(VALU_DEP_4)
	v_lshlrev_b64 v[86:87], 4, v[24:25]
	v_add_co_u32 v26, vcc_lo, s8, v26
	v_add_co_ci_u32_e32 v27, vcc_lo, s9, v27, vcc_lo
	s_delay_alu instid0(VALU_DEP_3) | instskip(NEXT) | instid1(VALU_DEP_4)
	v_add_co_u32 v86, vcc_lo, s8, v86
	v_add_co_ci_u32_e32 v87, vcc_lo, s9, v87, vcc_lo
	s_clause 0x1
	global_load_b128 v[86:89], v[86:87], off
	global_load_b128 v[90:93], v[26:27], off
	v_cmp_ge_i32_e32 vcc_lo, v9, v28
	s_or_b32 s0, vcc_lo, s0
	s_waitcnt vmcnt(11)
	v_fma_f64 v[13:14], v[34:35], v[46:47], v[13:14]
	v_fma_f64 v[10:11], v[36:37], v[46:47], v[11:12]
	;; [unrolled: 1-line block ×6, first 2 shown]
	v_fma_f64 v[12:13], -v[36:37], v[48:49], v[13:14]
	v_fma_f64 v[10:11], v[34:35], v[48:49], v[10:11]
	v_fma_f64 v[19:20], -v[40:41], v[48:49], v[19:20]
	v_fma_f64 v[21:22], v[38:39], v[48:49], v[21:22]
	;; [unrolled: 2-line block ×3, first 2 shown]
	s_waitcnt vmcnt(10)
	v_fma_f64 v[12:13], v[29:30], v[50:51], v[12:13]
	v_fma_f64 v[10:11], v[31:32], v[50:51], v[10:11]
	s_waitcnt vmcnt(9)
	v_fma_f64 v[18:19], v[54:55], v[50:51], v[19:20]
	v_fma_f64 v[20:21], v[56:57], v[50:51], v[21:22]
	;; [unrolled: 3-line block ×3, first 2 shown]
	v_fma_f64 v[12:13], -v[31:32], v[52:53], v[12:13]
	v_fma_f64 v[10:11], v[29:30], v[52:53], v[10:11]
	v_fma_f64 v[18:19], -v[56:57], v[52:53], v[18:19]
	v_fma_f64 v[20:21], v[54:55], v[52:53], v[20:21]
	;; [unrolled: 2-line block ×3, first 2 shown]
	s_waitcnt vmcnt(3)
	v_fma_f64 v[12:13], v[66:67], v[78:79], v[12:13]
	v_fma_f64 v[10:11], v[68:69], v[78:79], v[10:11]
	;; [unrolled: 1-line block ×6, first 2 shown]
	v_fma_f64 v[12:13], -v[68:69], v[80:81], v[12:13]
	v_fma_f64 v[10:11], v[66:67], v[80:81], v[10:11]
	v_fma_f64 v[18:19], -v[72:73], v[80:81], v[18:19]
	v_fma_f64 v[20:21], v[70:71], v[80:81], v[20:21]
	;; [unrolled: 2-line block ×3, first 2 shown]
	s_waitcnt vmcnt(2)
	v_fma_f64 v[12:13], v[62:63], v[82:83], v[12:13]
	v_fma_f64 v[10:11], v[64:65], v[82:83], v[10:11]
	s_waitcnt vmcnt(1)
	v_fma_f64 v[18:19], v[86:87], v[82:83], v[18:19]
	v_fma_f64 v[21:22], v[88:89], v[82:83], v[20:21]
	;; [unrolled: 3-line block ×3, first 2 shown]
	v_fma_f64 v[13:14], -v[64:65], v[84:85], v[12:13]
	v_fma_f64 v[11:12], v[62:63], v[84:85], v[10:11]
	v_fma_f64 v[19:20], -v[88:89], v[84:85], v[18:19]
	v_fma_f64 v[21:22], v[86:87], v[84:85], v[21:22]
	;; [unrolled: 2-line block ×3, first 2 shown]
	s_and_not1_b32 exec_lo, exec_lo, s0
	s_cbranch_execnz .LBB121_17
; %bb.18:
	s_or_b32 exec_lo, exec_lo, s0
.LBB121_19:
	s_delay_alu instid0(SALU_CYCLE_1)
	s_or_b32 exec_lo, exec_lo, s1
.LBB121_20:
	v_mbcnt_lo_u32_b32 v34, -1, 0
	s_delay_alu instid0(VALU_DEP_1) | instskip(NEXT) | instid1(VALU_DEP_1)
	v_xor_b32_e32 v9, 2, v34
	v_cmp_gt_i32_e32 vcc_lo, 32, v9
	v_cndmask_b32_e32 v9, v34, v9, vcc_lo
	s_delay_alu instid0(VALU_DEP_1)
	v_lshlrev_b32_e32 v32, 2, v9
	ds_bpermute_b32 v9, v32, v13
	ds_bpermute_b32 v10, v32, v14
	;; [unrolled: 1-line block ×12, first 2 shown]
	s_waitcnt lgkmcnt(10)
	v_add_f64 v[9:10], v[13:14], v[9:10]
	s_waitcnt lgkmcnt(8)
	v_add_f64 v[23:24], v[11:12], v[23:24]
	;; [unrolled: 2-line block ×6, first 2 shown]
	v_xor_b32_e32 v17, 1, v34
	s_delay_alu instid0(VALU_DEP_1) | instskip(SKIP_2) | instid1(VALU_DEP_2)
	v_cmp_gt_i32_e32 vcc_lo, 32, v17
	v_cndmask_b32_e32 v17, v34, v17, vcc_lo
	v_cmp_eq_u32_e32 vcc_lo, 3, v33
	v_lshlrev_b32_e32 v28, 2, v17
	ds_bpermute_b32 v31, v28, v9
	ds_bpermute_b32 v32, v28, v10
	;; [unrolled: 1-line block ×12, first 2 shown]
	s_and_b32 exec_lo, exec_lo, vcc_lo
	s_cbranch_execz .LBB121_25
; %bb.21:
	v_cmp_eq_f64_e32 vcc_lo, 0, v[4:5]
	v_cmp_eq_f64_e64 s0, 0, v[6:7]
	s_waitcnt lgkmcnt(10)
	v_add_f64 v[9:10], v[9:10], v[31:32]
	s_waitcnt lgkmcnt(8)
	v_add_f64 v[19:20], v[23:24], v[19:20]
	;; [unrolled: 2-line block ×6, first 2 shown]
	s_load_b64 s[2:3], s[2:3], 0x48
	s_and_b32 s0, vcc_lo, s0
	s_delay_alu instid0(SALU_CYCLE_1) | instskip(NEXT) | instid1(SALU_CYCLE_1)
	s_and_saveexec_b32 s1, s0
	s_xor_b32 s0, exec_lo, s1
	s_cbranch_execz .LBB121_23
; %bb.22:
	v_mul_f64 v[4:5], v[19:20], -v[2:3]
	v_mul_f64 v[6:7], v[0:1], v[19:20]
	v_mul_f64 v[19:20], v[17:18], -v[2:3]
	v_mul_f64 v[17:18], v[0:1], v[17:18]
	;; [unrolled: 2-line block ×3, first 2 shown]
	v_fma_f64 v[4:5], v[0:1], v[9:10], v[4:5]
	v_fma_f64 v[6:7], v[2:3], v[9:10], v[6:7]
	;; [unrolled: 1-line block ×6, first 2 shown]
	v_lshl_add_u32 v13, v8, 1, v8
                                        ; implicit-def: $vgpr8
                                        ; implicit-def: $vgpr19_vgpr20
                                        ; implicit-def: $vgpr17_vgpr18
                                        ; implicit-def: $vgpr15_vgpr16
	s_delay_alu instid0(VALU_DEP_1) | instskip(NEXT) | instid1(VALU_DEP_1)
	v_ashrrev_i32_e32 v14, 31, v13
	v_lshlrev_b64 v[13:14], 4, v[13:14]
	s_waitcnt lgkmcnt(0)
	s_delay_alu instid0(VALU_DEP_1) | instskip(NEXT) | instid1(VALU_DEP_2)
	v_add_co_u32 v13, vcc_lo, s2, v13
	v_add_co_ci_u32_e32 v14, vcc_lo, s3, v14, vcc_lo
	s_clause 0x2
	global_store_b128 v[13:14], v[4:7], off
	global_store_b128 v[13:14], v[9:12], off offset:16
	global_store_b128 v[13:14], v[0:3], off offset:32
                                        ; implicit-def: $vgpr0_vgpr1
                                        ; implicit-def: $vgpr2_vgpr3
                                        ; implicit-def: $vgpr4_vgpr5
                                        ; implicit-def: $vgpr6_vgpr7
                                        ; implicit-def: $vgpr9_vgpr10
                                        ; implicit-def: $vgpr11_vgpr12
                                        ; implicit-def: $vgpr13_vgpr14
.LBB121_23:
	s_and_not1_saveexec_b32 s0, s0
	s_cbranch_execz .LBB121_25
; %bb.24:
	v_lshl_add_u32 v21, v8, 1, v8
	v_mul_f64 v[35:36], v[19:20], -v[2:3]
	v_mul_f64 v[19:20], v[0:1], v[19:20]
	v_mul_f64 v[37:38], v[17:18], -v[2:3]
	v_mul_f64 v[17:18], v[0:1], v[17:18]
	v_ashrrev_i32_e32 v22, 31, v21
	v_mul_f64 v[39:40], v[15:16], -v[2:3]
	v_mul_f64 v[15:16], v[0:1], v[15:16]
	s_delay_alu instid0(VALU_DEP_3) | instskip(SKIP_1) | instid1(VALU_DEP_1)
	v_lshlrev_b64 v[21:22], 4, v[21:22]
	s_waitcnt lgkmcnt(0)
	v_add_co_u32 v33, vcc_lo, s2, v21
	s_delay_alu instid0(VALU_DEP_2)
	v_add_co_ci_u32_e32 v34, vcc_lo, s3, v22, vcc_lo
	s_clause 0x2
	global_load_b128 v[21:24], v[33:34], off
	global_load_b128 v[25:28], v[33:34], off offset:16
	global_load_b128 v[29:32], v[33:34], off offset:32
	v_fma_f64 v[35:36], v[0:1], v[9:10], v[35:36]
	v_fma_f64 v[8:9], v[2:3], v[9:10], v[19:20]
	;; [unrolled: 1-line block ×6, first 2 shown]
	s_waitcnt vmcnt(2)
	v_fma_f64 v[12:13], v[4:5], v[21:22], v[35:36]
	v_fma_f64 v[8:9], v[6:7], v[21:22], v[8:9]
	s_waitcnt vmcnt(1)
	v_fma_f64 v[14:15], v[4:5], v[25:26], v[19:20]
	v_fma_f64 v[10:11], v[6:7], v[25:26], v[10:11]
	;; [unrolled: 3-line block ×3, first 2 shown]
	v_fma_f64 v[0:1], -v[6:7], v[23:24], v[12:13]
	v_fma_f64 v[2:3], v[4:5], v[23:24], v[8:9]
	v_fma_f64 v[8:9], -v[6:7], v[27:28], v[14:15]
	v_fma_f64 v[10:11], v[4:5], v[27:28], v[10:11]
	;; [unrolled: 2-line block ×3, first 2 shown]
	s_clause 0x2
	global_store_b128 v[33:34], v[0:3], off
	global_store_b128 v[33:34], v[8:11], off offset:16
	global_store_b128 v[33:34], v[12:15], off offset:32
.LBB121_25:
	s_nop 0
	s_sendmsg sendmsg(MSG_DEALLOC_VGPRS)
	s_endpgm
	.section	.rodata,"a",@progbits
	.p2align	6, 0x0
	.amdhsa_kernel _ZN9rocsparseL19gebsrmvn_3xn_kernelILj128ELj4ELj4E21rocsparse_complex_numIdEEEvi20rocsparse_direction_NS_24const_host_device_scalarIT2_EEPKiS8_PKS5_SA_S6_PS5_21rocsparse_index_base_b
		.amdhsa_group_segment_fixed_size 2048
		.amdhsa_private_segment_fixed_size 0
		.amdhsa_kernarg_size 88
		.amdhsa_user_sgpr_count 15
		.amdhsa_user_sgpr_dispatch_ptr 1
		.amdhsa_user_sgpr_queue_ptr 0
		.amdhsa_user_sgpr_kernarg_segment_ptr 1
		.amdhsa_user_sgpr_dispatch_id 0
		.amdhsa_user_sgpr_private_segment_size 0
		.amdhsa_wavefront_size32 1
		.amdhsa_uses_dynamic_stack 0
		.amdhsa_enable_private_segment 0
		.amdhsa_system_sgpr_workgroup_id_x 1
		.amdhsa_system_sgpr_workgroup_id_y 0
		.amdhsa_system_sgpr_workgroup_id_z 0
		.amdhsa_system_sgpr_workgroup_info 0
		.amdhsa_system_vgpr_workitem_id 2
		.amdhsa_next_free_vgpr 94
		.amdhsa_next_free_sgpr 18
		.amdhsa_reserve_vcc 1
		.amdhsa_float_round_mode_32 0
		.amdhsa_float_round_mode_16_64 0
		.amdhsa_float_denorm_mode_32 3
		.amdhsa_float_denorm_mode_16_64 3
		.amdhsa_dx10_clamp 1
		.amdhsa_ieee_mode 1
		.amdhsa_fp16_overflow 0
		.amdhsa_workgroup_processor_mode 1
		.amdhsa_memory_ordered 1
		.amdhsa_forward_progress 0
		.amdhsa_shared_vgpr_count 0
		.amdhsa_exception_fp_ieee_invalid_op 0
		.amdhsa_exception_fp_denorm_src 0
		.amdhsa_exception_fp_ieee_div_zero 0
		.amdhsa_exception_fp_ieee_overflow 0
		.amdhsa_exception_fp_ieee_underflow 0
		.amdhsa_exception_fp_ieee_inexact 0
		.amdhsa_exception_int_div_zero 0
	.end_amdhsa_kernel
	.section	.text._ZN9rocsparseL19gebsrmvn_3xn_kernelILj128ELj4ELj4E21rocsparse_complex_numIdEEEvi20rocsparse_direction_NS_24const_host_device_scalarIT2_EEPKiS8_PKS5_SA_S6_PS5_21rocsparse_index_base_b,"axG",@progbits,_ZN9rocsparseL19gebsrmvn_3xn_kernelILj128ELj4ELj4E21rocsparse_complex_numIdEEEvi20rocsparse_direction_NS_24const_host_device_scalarIT2_EEPKiS8_PKS5_SA_S6_PS5_21rocsparse_index_base_b,comdat
.Lfunc_end121:
	.size	_ZN9rocsparseL19gebsrmvn_3xn_kernelILj128ELj4ELj4E21rocsparse_complex_numIdEEEvi20rocsparse_direction_NS_24const_host_device_scalarIT2_EEPKiS8_PKS5_SA_S6_PS5_21rocsparse_index_base_b, .Lfunc_end121-_ZN9rocsparseL19gebsrmvn_3xn_kernelILj128ELj4ELj4E21rocsparse_complex_numIdEEEvi20rocsparse_direction_NS_24const_host_device_scalarIT2_EEPKiS8_PKS5_SA_S6_PS5_21rocsparse_index_base_b
                                        ; -- End function
	.section	.AMDGPU.csdata,"",@progbits
; Kernel info:
; codeLenInByte = 3520
; NumSgprs: 20
; NumVgprs: 94
; ScratchSize: 0
; MemoryBound: 0
; FloatMode: 240
; IeeeMode: 1
; LDSByteSize: 2048 bytes/workgroup (compile time only)
; SGPRBlocks: 2
; VGPRBlocks: 11
; NumSGPRsForWavesPerEU: 20
; NumVGPRsForWavesPerEU: 94
; Occupancy: 16
; WaveLimiterHint : 1
; COMPUTE_PGM_RSRC2:SCRATCH_EN: 0
; COMPUTE_PGM_RSRC2:USER_SGPR: 15
; COMPUTE_PGM_RSRC2:TRAP_HANDLER: 0
; COMPUTE_PGM_RSRC2:TGID_X_EN: 1
; COMPUTE_PGM_RSRC2:TGID_Y_EN: 0
; COMPUTE_PGM_RSRC2:TGID_Z_EN: 0
; COMPUTE_PGM_RSRC2:TIDIG_COMP_CNT: 2
	.section	.text._ZN9rocsparseL19gebsrmvn_3xn_kernelILj128ELj4ELj8E21rocsparse_complex_numIdEEEvi20rocsparse_direction_NS_24const_host_device_scalarIT2_EEPKiS8_PKS5_SA_S6_PS5_21rocsparse_index_base_b,"axG",@progbits,_ZN9rocsparseL19gebsrmvn_3xn_kernelILj128ELj4ELj8E21rocsparse_complex_numIdEEEvi20rocsparse_direction_NS_24const_host_device_scalarIT2_EEPKiS8_PKS5_SA_S6_PS5_21rocsparse_index_base_b,comdat
	.globl	_ZN9rocsparseL19gebsrmvn_3xn_kernelILj128ELj4ELj8E21rocsparse_complex_numIdEEEvi20rocsparse_direction_NS_24const_host_device_scalarIT2_EEPKiS8_PKS5_SA_S6_PS5_21rocsparse_index_base_b ; -- Begin function _ZN9rocsparseL19gebsrmvn_3xn_kernelILj128ELj4ELj8E21rocsparse_complex_numIdEEEvi20rocsparse_direction_NS_24const_host_device_scalarIT2_EEPKiS8_PKS5_SA_S6_PS5_21rocsparse_index_base_b
	.p2align	8
	.type	_ZN9rocsparseL19gebsrmvn_3xn_kernelILj128ELj4ELj8E21rocsparse_complex_numIdEEEvi20rocsparse_direction_NS_24const_host_device_scalarIT2_EEPKiS8_PKS5_SA_S6_PS5_21rocsparse_index_base_b,@function
_ZN9rocsparseL19gebsrmvn_3xn_kernelILj128ELj4ELj8E21rocsparse_complex_numIdEEEvi20rocsparse_direction_NS_24const_host_device_scalarIT2_EEPKiS8_PKS5_SA_S6_PS5_21rocsparse_index_base_b: ; @_ZN9rocsparseL19gebsrmvn_3xn_kernelILj128ELj4ELj8E21rocsparse_complex_numIdEEEvi20rocsparse_direction_NS_24const_host_device_scalarIT2_EEPKiS8_PKS5_SA_S6_PS5_21rocsparse_index_base_b
; %bb.0:
	s_load_b64 s[12:13], s[2:3], 0x50
	s_load_b64 s[16:17], s[0:1], 0x4
	s_load_b128 s[8:11], s[2:3], 0x8
	v_bfe_u32 v1, v0, 10, 10
	s_mov_b64 s[0:1], src_shared_base
	s_load_b128 s[4:7], s[2:3], 0x38
	v_and_b32_e32 v10, 0x3ff, v0
	v_bfe_u32 v0, v0, 20, 10
	s_waitcnt lgkmcnt(0)
	s_bitcmp1_b32 s13, 0
	v_mul_u32_u24_e32 v1, s17, v1
	s_cselect_b32 s0, -1, 0
	s_delay_alu instid0(SALU_CYCLE_1)
	s_and_b32 vcc_lo, s0, exec_lo
	s_cselect_b32 s13, s1, s9
	s_lshr_b32 s14, s16, 16
	v_dual_mov_b32 v2, s4 :: v_dual_mov_b32 v3, s5
	s_mul_i32 s14, s14, s17
	v_mov_b32_e32 v6, s13
	v_mad_u32_u24 v1, s14, v10, v1
	s_delay_alu instid0(VALU_DEP_1) | instskip(SKIP_1) | instid1(VALU_DEP_2)
	v_add_lshl_u32 v4, v1, v0, 3
	v_dual_mov_b32 v0, s8 :: v_dual_mov_b32 v1, s9
	v_add_nc_u32_e32 v5, 0x400, v4
	ds_store_2addr_stride64_b64 v4, v[2:3], v[0:1] offset1:2
	v_dual_mov_b32 v2, s10 :: v_dual_mov_b32 v3, s11
	v_cndmask_b32_e64 v5, s8, v5, s0
	s_xor_b32 s10, s0, -1
	flat_load_b64 v[0:1], v[5:6]
	s_cbranch_vccnz .LBB122_2
; %bb.1:
	v_dual_mov_b32 v2, s8 :: v_dual_mov_b32 v3, s9
	flat_load_b64 v[2:3], v[2:3] offset:8
.LBB122_2:
	s_and_b32 s8, s0, exec_lo
	s_cselect_b32 s1, s1, s5
	v_cndmask_b32_e64 v4, s4, v4, s0
	v_dual_mov_b32 v5, s1 :: v_dual_mov_b32 v6, s6
	v_mov_b32_e32 v7, s7
	s_and_not1_b32 vcc_lo, exec_lo, s10
	flat_load_b64 v[4:5], v[4:5]
	s_cbranch_vccnz .LBB122_4
; %bb.3:
	v_dual_mov_b32 v7, s5 :: v_dual_mov_b32 v6, s4
	flat_load_b64 v[6:7], v[6:7] offset:8
.LBB122_4:
	s_waitcnt vmcnt(1) lgkmcnt(1)
	v_cmp_eq_f64_e32 vcc_lo, 0, v[0:1]
	v_cmp_eq_f64_e64 s0, 0, v[2:3]
	s_delay_alu instid0(VALU_DEP_1)
	s_and_b32 s4, vcc_lo, s0
	s_mov_b32 s0, -1
	s_and_saveexec_b32 s1, s4
	s_cbranch_execz .LBB122_6
; %bb.5:
	s_waitcnt vmcnt(0) lgkmcnt(0)
	v_cmp_neq_f64_e32 vcc_lo, 1.0, v[4:5]
	v_cmp_neq_f64_e64 s0, 0, v[6:7]
	s_delay_alu instid0(VALU_DEP_1) | instskip(NEXT) | instid1(SALU_CYCLE_1)
	s_or_b32 s0, vcc_lo, s0
	s_or_not1_b32 s0, s0, exec_lo
.LBB122_6:
	s_or_b32 exec_lo, exec_lo, s1
	s_and_saveexec_b32 s1, s0
	s_cbranch_execz .LBB122_25
; %bb.7:
	s_load_b64 s[0:1], s[2:3], 0x0
	v_lshrrev_b32_e32 v8, 3, v10
	s_delay_alu instid0(VALU_DEP_1) | instskip(SKIP_1) | instid1(VALU_DEP_1)
	v_lshl_or_b32 v8, s15, 4, v8
	s_waitcnt lgkmcnt(0)
	v_cmp_gt_i32_e32 vcc_lo, s0, v8
	s_and_b32 exec_lo, exec_lo, vcc_lo
	s_cbranch_execz .LBB122_25
; %bb.8:
	s_load_b256 s[4:11], s[2:3], 0x18
	v_ashrrev_i32_e32 v9, 31, v8
	v_and_b32_e32 v33, 7, v10
	s_cmp_lg_u32 s1, 0
	s_delay_alu instid0(VALU_DEP_2) | instskip(SKIP_1) | instid1(VALU_DEP_1)
	v_lshlrev_b64 v[11:12], 2, v[8:9]
	s_waitcnt lgkmcnt(0)
	v_add_co_u32 v11, vcc_lo, s4, v11
	s_delay_alu instid0(VALU_DEP_2) | instskip(SKIP_4) | instid1(VALU_DEP_2)
	v_add_co_ci_u32_e32 v12, vcc_lo, s5, v12, vcc_lo
	global_load_b64 v[11:12], v[11:12], off
	s_waitcnt vmcnt(0)
	v_subrev_nc_u32_e32 v9, s12, v11
	v_subrev_nc_u32_e32 v28, s12, v12
	v_add_nc_u32_e32 v9, v9, v33
	s_delay_alu instid0(VALU_DEP_1)
	v_cmp_lt_i32_e64 s0, v9, v28
	s_cbranch_scc0 .LBB122_14
; %bb.9:
	v_mov_b32_e32 v11, 0
	v_mov_b32_e32 v12, 0
	s_delay_alu instid0(VALU_DEP_1)
	v_dual_mov_b32 v14, v12 :: v_dual_mov_b32 v13, v11
	v_dual_mov_b32 v16, v12 :: v_dual_mov_b32 v15, v11
	;; [unrolled: 1-line block ×5, first 2 shown]
	s_and_saveexec_b32 s1, s0
	s_cbranch_execz .LBB122_13
; %bb.10:
	v_dual_mov_b32 v11, 0 :: v_dual_mov_b32 v26, v9
	v_dual_mov_b32 v12, 0 :: v_dual_mov_b32 v25, 0
	v_mad_u64_u32 v[23:24], null, v9, 12, 11
	s_mov_b32 s4, 0
	s_delay_alu instid0(VALU_DEP_2)
	v_dual_mov_b32 v14, v12 :: v_dual_mov_b32 v13, v11
	v_dual_mov_b32 v16, v12 :: v_dual_mov_b32 v15, v11
	;; [unrolled: 1-line block ×5, first 2 shown]
.LBB122_11:                             ; =>This Inner Loop Header: Depth=1
	v_ashrrev_i32_e32 v27, 31, v26
	v_dual_mov_b32 v47, v25 :: v_dual_add_nc_u32 v24, -11, v23
	s_delay_alu instid0(VALU_DEP_2) | instskip(SKIP_1) | instid1(VALU_DEP_2)
	v_lshlrev_b64 v[29:30], 2, v[26:27]
	v_add_nc_u32_e32 v26, 8, v26
	v_add_co_u32 v29, vcc_lo, s6, v29
	s_delay_alu instid0(VALU_DEP_3) | instskip(SKIP_3) | instid1(VALU_DEP_1)
	v_add_co_ci_u32_e32 v30, vcc_lo, s7, v30, vcc_lo
	global_load_b32 v10, v[29:30], off
	v_lshlrev_b64 v[29:30], 4, v[24:25]
	v_add_nc_u32_e32 v24, -7, v23
	v_lshlrev_b64 v[54:55], 4, v[24:25]
	s_delay_alu instid0(VALU_DEP_3) | instskip(NEXT) | instid1(VALU_DEP_4)
	v_add_co_u32 v42, vcc_lo, s8, v29
	v_add_co_ci_u32_e32 v43, vcc_lo, s9, v30, vcc_lo
	v_add_nc_u32_e32 v24, -6, v23
	s_clause 0x3
	global_load_b128 v[29:32], v[42:43], off offset:48
	global_load_b128 v[34:37], v[42:43], off offset:32
	;; [unrolled: 1-line block ×3, first 2 shown]
	global_load_b128 v[42:45], v[42:43], off
	v_lshlrev_b64 v[56:57], 4, v[24:25]
	v_add_nc_u32_e32 v24, -5, v23
	s_delay_alu instid0(VALU_DEP_1) | instskip(SKIP_1) | instid1(VALU_DEP_1)
	v_lshlrev_b64 v[62:63], 4, v[24:25]
	v_add_nc_u32_e32 v24, -4, v23
	v_lshlrev_b64 v[66:67], 4, v[24:25]
	v_add_nc_u32_e32 v24, -3, v23
	s_delay_alu instid0(VALU_DEP_1) | instskip(SKIP_1) | instid1(VALU_DEP_1)
	v_lshlrev_b64 v[68:69], 4, v[24:25]
	v_mov_b32_e32 v24, v25
	v_lshlrev_b64 v[82:83], 4, v[23:24]
	v_add_nc_u32_e32 v24, -2, v23
	s_waitcnt vmcnt(4)
	v_subrev_nc_u32_e32 v10, s12, v10
	s_delay_alu instid0(VALU_DEP_1) | instskip(NEXT) | instid1(VALU_DEP_1)
	v_lshlrev_b32_e32 v46, 2, v10
	v_lshlrev_b64 v[46:47], 4, v[46:47]
	s_delay_alu instid0(VALU_DEP_1) | instskip(NEXT) | instid1(VALU_DEP_2)
	v_add_co_u32 v78, vcc_lo, s10, v46
	v_add_co_ci_u32_e32 v79, vcc_lo, s11, v47, vcc_lo
	v_add_co_u32 v54, vcc_lo, s8, v54
	v_add_co_ci_u32_e32 v55, vcc_lo, s9, v55, vcc_lo
	s_clause 0x1
	global_load_b128 v[46:49], v[78:79], off
	global_load_b128 v[50:53], v[78:79], off offset:16
	v_add_co_u32 v58, vcc_lo, s8, v56
	v_add_co_ci_u32_e32 v59, vcc_lo, s9, v57, vcc_lo
	s_clause 0x1
	global_load_b128 v[54:57], v[54:55], off
	global_load_b128 v[58:61], v[58:59], off
	v_add_co_u32 v62, vcc_lo, s8, v62
	v_add_co_ci_u32_e32 v63, vcc_lo, s9, v63, vcc_lo
	v_add_co_u32 v66, vcc_lo, s8, v66
	v_add_co_ci_u32_e32 v67, vcc_lo, s9, v67, vcc_lo
	;; [unrolled: 2-line block ×3, first 2 shown]
	s_clause 0x2
	global_load_b128 v[62:65], v[62:63], off
	global_load_b128 v[66:69], v[66:67], off
	;; [unrolled: 1-line block ×3, first 2 shown]
	s_clause 0x1
	global_load_b128 v[74:77], v[78:79], off offset:32
	global_load_b128 v[78:81], v[78:79], off offset:48
	v_add_co_u32 v90, vcc_lo, s8, v82
	v_add_co_ci_u32_e32 v91, vcc_lo, s9, v83, vcc_lo
	v_lshlrev_b64 v[82:83], 4, v[24:25]
	v_add_nc_u32_e32 v24, -1, v23
	v_add_nc_u32_e32 v23, 0x60, v23
	s_delay_alu instid0(VALU_DEP_2) | instskip(NEXT) | instid1(VALU_DEP_4)
	v_lshlrev_b64 v[84:85], 4, v[24:25]
	v_add_co_u32 v82, vcc_lo, s8, v82
	v_add_co_ci_u32_e32 v83, vcc_lo, s9, v83, vcc_lo
	s_delay_alu instid0(VALU_DEP_3) | instskip(NEXT) | instid1(VALU_DEP_4)
	v_add_co_u32 v86, vcc_lo, s8, v84
	v_add_co_ci_u32_e32 v87, vcc_lo, s9, v85, vcc_lo
	s_clause 0x2
	global_load_b128 v[82:85], v[82:83], off
	global_load_b128 v[86:89], v[86:87], off
	;; [unrolled: 1-line block ×3, first 2 shown]
	v_cmp_ge_i32_e32 vcc_lo, v26, v28
	s_or_b32 s4, vcc_lo, s4
	s_waitcnt vmcnt(11)
	v_fma_f64 v[13:14], v[42:43], v[46:47], v[13:14]
	v_fma_f64 v[10:11], v[44:45], v[46:47], v[11:12]
	;; [unrolled: 1-line block ×6, first 2 shown]
	v_fma_f64 v[12:13], -v[44:45], v[48:49], v[13:14]
	v_fma_f64 v[10:11], v[42:43], v[48:49], v[10:11]
	v_fma_f64 v[19:20], -v[40:41], v[48:49], v[19:20]
	v_fma_f64 v[21:22], v[38:39], v[48:49], v[21:22]
	;; [unrolled: 2-line block ×3, first 2 shown]
	s_waitcnt vmcnt(10)
	v_fma_f64 v[12:13], v[29:30], v[50:51], v[12:13]
	v_fma_f64 v[10:11], v[31:32], v[50:51], v[10:11]
	s_waitcnt vmcnt(9)
	v_fma_f64 v[18:19], v[54:55], v[50:51], v[19:20]
	v_fma_f64 v[20:21], v[56:57], v[50:51], v[21:22]
	;; [unrolled: 3-line block ×3, first 2 shown]
	v_fma_f64 v[12:13], -v[31:32], v[52:53], v[12:13]
	v_fma_f64 v[10:11], v[29:30], v[52:53], v[10:11]
	v_fma_f64 v[18:19], -v[56:57], v[52:53], v[18:19]
	v_fma_f64 v[20:21], v[54:55], v[52:53], v[20:21]
	;; [unrolled: 2-line block ×3, first 2 shown]
	s_waitcnt vmcnt(4)
	v_fma_f64 v[12:13], v[62:63], v[74:75], v[12:13]
	v_fma_f64 v[10:11], v[64:65], v[74:75], v[10:11]
	;; [unrolled: 1-line block ×6, first 2 shown]
	v_fma_f64 v[12:13], -v[64:65], v[76:77], v[12:13]
	v_fma_f64 v[10:11], v[62:63], v[76:77], v[10:11]
	v_fma_f64 v[18:19], -v[68:69], v[76:77], v[18:19]
	v_fma_f64 v[20:21], v[66:67], v[76:77], v[20:21]
	;; [unrolled: 2-line block ×3, first 2 shown]
	s_waitcnt vmcnt(2)
	v_fma_f64 v[12:13], v[82:83], v[78:79], v[12:13]
	v_fma_f64 v[10:11], v[84:85], v[78:79], v[10:11]
	s_waitcnt vmcnt(1)
	v_fma_f64 v[18:19], v[86:87], v[78:79], v[18:19]
	v_fma_f64 v[21:22], v[88:89], v[78:79], v[20:21]
	;; [unrolled: 3-line block ×3, first 2 shown]
	v_fma_f64 v[13:14], -v[84:85], v[80:81], v[12:13]
	v_fma_f64 v[11:12], v[82:83], v[80:81], v[10:11]
	v_fma_f64 v[19:20], -v[88:89], v[80:81], v[18:19]
	v_fma_f64 v[21:22], v[86:87], v[80:81], v[21:22]
	v_fma_f64 v[15:16], -v[92:93], v[80:81], v[29:30]
	v_fma_f64 v[17:18], v[90:91], v[80:81], v[31:32]
	s_and_not1_b32 exec_lo, exec_lo, s4
	s_cbranch_execnz .LBB122_11
; %bb.12:
	s_or_b32 exec_lo, exec_lo, s4
.LBB122_13:
	s_delay_alu instid0(SALU_CYCLE_1)
	s_or_b32 exec_lo, exec_lo, s1
	s_cbranch_execz .LBB122_15
	s_branch .LBB122_20
.LBB122_14:
                                        ; implicit-def: $vgpr11_vgpr12
                                        ; implicit-def: $vgpr13_vgpr14
                                        ; implicit-def: $vgpr15_vgpr16
                                        ; implicit-def: $vgpr17_vgpr18
                                        ; implicit-def: $vgpr19_vgpr20
                                        ; implicit-def: $vgpr21_vgpr22
.LBB122_15:
	v_mov_b32_e32 v11, 0
	v_mov_b32_e32 v12, 0
	s_delay_alu instid0(VALU_DEP_1)
	v_dual_mov_b32 v14, v12 :: v_dual_mov_b32 v13, v11
	v_dual_mov_b32 v16, v12 :: v_dual_mov_b32 v15, v11
	;; [unrolled: 1-line block ×5, first 2 shown]
	s_and_saveexec_b32 s1, s0
	s_cbranch_execz .LBB122_19
; %bb.16:
	v_mov_b32_e32 v11, 0
	v_dual_mov_b32 v12, 0 :: v_dual_mov_b32 v25, 0
	v_mad_u64_u32 v[23:24], null, v9, 12, 11
	s_mov_b32 s0, 0
	s_delay_alu instid0(VALU_DEP_2)
	v_dual_mov_b32 v14, v12 :: v_dual_mov_b32 v13, v11
	v_dual_mov_b32 v16, v12 :: v_dual_mov_b32 v15, v11
	;; [unrolled: 1-line block ×5, first 2 shown]
.LBB122_17:                             ; =>This Inner Loop Header: Depth=1
	v_ashrrev_i32_e32 v10, 31, v9
	v_dual_mov_b32 v47, v25 :: v_dual_add_nc_u32 v24, -11, v23
	v_dual_mov_b32 v30, v25 :: v_dual_add_nc_u32 v29, -3, v23
	s_delay_alu instid0(VALU_DEP_3) | instskip(NEXT) | instid1(VALU_DEP_3)
	v_lshlrev_b64 v[26:27], 2, v[9:10]
	v_lshlrev_b64 v[31:32], 4, v[24:25]
	v_add_nc_u32_e32 v24, -6, v23
	v_add_nc_u32_e32 v9, 8, v9
	v_lshlrev_b64 v[29:30], 4, v[29:30]
	v_add_co_u32 v26, vcc_lo, s6, v26
	v_add_co_ci_u32_e32 v27, vcc_lo, s7, v27, vcc_lo
	v_add_co_u32 v66, vcc_lo, s8, v31
	v_add_co_ci_u32_e32 v67, vcc_lo, s9, v32, vcc_lo
	global_load_b32 v10, v[26:27], off
	v_dual_mov_b32 v27, v25 :: v_dual_add_nc_u32 v26, -7, v23
	v_lshlrev_b64 v[54:55], 4, v[24:25]
	v_add_nc_u32_e32 v24, -2, v23
	s_delay_alu instid0(VALU_DEP_3) | instskip(NEXT) | instid1(VALU_DEP_2)
	v_lshlrev_b64 v[26:27], 4, v[26:27]
	v_lshlrev_b64 v[56:57], 4, v[24:25]
	v_add_nc_u32_e32 v24, -5, v23
	s_delay_alu instid0(VALU_DEP_3) | instskip(NEXT) | instid1(VALU_DEP_4)
	v_add_co_u32 v26, vcc_lo, s8, v26
	v_add_co_ci_u32_e32 v27, vcc_lo, s9, v27, vcc_lo
	v_add_co_u32 v42, vcc_lo, s8, v29
	v_add_co_ci_u32_e32 v43, vcc_lo, s9, v30, vcc_lo
	s_clause 0x3
	global_load_b128 v[29:32], v[66:67], off offset:16
	global_load_b128 v[34:37], v[66:67], off
	global_load_b128 v[38:41], v[26:27], off
	;; [unrolled: 1-line block ×3, first 2 shown]
	v_lshlrev_b64 v[70:71], 4, v[24:25]
	v_add_nc_u32_e32 v24, -1, v23
	s_delay_alu instid0(VALU_DEP_1) | instskip(SKIP_3) | instid1(VALU_DEP_1)
	v_lshlrev_b64 v[72:73], 4, v[24:25]
	v_mov_b32_e32 v24, v25
	s_waitcnt vmcnt(4)
	v_subrev_nc_u32_e32 v10, s12, v10
	v_lshlrev_b32_e32 v46, 2, v10
	s_delay_alu instid0(VALU_DEP_1) | instskip(NEXT) | instid1(VALU_DEP_1)
	v_lshlrev_b64 v[26:27], 4, v[46:47]
	v_add_co_u32 v26, vcc_lo, s10, v26
	s_delay_alu instid0(VALU_DEP_2)
	v_add_co_ci_u32_e32 v27, vcc_lo, s11, v27, vcc_lo
	v_add_co_u32 v54, vcc_lo, s8, v54
	s_clause 0x1
	global_load_b128 v[46:49], v[26:27], off
	global_load_b128 v[50:53], v[26:27], off offset:16
	v_add_co_ci_u32_e32 v55, vcc_lo, s9, v55, vcc_lo
	v_add_co_u32 v58, vcc_lo, s8, v56
	v_add_co_ci_u32_e32 v59, vcc_lo, s9, v57, vcc_lo
	s_clause 0x1
	global_load_b128 v[54:57], v[54:55], off
	global_load_b128 v[58:61], v[58:59], off
	v_add_co_u32 v70, vcc_lo, s8, v70
	v_add_co_ci_u32_e32 v71, vcc_lo, s9, v71, vcc_lo
	v_add_co_u32 v74, vcc_lo, s8, v72
	v_add_co_ci_u32_e32 v75, vcc_lo, s9, v73, vcc_lo
	s_clause 0x3
	global_load_b128 v[62:65], v[66:67], off offset:48
	global_load_b128 v[66:69], v[66:67], off offset:32
	global_load_b128 v[70:73], v[70:71], off
	global_load_b128 v[74:77], v[74:75], off
	s_clause 0x1
	global_load_b128 v[78:81], v[26:27], off offset:32
	global_load_b128 v[82:85], v[26:27], off offset:48
	v_lshlrev_b64 v[26:27], 4, v[23:24]
	v_add_nc_u32_e32 v24, -4, v23
	v_add_nc_u32_e32 v23, 0x60, v23
	s_delay_alu instid0(VALU_DEP_2) | instskip(NEXT) | instid1(VALU_DEP_4)
	v_lshlrev_b64 v[86:87], 4, v[24:25]
	v_add_co_u32 v26, vcc_lo, s8, v26
	v_add_co_ci_u32_e32 v27, vcc_lo, s9, v27, vcc_lo
	s_delay_alu instid0(VALU_DEP_3) | instskip(NEXT) | instid1(VALU_DEP_4)
	v_add_co_u32 v86, vcc_lo, s8, v86
	v_add_co_ci_u32_e32 v87, vcc_lo, s9, v87, vcc_lo
	s_clause 0x1
	global_load_b128 v[86:89], v[86:87], off
	global_load_b128 v[90:93], v[26:27], off
	v_cmp_ge_i32_e32 vcc_lo, v9, v28
	s_or_b32 s0, vcc_lo, s0
	s_waitcnt vmcnt(11)
	v_fma_f64 v[13:14], v[34:35], v[46:47], v[13:14]
	v_fma_f64 v[10:11], v[36:37], v[46:47], v[11:12]
	;; [unrolled: 1-line block ×6, first 2 shown]
	v_fma_f64 v[12:13], -v[36:37], v[48:49], v[13:14]
	v_fma_f64 v[10:11], v[34:35], v[48:49], v[10:11]
	v_fma_f64 v[19:20], -v[40:41], v[48:49], v[19:20]
	v_fma_f64 v[21:22], v[38:39], v[48:49], v[21:22]
	v_fma_f64 v[14:15], -v[44:45], v[48:49], v[15:16]
	v_fma_f64 v[16:17], v[42:43], v[48:49], v[17:18]
	s_waitcnt vmcnt(10)
	v_fma_f64 v[12:13], v[29:30], v[50:51], v[12:13]
	v_fma_f64 v[10:11], v[31:32], v[50:51], v[10:11]
	s_waitcnt vmcnt(9)
	v_fma_f64 v[18:19], v[54:55], v[50:51], v[19:20]
	v_fma_f64 v[20:21], v[56:57], v[50:51], v[21:22]
	;; [unrolled: 3-line block ×3, first 2 shown]
	v_fma_f64 v[12:13], -v[31:32], v[52:53], v[12:13]
	v_fma_f64 v[10:11], v[29:30], v[52:53], v[10:11]
	v_fma_f64 v[18:19], -v[56:57], v[52:53], v[18:19]
	v_fma_f64 v[20:21], v[54:55], v[52:53], v[20:21]
	;; [unrolled: 2-line block ×3, first 2 shown]
	s_waitcnt vmcnt(3)
	v_fma_f64 v[12:13], v[66:67], v[78:79], v[12:13]
	v_fma_f64 v[10:11], v[68:69], v[78:79], v[10:11]
	;; [unrolled: 1-line block ×6, first 2 shown]
	v_fma_f64 v[12:13], -v[68:69], v[80:81], v[12:13]
	v_fma_f64 v[10:11], v[66:67], v[80:81], v[10:11]
	v_fma_f64 v[18:19], -v[72:73], v[80:81], v[18:19]
	v_fma_f64 v[20:21], v[70:71], v[80:81], v[20:21]
	;; [unrolled: 2-line block ×3, first 2 shown]
	s_waitcnt vmcnt(2)
	v_fma_f64 v[12:13], v[62:63], v[82:83], v[12:13]
	v_fma_f64 v[10:11], v[64:65], v[82:83], v[10:11]
	s_waitcnt vmcnt(1)
	v_fma_f64 v[18:19], v[86:87], v[82:83], v[18:19]
	v_fma_f64 v[21:22], v[88:89], v[82:83], v[20:21]
	;; [unrolled: 3-line block ×3, first 2 shown]
	v_fma_f64 v[13:14], -v[64:65], v[84:85], v[12:13]
	v_fma_f64 v[11:12], v[62:63], v[84:85], v[10:11]
	v_fma_f64 v[19:20], -v[88:89], v[84:85], v[18:19]
	v_fma_f64 v[21:22], v[86:87], v[84:85], v[21:22]
	;; [unrolled: 2-line block ×3, first 2 shown]
	s_and_not1_b32 exec_lo, exec_lo, s0
	s_cbranch_execnz .LBB122_17
; %bb.18:
	s_or_b32 exec_lo, exec_lo, s0
.LBB122_19:
	s_delay_alu instid0(SALU_CYCLE_1)
	s_or_b32 exec_lo, exec_lo, s1
.LBB122_20:
	v_mbcnt_lo_u32_b32 v34, -1, 0
	s_delay_alu instid0(VALU_DEP_1) | instskip(NEXT) | instid1(VALU_DEP_1)
	v_xor_b32_e32 v9, 4, v34
	v_cmp_gt_i32_e32 vcc_lo, 32, v9
	v_cndmask_b32_e32 v9, v34, v9, vcc_lo
	s_delay_alu instid0(VALU_DEP_1)
	v_lshlrev_b32_e32 v32, 2, v9
	ds_bpermute_b32 v9, v32, v13
	ds_bpermute_b32 v10, v32, v14
	;; [unrolled: 1-line block ×12, first 2 shown]
	s_waitcnt lgkmcnt(10)
	v_add_f64 v[9:10], v[13:14], v[9:10]
	s_waitcnt lgkmcnt(8)
	v_add_f64 v[11:12], v[11:12], v[23:24]
	;; [unrolled: 2-line block ×6, first 2 shown]
	v_xor_b32_e32 v17, 2, v34
	s_delay_alu instid0(VALU_DEP_1) | instskip(SKIP_1) | instid1(VALU_DEP_1)
	v_cmp_gt_i32_e32 vcc_lo, 32, v17
	v_cndmask_b32_e32 v17, v34, v17, vcc_lo
	v_lshlrev_b32_e32 v32, 2, v17
	ds_bpermute_b32 v17, v32, v9
	ds_bpermute_b32 v18, v32, v10
	;; [unrolled: 1-line block ×12, first 2 shown]
	s_waitcnt lgkmcnt(10)
	v_add_f64 v[9:10], v[9:10], v[17:18]
	s_waitcnt lgkmcnt(8)
	v_add_f64 v[19:20], v[11:12], v[19:20]
	;; [unrolled: 2-line block ×4, first 2 shown]
	v_xor_b32_e32 v21, 1, v34
	s_waitcnt lgkmcnt(2)
	v_add_f64 v[13:14], v[15:16], v[29:30]
	s_waitcnt lgkmcnt(0)
	v_add_f64 v[15:16], v[23:24], v[31:32]
	v_cmp_gt_i32_e32 vcc_lo, 32, v21
	v_cndmask_b32_e32 v21, v34, v21, vcc_lo
	v_cmp_eq_u32_e32 vcc_lo, 7, v33
	s_delay_alu instid0(VALU_DEP_2)
	v_lshlrev_b32_e32 v24, 2, v21
	ds_bpermute_b32 v31, v24, v9
	ds_bpermute_b32 v32, v24, v10
	;; [unrolled: 1-line block ×12, first 2 shown]
	s_and_b32 exec_lo, exec_lo, vcc_lo
	s_cbranch_execz .LBB122_25
; %bb.21:
	v_cmp_eq_f64_e32 vcc_lo, 0, v[4:5]
	v_cmp_eq_f64_e64 s0, 0, v[6:7]
	s_waitcnt lgkmcnt(10)
	v_add_f64 v[9:10], v[9:10], v[31:32]
	s_waitcnt lgkmcnt(8)
	v_add_f64 v[19:20], v[19:20], v[29:30]
	s_waitcnt lgkmcnt(6)
	v_add_f64 v[11:12], v[11:12], v[27:28]
	s_waitcnt lgkmcnt(4)
	v_add_f64 v[17:18], v[17:18], v[25:26]
	s_waitcnt lgkmcnt(2)
	v_add_f64 v[13:14], v[13:14], v[21:22]
	s_waitcnt lgkmcnt(0)
	v_add_f64 v[15:16], v[15:16], v[23:24]
	s_load_b64 s[2:3], s[2:3], 0x48
	s_and_b32 s0, vcc_lo, s0
	s_delay_alu instid0(SALU_CYCLE_1) | instskip(NEXT) | instid1(SALU_CYCLE_1)
	s_and_saveexec_b32 s1, s0
	s_xor_b32 s0, exec_lo, s1
	s_cbranch_execz .LBB122_23
; %bb.22:
	v_mul_f64 v[4:5], v[19:20], -v[2:3]
	v_mul_f64 v[6:7], v[0:1], v[19:20]
	v_mul_f64 v[19:20], v[17:18], -v[2:3]
	v_mul_f64 v[17:18], v[0:1], v[17:18]
	;; [unrolled: 2-line block ×3, first 2 shown]
	v_fma_f64 v[4:5], v[0:1], v[9:10], v[4:5]
	v_fma_f64 v[6:7], v[2:3], v[9:10], v[6:7]
	;; [unrolled: 1-line block ×6, first 2 shown]
	v_lshl_add_u32 v13, v8, 1, v8
                                        ; implicit-def: $vgpr8
                                        ; implicit-def: $vgpr19_vgpr20
                                        ; implicit-def: $vgpr17_vgpr18
                                        ; implicit-def: $vgpr15_vgpr16
	s_delay_alu instid0(VALU_DEP_1) | instskip(NEXT) | instid1(VALU_DEP_1)
	v_ashrrev_i32_e32 v14, 31, v13
	v_lshlrev_b64 v[13:14], 4, v[13:14]
	s_waitcnt lgkmcnt(0)
	s_delay_alu instid0(VALU_DEP_1) | instskip(NEXT) | instid1(VALU_DEP_2)
	v_add_co_u32 v13, vcc_lo, s2, v13
	v_add_co_ci_u32_e32 v14, vcc_lo, s3, v14, vcc_lo
	s_clause 0x2
	global_store_b128 v[13:14], v[4:7], off
	global_store_b128 v[13:14], v[9:12], off offset:16
	global_store_b128 v[13:14], v[0:3], off offset:32
                                        ; implicit-def: $vgpr0_vgpr1
                                        ; implicit-def: $vgpr2_vgpr3
                                        ; implicit-def: $vgpr4_vgpr5
                                        ; implicit-def: $vgpr6_vgpr7
                                        ; implicit-def: $vgpr9_vgpr10
                                        ; implicit-def: $vgpr11_vgpr12
                                        ; implicit-def: $vgpr13_vgpr14
.LBB122_23:
	s_and_not1_saveexec_b32 s0, s0
	s_cbranch_execz .LBB122_25
; %bb.24:
	v_lshl_add_u32 v21, v8, 1, v8
	v_mul_f64 v[35:36], v[19:20], -v[2:3]
	v_mul_f64 v[19:20], v[0:1], v[19:20]
	v_mul_f64 v[37:38], v[17:18], -v[2:3]
	v_mul_f64 v[17:18], v[0:1], v[17:18]
	v_ashrrev_i32_e32 v22, 31, v21
	v_mul_f64 v[39:40], v[15:16], -v[2:3]
	v_mul_f64 v[15:16], v[0:1], v[15:16]
	s_delay_alu instid0(VALU_DEP_3) | instskip(SKIP_1) | instid1(VALU_DEP_1)
	v_lshlrev_b64 v[21:22], 4, v[21:22]
	s_waitcnt lgkmcnt(0)
	v_add_co_u32 v33, vcc_lo, s2, v21
	s_delay_alu instid0(VALU_DEP_2)
	v_add_co_ci_u32_e32 v34, vcc_lo, s3, v22, vcc_lo
	s_clause 0x2
	global_load_b128 v[21:24], v[33:34], off
	global_load_b128 v[25:28], v[33:34], off offset:16
	global_load_b128 v[29:32], v[33:34], off offset:32
	v_fma_f64 v[35:36], v[0:1], v[9:10], v[35:36]
	v_fma_f64 v[8:9], v[2:3], v[9:10], v[19:20]
	;; [unrolled: 1-line block ×6, first 2 shown]
	s_waitcnt vmcnt(2)
	v_fma_f64 v[12:13], v[4:5], v[21:22], v[35:36]
	v_fma_f64 v[8:9], v[6:7], v[21:22], v[8:9]
	s_waitcnt vmcnt(1)
	v_fma_f64 v[14:15], v[4:5], v[25:26], v[19:20]
	v_fma_f64 v[10:11], v[6:7], v[25:26], v[10:11]
	;; [unrolled: 3-line block ×3, first 2 shown]
	v_fma_f64 v[0:1], -v[6:7], v[23:24], v[12:13]
	v_fma_f64 v[2:3], v[4:5], v[23:24], v[8:9]
	v_fma_f64 v[8:9], -v[6:7], v[27:28], v[14:15]
	v_fma_f64 v[10:11], v[4:5], v[27:28], v[10:11]
	;; [unrolled: 2-line block ×3, first 2 shown]
	s_clause 0x2
	global_store_b128 v[33:34], v[0:3], off
	global_store_b128 v[33:34], v[8:11], off offset:16
	global_store_b128 v[33:34], v[12:15], off offset:32
.LBB122_25:
	s_nop 0
	s_sendmsg sendmsg(MSG_DEALLOC_VGPRS)
	s_endpgm
	.section	.rodata,"a",@progbits
	.p2align	6, 0x0
	.amdhsa_kernel _ZN9rocsparseL19gebsrmvn_3xn_kernelILj128ELj4ELj8E21rocsparse_complex_numIdEEEvi20rocsparse_direction_NS_24const_host_device_scalarIT2_EEPKiS8_PKS5_SA_S6_PS5_21rocsparse_index_base_b
		.amdhsa_group_segment_fixed_size 2048
		.amdhsa_private_segment_fixed_size 0
		.amdhsa_kernarg_size 88
		.amdhsa_user_sgpr_count 15
		.amdhsa_user_sgpr_dispatch_ptr 1
		.amdhsa_user_sgpr_queue_ptr 0
		.amdhsa_user_sgpr_kernarg_segment_ptr 1
		.amdhsa_user_sgpr_dispatch_id 0
		.amdhsa_user_sgpr_private_segment_size 0
		.amdhsa_wavefront_size32 1
		.amdhsa_uses_dynamic_stack 0
		.amdhsa_enable_private_segment 0
		.amdhsa_system_sgpr_workgroup_id_x 1
		.amdhsa_system_sgpr_workgroup_id_y 0
		.amdhsa_system_sgpr_workgroup_id_z 0
		.amdhsa_system_sgpr_workgroup_info 0
		.amdhsa_system_vgpr_workitem_id 2
		.amdhsa_next_free_vgpr 94
		.amdhsa_next_free_sgpr 18
		.amdhsa_reserve_vcc 1
		.amdhsa_float_round_mode_32 0
		.amdhsa_float_round_mode_16_64 0
		.amdhsa_float_denorm_mode_32 3
		.amdhsa_float_denorm_mode_16_64 3
		.amdhsa_dx10_clamp 1
		.amdhsa_ieee_mode 1
		.amdhsa_fp16_overflow 0
		.amdhsa_workgroup_processor_mode 1
		.amdhsa_memory_ordered 1
		.amdhsa_forward_progress 0
		.amdhsa_shared_vgpr_count 0
		.amdhsa_exception_fp_ieee_invalid_op 0
		.amdhsa_exception_fp_denorm_src 0
		.amdhsa_exception_fp_ieee_div_zero 0
		.amdhsa_exception_fp_ieee_overflow 0
		.amdhsa_exception_fp_ieee_underflow 0
		.amdhsa_exception_fp_ieee_inexact 0
		.amdhsa_exception_int_div_zero 0
	.end_amdhsa_kernel
	.section	.text._ZN9rocsparseL19gebsrmvn_3xn_kernelILj128ELj4ELj8E21rocsparse_complex_numIdEEEvi20rocsparse_direction_NS_24const_host_device_scalarIT2_EEPKiS8_PKS5_SA_S6_PS5_21rocsparse_index_base_b,"axG",@progbits,_ZN9rocsparseL19gebsrmvn_3xn_kernelILj128ELj4ELj8E21rocsparse_complex_numIdEEEvi20rocsparse_direction_NS_24const_host_device_scalarIT2_EEPKiS8_PKS5_SA_S6_PS5_21rocsparse_index_base_b,comdat
.Lfunc_end122:
	.size	_ZN9rocsparseL19gebsrmvn_3xn_kernelILj128ELj4ELj8E21rocsparse_complex_numIdEEEvi20rocsparse_direction_NS_24const_host_device_scalarIT2_EEPKiS8_PKS5_SA_S6_PS5_21rocsparse_index_base_b, .Lfunc_end122-_ZN9rocsparseL19gebsrmvn_3xn_kernelILj128ELj4ELj8E21rocsparse_complex_numIdEEEvi20rocsparse_direction_NS_24const_host_device_scalarIT2_EEPKiS8_PKS5_SA_S6_PS5_21rocsparse_index_base_b
                                        ; -- End function
	.section	.AMDGPU.csdata,"",@progbits
; Kernel info:
; codeLenInByte = 3716
; NumSgprs: 20
; NumVgprs: 94
; ScratchSize: 0
; MemoryBound: 0
; FloatMode: 240
; IeeeMode: 1
; LDSByteSize: 2048 bytes/workgroup (compile time only)
; SGPRBlocks: 2
; VGPRBlocks: 11
; NumSGPRsForWavesPerEU: 20
; NumVGPRsForWavesPerEU: 94
; Occupancy: 16
; WaveLimiterHint : 1
; COMPUTE_PGM_RSRC2:SCRATCH_EN: 0
; COMPUTE_PGM_RSRC2:USER_SGPR: 15
; COMPUTE_PGM_RSRC2:TRAP_HANDLER: 0
; COMPUTE_PGM_RSRC2:TGID_X_EN: 1
; COMPUTE_PGM_RSRC2:TGID_Y_EN: 0
; COMPUTE_PGM_RSRC2:TGID_Z_EN: 0
; COMPUTE_PGM_RSRC2:TIDIG_COMP_CNT: 2
	.section	.text._ZN9rocsparseL19gebsrmvn_3xn_kernelILj128ELj4ELj16E21rocsparse_complex_numIdEEEvi20rocsparse_direction_NS_24const_host_device_scalarIT2_EEPKiS8_PKS5_SA_S6_PS5_21rocsparse_index_base_b,"axG",@progbits,_ZN9rocsparseL19gebsrmvn_3xn_kernelILj128ELj4ELj16E21rocsparse_complex_numIdEEEvi20rocsparse_direction_NS_24const_host_device_scalarIT2_EEPKiS8_PKS5_SA_S6_PS5_21rocsparse_index_base_b,comdat
	.globl	_ZN9rocsparseL19gebsrmvn_3xn_kernelILj128ELj4ELj16E21rocsparse_complex_numIdEEEvi20rocsparse_direction_NS_24const_host_device_scalarIT2_EEPKiS8_PKS5_SA_S6_PS5_21rocsparse_index_base_b ; -- Begin function _ZN9rocsparseL19gebsrmvn_3xn_kernelILj128ELj4ELj16E21rocsparse_complex_numIdEEEvi20rocsparse_direction_NS_24const_host_device_scalarIT2_EEPKiS8_PKS5_SA_S6_PS5_21rocsparse_index_base_b
	.p2align	8
	.type	_ZN9rocsparseL19gebsrmvn_3xn_kernelILj128ELj4ELj16E21rocsparse_complex_numIdEEEvi20rocsparse_direction_NS_24const_host_device_scalarIT2_EEPKiS8_PKS5_SA_S6_PS5_21rocsparse_index_base_b,@function
_ZN9rocsparseL19gebsrmvn_3xn_kernelILj128ELj4ELj16E21rocsparse_complex_numIdEEEvi20rocsparse_direction_NS_24const_host_device_scalarIT2_EEPKiS8_PKS5_SA_S6_PS5_21rocsparse_index_base_b: ; @_ZN9rocsparseL19gebsrmvn_3xn_kernelILj128ELj4ELj16E21rocsparse_complex_numIdEEEvi20rocsparse_direction_NS_24const_host_device_scalarIT2_EEPKiS8_PKS5_SA_S6_PS5_21rocsparse_index_base_b
; %bb.0:
	s_load_b64 s[12:13], s[2:3], 0x50
	s_load_b64 s[16:17], s[0:1], 0x4
	s_load_b128 s[8:11], s[2:3], 0x8
	v_bfe_u32 v1, v0, 10, 10
	s_mov_b64 s[0:1], src_shared_base
	s_load_b128 s[4:7], s[2:3], 0x38
	v_and_b32_e32 v10, 0x3ff, v0
	v_bfe_u32 v0, v0, 20, 10
	s_waitcnt lgkmcnt(0)
	s_bitcmp1_b32 s13, 0
	v_mul_u32_u24_e32 v1, s17, v1
	s_cselect_b32 s0, -1, 0
	s_delay_alu instid0(SALU_CYCLE_1)
	s_and_b32 vcc_lo, s0, exec_lo
	s_cselect_b32 s13, s1, s9
	s_lshr_b32 s14, s16, 16
	v_dual_mov_b32 v2, s4 :: v_dual_mov_b32 v3, s5
	s_mul_i32 s14, s14, s17
	v_mov_b32_e32 v6, s13
	v_mad_u32_u24 v1, s14, v10, v1
	s_delay_alu instid0(VALU_DEP_1) | instskip(SKIP_1) | instid1(VALU_DEP_2)
	v_add_lshl_u32 v4, v1, v0, 3
	v_dual_mov_b32 v0, s8 :: v_dual_mov_b32 v1, s9
	v_add_nc_u32_e32 v5, 0x400, v4
	ds_store_2addr_stride64_b64 v4, v[2:3], v[0:1] offset1:2
	v_dual_mov_b32 v2, s10 :: v_dual_mov_b32 v3, s11
	v_cndmask_b32_e64 v5, s8, v5, s0
	s_xor_b32 s10, s0, -1
	flat_load_b64 v[0:1], v[5:6]
	s_cbranch_vccnz .LBB123_2
; %bb.1:
	v_dual_mov_b32 v2, s8 :: v_dual_mov_b32 v3, s9
	flat_load_b64 v[2:3], v[2:3] offset:8
.LBB123_2:
	s_and_b32 s8, s0, exec_lo
	s_cselect_b32 s1, s1, s5
	v_cndmask_b32_e64 v4, s4, v4, s0
	v_dual_mov_b32 v5, s1 :: v_dual_mov_b32 v6, s6
	v_mov_b32_e32 v7, s7
	s_and_not1_b32 vcc_lo, exec_lo, s10
	flat_load_b64 v[4:5], v[4:5]
	s_cbranch_vccnz .LBB123_4
; %bb.3:
	v_dual_mov_b32 v7, s5 :: v_dual_mov_b32 v6, s4
	flat_load_b64 v[6:7], v[6:7] offset:8
.LBB123_4:
	s_waitcnt vmcnt(1) lgkmcnt(1)
	v_cmp_eq_f64_e32 vcc_lo, 0, v[0:1]
	v_cmp_eq_f64_e64 s0, 0, v[2:3]
	s_delay_alu instid0(VALU_DEP_1)
	s_and_b32 s4, vcc_lo, s0
	s_mov_b32 s0, -1
	s_and_saveexec_b32 s1, s4
	s_cbranch_execz .LBB123_6
; %bb.5:
	s_waitcnt vmcnt(0) lgkmcnt(0)
	v_cmp_neq_f64_e32 vcc_lo, 1.0, v[4:5]
	v_cmp_neq_f64_e64 s0, 0, v[6:7]
	s_delay_alu instid0(VALU_DEP_1) | instskip(NEXT) | instid1(SALU_CYCLE_1)
	s_or_b32 s0, vcc_lo, s0
	s_or_not1_b32 s0, s0, exec_lo
.LBB123_6:
	s_or_b32 exec_lo, exec_lo, s1
	s_and_saveexec_b32 s1, s0
	s_cbranch_execz .LBB123_25
; %bb.7:
	s_load_b64 s[0:1], s[2:3], 0x0
	v_lshrrev_b32_e32 v8, 4, v10
	s_delay_alu instid0(VALU_DEP_1) | instskip(SKIP_1) | instid1(VALU_DEP_1)
	v_lshl_or_b32 v8, s15, 3, v8
	s_waitcnt lgkmcnt(0)
	v_cmp_gt_i32_e32 vcc_lo, s0, v8
	s_and_b32 exec_lo, exec_lo, vcc_lo
	s_cbranch_execz .LBB123_25
; %bb.8:
	s_load_b256 s[4:11], s[2:3], 0x18
	v_ashrrev_i32_e32 v9, 31, v8
	v_and_b32_e32 v33, 15, v10
	s_cmp_lg_u32 s1, 0
	s_delay_alu instid0(VALU_DEP_2) | instskip(SKIP_1) | instid1(VALU_DEP_1)
	v_lshlrev_b64 v[11:12], 2, v[8:9]
	s_waitcnt lgkmcnt(0)
	v_add_co_u32 v11, vcc_lo, s4, v11
	s_delay_alu instid0(VALU_DEP_2) | instskip(SKIP_4) | instid1(VALU_DEP_2)
	v_add_co_ci_u32_e32 v12, vcc_lo, s5, v12, vcc_lo
	global_load_b64 v[11:12], v[11:12], off
	s_waitcnt vmcnt(0)
	v_subrev_nc_u32_e32 v9, s12, v11
	v_subrev_nc_u32_e32 v28, s12, v12
	v_add_nc_u32_e32 v11, v9, v33
	s_delay_alu instid0(VALU_DEP_1)
	v_cmp_lt_i32_e64 s0, v11, v28
	s_cbranch_scc0 .LBB123_14
; %bb.9:
	v_mov_b32_e32 v9, 0
	v_mov_b32_e32 v10, 0
	s_delay_alu instid0(VALU_DEP_1)
	v_dual_mov_b32 v14, v10 :: v_dual_mov_b32 v13, v9
	v_dual_mov_b32 v16, v10 :: v_dual_mov_b32 v15, v9
	;; [unrolled: 1-line block ×5, first 2 shown]
	s_and_saveexec_b32 s1, s0
	s_cbranch_execz .LBB123_13
; %bb.10:
	v_dual_mov_b32 v9, 0 :: v_dual_mov_b32 v26, v11
	v_dual_mov_b32 v10, 0 :: v_dual_mov_b32 v25, 0
	v_mad_u64_u32 v[23:24], null, v11, 12, 11
	s_mov_b32 s4, 0
	s_delay_alu instid0(VALU_DEP_2)
	v_dual_mov_b32 v14, v10 :: v_dual_mov_b32 v13, v9
	v_dual_mov_b32 v16, v10 :: v_dual_mov_b32 v15, v9
	;; [unrolled: 1-line block ×5, first 2 shown]
.LBB123_11:                             ; =>This Inner Loop Header: Depth=1
	v_ashrrev_i32_e32 v27, 31, v26
	v_dual_mov_b32 v47, v25 :: v_dual_add_nc_u32 v24, -11, v23
	s_delay_alu instid0(VALU_DEP_2) | instskip(SKIP_1) | instid1(VALU_DEP_2)
	v_lshlrev_b64 v[29:30], 2, v[26:27]
	v_add_nc_u32_e32 v26, 16, v26
	v_add_co_u32 v29, vcc_lo, s6, v29
	s_delay_alu instid0(VALU_DEP_3) | instskip(SKIP_3) | instid1(VALU_DEP_1)
	v_add_co_ci_u32_e32 v30, vcc_lo, s7, v30, vcc_lo
	global_load_b32 v12, v[29:30], off
	v_lshlrev_b64 v[29:30], 4, v[24:25]
	v_add_nc_u32_e32 v24, -7, v23
	v_lshlrev_b64 v[54:55], 4, v[24:25]
	s_delay_alu instid0(VALU_DEP_3) | instskip(NEXT) | instid1(VALU_DEP_4)
	v_add_co_u32 v42, vcc_lo, s8, v29
	v_add_co_ci_u32_e32 v43, vcc_lo, s9, v30, vcc_lo
	v_add_nc_u32_e32 v24, -6, v23
	s_clause 0x3
	global_load_b128 v[29:32], v[42:43], off offset:48
	global_load_b128 v[34:37], v[42:43], off offset:32
	;; [unrolled: 1-line block ×3, first 2 shown]
	global_load_b128 v[42:45], v[42:43], off
	v_lshlrev_b64 v[56:57], 4, v[24:25]
	v_add_nc_u32_e32 v24, -5, v23
	s_delay_alu instid0(VALU_DEP_1) | instskip(SKIP_1) | instid1(VALU_DEP_1)
	v_lshlrev_b64 v[62:63], 4, v[24:25]
	v_add_nc_u32_e32 v24, -4, v23
	v_lshlrev_b64 v[66:67], 4, v[24:25]
	v_add_nc_u32_e32 v24, -3, v23
	s_delay_alu instid0(VALU_DEP_1) | instskip(SKIP_1) | instid1(VALU_DEP_1)
	v_lshlrev_b64 v[68:69], 4, v[24:25]
	v_mov_b32_e32 v24, v25
	v_lshlrev_b64 v[82:83], 4, v[23:24]
	v_add_nc_u32_e32 v24, -2, v23
	s_waitcnt vmcnt(4)
	v_subrev_nc_u32_e32 v12, s12, v12
	s_delay_alu instid0(VALU_DEP_1) | instskip(NEXT) | instid1(VALU_DEP_1)
	v_lshlrev_b32_e32 v46, 2, v12
	v_lshlrev_b64 v[46:47], 4, v[46:47]
	s_delay_alu instid0(VALU_DEP_1) | instskip(NEXT) | instid1(VALU_DEP_2)
	v_add_co_u32 v78, vcc_lo, s10, v46
	v_add_co_ci_u32_e32 v79, vcc_lo, s11, v47, vcc_lo
	v_add_co_u32 v54, vcc_lo, s8, v54
	v_add_co_ci_u32_e32 v55, vcc_lo, s9, v55, vcc_lo
	s_clause 0x1
	global_load_b128 v[46:49], v[78:79], off
	global_load_b128 v[50:53], v[78:79], off offset:16
	v_add_co_u32 v58, vcc_lo, s8, v56
	v_add_co_ci_u32_e32 v59, vcc_lo, s9, v57, vcc_lo
	s_clause 0x1
	global_load_b128 v[54:57], v[54:55], off
	global_load_b128 v[58:61], v[58:59], off
	v_add_co_u32 v62, vcc_lo, s8, v62
	v_add_co_ci_u32_e32 v63, vcc_lo, s9, v63, vcc_lo
	v_add_co_u32 v66, vcc_lo, s8, v66
	v_add_co_ci_u32_e32 v67, vcc_lo, s9, v67, vcc_lo
	;; [unrolled: 2-line block ×3, first 2 shown]
	s_clause 0x2
	global_load_b128 v[62:65], v[62:63], off
	global_load_b128 v[66:69], v[66:67], off
	;; [unrolled: 1-line block ×3, first 2 shown]
	s_clause 0x1
	global_load_b128 v[74:77], v[78:79], off offset:32
	global_load_b128 v[78:81], v[78:79], off offset:48
	v_add_co_u32 v90, vcc_lo, s8, v82
	v_add_co_ci_u32_e32 v91, vcc_lo, s9, v83, vcc_lo
	v_lshlrev_b64 v[82:83], 4, v[24:25]
	v_add_nc_u32_e32 v24, -1, v23
	v_add_nc_u32_e32 v23, 0xc0, v23
	s_delay_alu instid0(VALU_DEP_2) | instskip(NEXT) | instid1(VALU_DEP_4)
	v_lshlrev_b64 v[84:85], 4, v[24:25]
	v_add_co_u32 v82, vcc_lo, s8, v82
	v_add_co_ci_u32_e32 v83, vcc_lo, s9, v83, vcc_lo
	s_delay_alu instid0(VALU_DEP_3) | instskip(NEXT) | instid1(VALU_DEP_4)
	v_add_co_u32 v86, vcc_lo, s8, v84
	v_add_co_ci_u32_e32 v87, vcc_lo, s9, v85, vcc_lo
	s_clause 0x2
	global_load_b128 v[82:85], v[82:83], off
	global_load_b128 v[86:89], v[86:87], off
	;; [unrolled: 1-line block ×3, first 2 shown]
	v_cmp_ge_i32_e32 vcc_lo, v26, v28
	s_or_b32 s4, vcc_lo, s4
	s_waitcnt vmcnt(11)
	v_fma_f64 v[12:13], v[42:43], v[46:47], v[13:14]
	v_fma_f64 v[9:10], v[44:45], v[46:47], v[9:10]
	;; [unrolled: 1-line block ×6, first 2 shown]
	v_fma_f64 v[12:13], -v[44:45], v[48:49], v[12:13]
	v_fma_f64 v[9:10], v[42:43], v[48:49], v[9:10]
	v_fma_f64 v[18:19], -v[40:41], v[48:49], v[19:20]
	v_fma_f64 v[20:21], v[38:39], v[48:49], v[21:22]
	;; [unrolled: 2-line block ×3, first 2 shown]
	s_waitcnt vmcnt(10)
	v_fma_f64 v[12:13], v[29:30], v[50:51], v[12:13]
	v_fma_f64 v[9:10], v[31:32], v[50:51], v[9:10]
	s_waitcnt vmcnt(9)
	v_fma_f64 v[18:19], v[54:55], v[50:51], v[18:19]
	v_fma_f64 v[20:21], v[56:57], v[50:51], v[20:21]
	;; [unrolled: 3-line block ×3, first 2 shown]
	v_fma_f64 v[12:13], -v[31:32], v[52:53], v[12:13]
	v_fma_f64 v[9:10], v[29:30], v[52:53], v[9:10]
	v_fma_f64 v[18:19], -v[56:57], v[52:53], v[18:19]
	v_fma_f64 v[20:21], v[54:55], v[52:53], v[20:21]
	;; [unrolled: 2-line block ×3, first 2 shown]
	s_waitcnt vmcnt(4)
	v_fma_f64 v[12:13], v[62:63], v[74:75], v[12:13]
	v_fma_f64 v[9:10], v[64:65], v[74:75], v[9:10]
	;; [unrolled: 1-line block ×6, first 2 shown]
	v_fma_f64 v[12:13], -v[64:65], v[76:77], v[12:13]
	v_fma_f64 v[9:10], v[62:63], v[76:77], v[9:10]
	v_fma_f64 v[18:19], -v[68:69], v[76:77], v[18:19]
	v_fma_f64 v[20:21], v[66:67], v[76:77], v[20:21]
	;; [unrolled: 2-line block ×3, first 2 shown]
	s_waitcnt vmcnt(2)
	v_fma_f64 v[12:13], v[82:83], v[78:79], v[12:13]
	v_fma_f64 v[9:10], v[84:85], v[78:79], v[9:10]
	s_waitcnt vmcnt(1)
	v_fma_f64 v[18:19], v[86:87], v[78:79], v[18:19]
	v_fma_f64 v[21:22], v[88:89], v[78:79], v[20:21]
	;; [unrolled: 3-line block ×3, first 2 shown]
	v_fma_f64 v[13:14], -v[84:85], v[80:81], v[12:13]
	v_fma_f64 v[9:10], v[82:83], v[80:81], v[9:10]
	v_fma_f64 v[19:20], -v[88:89], v[80:81], v[18:19]
	v_fma_f64 v[21:22], v[86:87], v[80:81], v[21:22]
	;; [unrolled: 2-line block ×3, first 2 shown]
	s_and_not1_b32 exec_lo, exec_lo, s4
	s_cbranch_execnz .LBB123_11
; %bb.12:
	s_or_b32 exec_lo, exec_lo, s4
.LBB123_13:
	s_delay_alu instid0(SALU_CYCLE_1)
	s_or_b32 exec_lo, exec_lo, s1
	s_cbranch_execz .LBB123_15
	s_branch .LBB123_20
.LBB123_14:
                                        ; implicit-def: $vgpr9_vgpr10
                                        ; implicit-def: $vgpr13_vgpr14
                                        ; implicit-def: $vgpr15_vgpr16
                                        ; implicit-def: $vgpr17_vgpr18
                                        ; implicit-def: $vgpr19_vgpr20
                                        ; implicit-def: $vgpr21_vgpr22
.LBB123_15:
	v_mov_b32_e32 v9, 0
	v_mov_b32_e32 v10, 0
	s_delay_alu instid0(VALU_DEP_1)
	v_dual_mov_b32 v14, v10 :: v_dual_mov_b32 v13, v9
	v_dual_mov_b32 v16, v10 :: v_dual_mov_b32 v15, v9
	;; [unrolled: 1-line block ×5, first 2 shown]
	s_and_saveexec_b32 s1, s0
	s_cbranch_execz .LBB123_19
; %bb.16:
	v_mov_b32_e32 v9, 0
	v_dual_mov_b32 v10, 0 :: v_dual_mov_b32 v25, 0
	v_mad_u64_u32 v[23:24], null, v11, 12, 11
	s_mov_b32 s0, 0
	s_delay_alu instid0(VALU_DEP_2)
	v_dual_mov_b32 v14, v10 :: v_dual_mov_b32 v13, v9
	v_dual_mov_b32 v16, v10 :: v_dual_mov_b32 v15, v9
	;; [unrolled: 1-line block ×5, first 2 shown]
.LBB123_17:                             ; =>This Inner Loop Header: Depth=1
	v_ashrrev_i32_e32 v12, 31, v11
	v_dual_mov_b32 v47, v25 :: v_dual_add_nc_u32 v24, -11, v23
	v_dual_mov_b32 v30, v25 :: v_dual_add_nc_u32 v29, -3, v23
	s_delay_alu instid0(VALU_DEP_3) | instskip(NEXT) | instid1(VALU_DEP_3)
	v_lshlrev_b64 v[26:27], 2, v[11:12]
	v_lshlrev_b64 v[31:32], 4, v[24:25]
	v_add_nc_u32_e32 v24, -6, v23
	v_add_nc_u32_e32 v11, 16, v11
	v_lshlrev_b64 v[29:30], 4, v[29:30]
	v_add_co_u32 v26, vcc_lo, s6, v26
	v_add_co_ci_u32_e32 v27, vcc_lo, s7, v27, vcc_lo
	v_add_co_u32 v66, vcc_lo, s8, v31
	v_add_co_ci_u32_e32 v67, vcc_lo, s9, v32, vcc_lo
	global_load_b32 v12, v[26:27], off
	v_dual_mov_b32 v27, v25 :: v_dual_add_nc_u32 v26, -7, v23
	v_lshlrev_b64 v[54:55], 4, v[24:25]
	v_add_nc_u32_e32 v24, -2, v23
	s_delay_alu instid0(VALU_DEP_3) | instskip(NEXT) | instid1(VALU_DEP_2)
	v_lshlrev_b64 v[26:27], 4, v[26:27]
	v_lshlrev_b64 v[56:57], 4, v[24:25]
	v_add_nc_u32_e32 v24, -5, v23
	s_delay_alu instid0(VALU_DEP_3) | instskip(NEXT) | instid1(VALU_DEP_4)
	v_add_co_u32 v26, vcc_lo, s8, v26
	v_add_co_ci_u32_e32 v27, vcc_lo, s9, v27, vcc_lo
	v_add_co_u32 v42, vcc_lo, s8, v29
	v_add_co_ci_u32_e32 v43, vcc_lo, s9, v30, vcc_lo
	s_clause 0x3
	global_load_b128 v[29:32], v[66:67], off offset:16
	global_load_b128 v[34:37], v[66:67], off
	global_load_b128 v[38:41], v[26:27], off
	;; [unrolled: 1-line block ×3, first 2 shown]
	v_lshlrev_b64 v[70:71], 4, v[24:25]
	v_add_nc_u32_e32 v24, -1, v23
	s_delay_alu instid0(VALU_DEP_1) | instskip(SKIP_3) | instid1(VALU_DEP_1)
	v_lshlrev_b64 v[72:73], 4, v[24:25]
	v_mov_b32_e32 v24, v25
	s_waitcnt vmcnt(4)
	v_subrev_nc_u32_e32 v12, s12, v12
	v_lshlrev_b32_e32 v46, 2, v12
	s_delay_alu instid0(VALU_DEP_1) | instskip(NEXT) | instid1(VALU_DEP_1)
	v_lshlrev_b64 v[26:27], 4, v[46:47]
	v_add_co_u32 v26, vcc_lo, s10, v26
	s_delay_alu instid0(VALU_DEP_2)
	v_add_co_ci_u32_e32 v27, vcc_lo, s11, v27, vcc_lo
	v_add_co_u32 v54, vcc_lo, s8, v54
	s_clause 0x1
	global_load_b128 v[46:49], v[26:27], off
	global_load_b128 v[50:53], v[26:27], off offset:16
	v_add_co_ci_u32_e32 v55, vcc_lo, s9, v55, vcc_lo
	v_add_co_u32 v58, vcc_lo, s8, v56
	v_add_co_ci_u32_e32 v59, vcc_lo, s9, v57, vcc_lo
	s_clause 0x1
	global_load_b128 v[54:57], v[54:55], off
	global_load_b128 v[58:61], v[58:59], off
	v_add_co_u32 v70, vcc_lo, s8, v70
	v_add_co_ci_u32_e32 v71, vcc_lo, s9, v71, vcc_lo
	v_add_co_u32 v74, vcc_lo, s8, v72
	v_add_co_ci_u32_e32 v75, vcc_lo, s9, v73, vcc_lo
	s_clause 0x3
	global_load_b128 v[62:65], v[66:67], off offset:48
	global_load_b128 v[66:69], v[66:67], off offset:32
	global_load_b128 v[70:73], v[70:71], off
	global_load_b128 v[74:77], v[74:75], off
	s_clause 0x1
	global_load_b128 v[78:81], v[26:27], off offset:32
	global_load_b128 v[82:85], v[26:27], off offset:48
	v_lshlrev_b64 v[26:27], 4, v[23:24]
	v_add_nc_u32_e32 v24, -4, v23
	v_add_nc_u32_e32 v23, 0xc0, v23
	s_delay_alu instid0(VALU_DEP_2) | instskip(NEXT) | instid1(VALU_DEP_4)
	v_lshlrev_b64 v[86:87], 4, v[24:25]
	v_add_co_u32 v26, vcc_lo, s8, v26
	v_add_co_ci_u32_e32 v27, vcc_lo, s9, v27, vcc_lo
	s_delay_alu instid0(VALU_DEP_3) | instskip(NEXT) | instid1(VALU_DEP_4)
	v_add_co_u32 v86, vcc_lo, s8, v86
	v_add_co_ci_u32_e32 v87, vcc_lo, s9, v87, vcc_lo
	s_clause 0x1
	global_load_b128 v[86:89], v[86:87], off
	global_load_b128 v[90:93], v[26:27], off
	v_cmp_ge_i32_e32 vcc_lo, v11, v28
	s_or_b32 s0, vcc_lo, s0
	s_waitcnt vmcnt(11)
	v_fma_f64 v[12:13], v[34:35], v[46:47], v[13:14]
	v_fma_f64 v[9:10], v[36:37], v[46:47], v[9:10]
	;; [unrolled: 1-line block ×6, first 2 shown]
	v_fma_f64 v[12:13], -v[36:37], v[48:49], v[12:13]
	v_fma_f64 v[9:10], v[34:35], v[48:49], v[9:10]
	v_fma_f64 v[18:19], -v[40:41], v[48:49], v[19:20]
	v_fma_f64 v[20:21], v[38:39], v[48:49], v[21:22]
	;; [unrolled: 2-line block ×3, first 2 shown]
	s_waitcnt vmcnt(10)
	v_fma_f64 v[12:13], v[29:30], v[50:51], v[12:13]
	v_fma_f64 v[9:10], v[31:32], v[50:51], v[9:10]
	s_waitcnt vmcnt(9)
	v_fma_f64 v[18:19], v[54:55], v[50:51], v[18:19]
	v_fma_f64 v[20:21], v[56:57], v[50:51], v[20:21]
	;; [unrolled: 3-line block ×3, first 2 shown]
	v_fma_f64 v[12:13], -v[31:32], v[52:53], v[12:13]
	v_fma_f64 v[9:10], v[29:30], v[52:53], v[9:10]
	v_fma_f64 v[18:19], -v[56:57], v[52:53], v[18:19]
	v_fma_f64 v[20:21], v[54:55], v[52:53], v[20:21]
	v_fma_f64 v[14:15], -v[60:61], v[52:53], v[14:15]
	v_fma_f64 v[16:17], v[58:59], v[52:53], v[16:17]
	s_waitcnt vmcnt(3)
	v_fma_f64 v[12:13], v[66:67], v[78:79], v[12:13]
	v_fma_f64 v[9:10], v[68:69], v[78:79], v[9:10]
	;; [unrolled: 1-line block ×6, first 2 shown]
	v_fma_f64 v[12:13], -v[68:69], v[80:81], v[12:13]
	v_fma_f64 v[9:10], v[66:67], v[80:81], v[9:10]
	v_fma_f64 v[18:19], -v[72:73], v[80:81], v[18:19]
	v_fma_f64 v[20:21], v[70:71], v[80:81], v[20:21]
	;; [unrolled: 2-line block ×3, first 2 shown]
	s_waitcnt vmcnt(2)
	v_fma_f64 v[12:13], v[62:63], v[82:83], v[12:13]
	v_fma_f64 v[9:10], v[64:65], v[82:83], v[9:10]
	s_waitcnt vmcnt(1)
	v_fma_f64 v[18:19], v[86:87], v[82:83], v[18:19]
	v_fma_f64 v[21:22], v[88:89], v[82:83], v[20:21]
	s_waitcnt vmcnt(0)
	v_fma_f64 v[26:27], v[90:91], v[82:83], v[14:15]
	v_fma_f64 v[29:30], v[92:93], v[82:83], v[16:17]
	v_fma_f64 v[13:14], -v[64:65], v[84:85], v[12:13]
	v_fma_f64 v[9:10], v[62:63], v[84:85], v[9:10]
	v_fma_f64 v[19:20], -v[88:89], v[84:85], v[18:19]
	v_fma_f64 v[21:22], v[86:87], v[84:85], v[21:22]
	;; [unrolled: 2-line block ×3, first 2 shown]
	s_and_not1_b32 exec_lo, exec_lo, s0
	s_cbranch_execnz .LBB123_17
; %bb.18:
	s_or_b32 exec_lo, exec_lo, s0
.LBB123_19:
	s_delay_alu instid0(SALU_CYCLE_1)
	s_or_b32 exec_lo, exec_lo, s1
.LBB123_20:
	v_mbcnt_lo_u32_b32 v36, -1, 0
	s_delay_alu instid0(VALU_DEP_1) | instskip(NEXT) | instid1(VALU_DEP_1)
	v_xor_b32_e32 v11, 8, v36
	v_cmp_gt_i32_e32 vcc_lo, 32, v11
	v_cndmask_b32_e32 v11, v36, v11, vcc_lo
	s_delay_alu instid0(VALU_DEP_1)
	v_lshlrev_b32_e32 v32, 2, v11
	ds_bpermute_b32 v11, v32, v13
	ds_bpermute_b32 v12, v32, v14
	ds_bpermute_b32 v25, v32, v19
	ds_bpermute_b32 v26, v32, v20
	ds_bpermute_b32 v27, v32, v21
	ds_bpermute_b32 v28, v32, v22
	s_waitcnt lgkmcnt(4)
	v_add_f64 v[11:12], v[13:14], v[11:12]
	s_waitcnt lgkmcnt(2)
	v_add_f64 v[13:14], v[19:20], v[25:26]
	;; [unrolled: 2-line block ×3, first 2 shown]
	v_xor_b32_e32 v21, 4, v36
	s_delay_alu instid0(VALU_DEP_1)
	v_cmp_gt_i32_e32 vcc_lo, 32, v21
	v_cndmask_b32_e32 v21, v36, v21, vcc_lo
	ds_bpermute_b32 v23, v32, v9
	ds_bpermute_b32 v24, v32, v10
	;; [unrolled: 1-line block ×6, first 2 shown]
	s_waitcnt lgkmcnt(4)
	v_add_f64 v[9:10], v[9:10], v[23:24]
	s_waitcnt lgkmcnt(2)
	v_add_f64 v[15:16], v[15:16], v[29:30]
	;; [unrolled: 2-line block ×3, first 2 shown]
	v_lshlrev_b32_e32 v32, 2, v21
	ds_bpermute_b32 v21, v32, v11
	ds_bpermute_b32 v22, v32, v12
	;; [unrolled: 1-line block ×6, first 2 shown]
	s_waitcnt lgkmcnt(4)
	v_add_f64 v[11:12], v[11:12], v[21:22]
	s_waitcnt lgkmcnt(2)
	v_add_f64 v[13:14], v[13:14], v[25:26]
	ds_bpermute_b32 v23, v32, v9
	ds_bpermute_b32 v24, v32, v10
	;; [unrolled: 1-line block ×6, first 2 shown]
	s_waitcnt lgkmcnt(4)
	v_add_f64 v[21:22], v[9:10], v[23:24]
	v_add_f64 v[23:24], v[19:20], v[27:28]
	s_waitcnt lgkmcnt(2)
	v_add_f64 v[15:16], v[15:16], v[29:30]
	v_xor_b32_e32 v9, 2, v36
	s_waitcnt lgkmcnt(0)
	v_add_f64 v[25:26], v[17:18], v[31:32]
	s_delay_alu instid0(VALU_DEP_2) | instskip(SKIP_1) | instid1(VALU_DEP_1)
	v_cmp_gt_i32_e32 vcc_lo, 32, v9
	v_cndmask_b32_e32 v9, v36, v9, vcc_lo
	v_lshlrev_b32_e32 v19, 2, v9
	ds_bpermute_b32 v9, v19, v11
	ds_bpermute_b32 v10, v19, v12
	;; [unrolled: 1-line block ×12, first 2 shown]
	s_waitcnt lgkmcnt(10)
	v_add_f64 v[9:10], v[11:12], v[9:10]
	s_waitcnt lgkmcnt(8)
	v_add_f64 v[11:12], v[13:14], v[27:28]
	;; [unrolled: 2-line block ×3, first 2 shown]
	v_xor_b32_e32 v21, 1, v36
	s_waitcnt lgkmcnt(4)
	v_add_f64 v[17:18], v[23:24], v[29:30]
	s_waitcnt lgkmcnt(2)
	v_add_f64 v[13:14], v[15:16], v[31:32]
	;; [unrolled: 2-line block ×3, first 2 shown]
	v_cmp_gt_i32_e32 vcc_lo, 32, v21
	v_cndmask_b32_e32 v21, v36, v21, vcc_lo
	v_cmp_eq_u32_e32 vcc_lo, 15, v33
	s_delay_alu instid0(VALU_DEP_2)
	v_lshlrev_b32_e32 v24, 2, v21
	ds_bpermute_b32 v31, v24, v9
	ds_bpermute_b32 v32, v24, v10
	;; [unrolled: 1-line block ×12, first 2 shown]
	s_and_b32 exec_lo, exec_lo, vcc_lo
	s_cbranch_execz .LBB123_25
; %bb.21:
	v_cmp_eq_f64_e32 vcc_lo, 0, v[4:5]
	v_cmp_eq_f64_e64 s0, 0, v[6:7]
	s_waitcnt lgkmcnt(10)
	v_add_f64 v[9:10], v[9:10], v[31:32]
	s_waitcnt lgkmcnt(6)
	v_add_f64 v[19:20], v[19:20], v[29:30]
	v_add_f64 v[11:12], v[11:12], v[27:28]
	s_waitcnt lgkmcnt(4)
	v_add_f64 v[17:18], v[17:18], v[25:26]
	s_waitcnt lgkmcnt(2)
	;; [unrolled: 2-line block ×3, first 2 shown]
	v_add_f64 v[15:16], v[15:16], v[23:24]
	s_load_b64 s[2:3], s[2:3], 0x48
	s_and_b32 s0, vcc_lo, s0
	s_delay_alu instid0(SALU_CYCLE_1) | instskip(NEXT) | instid1(SALU_CYCLE_1)
	s_and_saveexec_b32 s1, s0
	s_xor_b32 s0, exec_lo, s1
	s_cbranch_execz .LBB123_23
; %bb.22:
	v_mul_f64 v[4:5], v[19:20], -v[2:3]
	v_mul_f64 v[6:7], v[0:1], v[19:20]
	v_mul_f64 v[19:20], v[17:18], -v[2:3]
	v_mul_f64 v[17:18], v[0:1], v[17:18]
	;; [unrolled: 2-line block ×3, first 2 shown]
	v_fma_f64 v[4:5], v[0:1], v[9:10], v[4:5]
	v_fma_f64 v[6:7], v[2:3], v[9:10], v[6:7]
	;; [unrolled: 1-line block ×6, first 2 shown]
	v_lshl_add_u32 v13, v8, 1, v8
                                        ; implicit-def: $vgpr8
                                        ; implicit-def: $vgpr19_vgpr20
                                        ; implicit-def: $vgpr17_vgpr18
                                        ; implicit-def: $vgpr15_vgpr16
	s_delay_alu instid0(VALU_DEP_1) | instskip(NEXT) | instid1(VALU_DEP_1)
	v_ashrrev_i32_e32 v14, 31, v13
	v_lshlrev_b64 v[13:14], 4, v[13:14]
	s_waitcnt lgkmcnt(0)
	s_delay_alu instid0(VALU_DEP_1) | instskip(NEXT) | instid1(VALU_DEP_2)
	v_add_co_u32 v13, vcc_lo, s2, v13
	v_add_co_ci_u32_e32 v14, vcc_lo, s3, v14, vcc_lo
	s_clause 0x2
	global_store_b128 v[13:14], v[4:7], off
	global_store_b128 v[13:14], v[9:12], off offset:16
	global_store_b128 v[13:14], v[0:3], off offset:32
                                        ; implicit-def: $vgpr0_vgpr1
                                        ; implicit-def: $vgpr2_vgpr3
                                        ; implicit-def: $vgpr4_vgpr5
                                        ; implicit-def: $vgpr6_vgpr7
                                        ; implicit-def: $vgpr9_vgpr10
                                        ; implicit-def: $vgpr11_vgpr12
                                        ; implicit-def: $vgpr13_vgpr14
.LBB123_23:
	s_and_not1_saveexec_b32 s0, s0
	s_cbranch_execz .LBB123_25
; %bb.24:
	v_lshl_add_u32 v21, v8, 1, v8
	v_mul_f64 v[35:36], v[19:20], -v[2:3]
	v_mul_f64 v[19:20], v[0:1], v[19:20]
	v_mul_f64 v[37:38], v[17:18], -v[2:3]
	v_mul_f64 v[17:18], v[0:1], v[17:18]
	v_ashrrev_i32_e32 v22, 31, v21
	v_mul_f64 v[39:40], v[15:16], -v[2:3]
	v_mul_f64 v[15:16], v[0:1], v[15:16]
	s_delay_alu instid0(VALU_DEP_3) | instskip(SKIP_1) | instid1(VALU_DEP_1)
	v_lshlrev_b64 v[21:22], 4, v[21:22]
	s_waitcnt lgkmcnt(0)
	v_add_co_u32 v33, vcc_lo, s2, v21
	s_delay_alu instid0(VALU_DEP_2)
	v_add_co_ci_u32_e32 v34, vcc_lo, s3, v22, vcc_lo
	s_clause 0x2
	global_load_b128 v[21:24], v[33:34], off
	global_load_b128 v[25:28], v[33:34], off offset:16
	global_load_b128 v[29:32], v[33:34], off offset:32
	v_fma_f64 v[35:36], v[0:1], v[9:10], v[35:36]
	v_fma_f64 v[8:9], v[2:3], v[9:10], v[19:20]
	;; [unrolled: 1-line block ×6, first 2 shown]
	s_waitcnt vmcnt(2)
	v_fma_f64 v[12:13], v[4:5], v[21:22], v[35:36]
	v_fma_f64 v[8:9], v[6:7], v[21:22], v[8:9]
	s_waitcnt vmcnt(1)
	v_fma_f64 v[14:15], v[4:5], v[25:26], v[19:20]
	v_fma_f64 v[10:11], v[6:7], v[25:26], v[10:11]
	;; [unrolled: 3-line block ×3, first 2 shown]
	v_fma_f64 v[0:1], -v[6:7], v[23:24], v[12:13]
	v_fma_f64 v[2:3], v[4:5], v[23:24], v[8:9]
	v_fma_f64 v[8:9], -v[6:7], v[27:28], v[14:15]
	v_fma_f64 v[10:11], v[4:5], v[27:28], v[10:11]
	;; [unrolled: 2-line block ×3, first 2 shown]
	s_clause 0x2
	global_store_b128 v[33:34], v[0:3], off
	global_store_b128 v[33:34], v[8:11], off offset:16
	global_store_b128 v[33:34], v[12:15], off offset:32
.LBB123_25:
	s_nop 0
	s_sendmsg sendmsg(MSG_DEALLOC_VGPRS)
	s_endpgm
	.section	.rodata,"a",@progbits
	.p2align	6, 0x0
	.amdhsa_kernel _ZN9rocsparseL19gebsrmvn_3xn_kernelILj128ELj4ELj16E21rocsparse_complex_numIdEEEvi20rocsparse_direction_NS_24const_host_device_scalarIT2_EEPKiS8_PKS5_SA_S6_PS5_21rocsparse_index_base_b
		.amdhsa_group_segment_fixed_size 2048
		.amdhsa_private_segment_fixed_size 0
		.amdhsa_kernarg_size 88
		.amdhsa_user_sgpr_count 15
		.amdhsa_user_sgpr_dispatch_ptr 1
		.amdhsa_user_sgpr_queue_ptr 0
		.amdhsa_user_sgpr_kernarg_segment_ptr 1
		.amdhsa_user_sgpr_dispatch_id 0
		.amdhsa_user_sgpr_private_segment_size 0
		.amdhsa_wavefront_size32 1
		.amdhsa_uses_dynamic_stack 0
		.amdhsa_enable_private_segment 0
		.amdhsa_system_sgpr_workgroup_id_x 1
		.amdhsa_system_sgpr_workgroup_id_y 0
		.amdhsa_system_sgpr_workgroup_id_z 0
		.amdhsa_system_sgpr_workgroup_info 0
		.amdhsa_system_vgpr_workitem_id 2
		.amdhsa_next_free_vgpr 94
		.amdhsa_next_free_sgpr 18
		.amdhsa_reserve_vcc 1
		.amdhsa_float_round_mode_32 0
		.amdhsa_float_round_mode_16_64 0
		.amdhsa_float_denorm_mode_32 3
		.amdhsa_float_denorm_mode_16_64 3
		.amdhsa_dx10_clamp 1
		.amdhsa_ieee_mode 1
		.amdhsa_fp16_overflow 0
		.amdhsa_workgroup_processor_mode 1
		.amdhsa_memory_ordered 1
		.amdhsa_forward_progress 0
		.amdhsa_shared_vgpr_count 0
		.amdhsa_exception_fp_ieee_invalid_op 0
		.amdhsa_exception_fp_denorm_src 0
		.amdhsa_exception_fp_ieee_div_zero 0
		.amdhsa_exception_fp_ieee_overflow 0
		.amdhsa_exception_fp_ieee_underflow 0
		.amdhsa_exception_fp_ieee_inexact 0
		.amdhsa_exception_int_div_zero 0
	.end_amdhsa_kernel
	.section	.text._ZN9rocsparseL19gebsrmvn_3xn_kernelILj128ELj4ELj16E21rocsparse_complex_numIdEEEvi20rocsparse_direction_NS_24const_host_device_scalarIT2_EEPKiS8_PKS5_SA_S6_PS5_21rocsparse_index_base_b,"axG",@progbits,_ZN9rocsparseL19gebsrmvn_3xn_kernelILj128ELj4ELj16E21rocsparse_complex_numIdEEEvi20rocsparse_direction_NS_24const_host_device_scalarIT2_EEPKiS8_PKS5_SA_S6_PS5_21rocsparse_index_base_b,comdat
.Lfunc_end123:
	.size	_ZN9rocsparseL19gebsrmvn_3xn_kernelILj128ELj4ELj16E21rocsparse_complex_numIdEEEvi20rocsparse_direction_NS_24const_host_device_scalarIT2_EEPKiS8_PKS5_SA_S6_PS5_21rocsparse_index_base_b, .Lfunc_end123-_ZN9rocsparseL19gebsrmvn_3xn_kernelILj128ELj4ELj16E21rocsparse_complex_numIdEEEvi20rocsparse_direction_NS_24const_host_device_scalarIT2_EEPKiS8_PKS5_SA_S6_PS5_21rocsparse_index_base_b
                                        ; -- End function
	.section	.AMDGPU.csdata,"",@progbits
; Kernel info:
; codeLenInByte = 3896
; NumSgprs: 20
; NumVgprs: 94
; ScratchSize: 0
; MemoryBound: 0
; FloatMode: 240
; IeeeMode: 1
; LDSByteSize: 2048 bytes/workgroup (compile time only)
; SGPRBlocks: 2
; VGPRBlocks: 11
; NumSGPRsForWavesPerEU: 20
; NumVGPRsForWavesPerEU: 94
; Occupancy: 16
; WaveLimiterHint : 1
; COMPUTE_PGM_RSRC2:SCRATCH_EN: 0
; COMPUTE_PGM_RSRC2:USER_SGPR: 15
; COMPUTE_PGM_RSRC2:TRAP_HANDLER: 0
; COMPUTE_PGM_RSRC2:TGID_X_EN: 1
; COMPUTE_PGM_RSRC2:TGID_Y_EN: 0
; COMPUTE_PGM_RSRC2:TGID_Z_EN: 0
; COMPUTE_PGM_RSRC2:TIDIG_COMP_CNT: 2
	.section	.text._ZN9rocsparseL19gebsrmvn_3xn_kernelILj128ELj4ELj32E21rocsparse_complex_numIdEEEvi20rocsparse_direction_NS_24const_host_device_scalarIT2_EEPKiS8_PKS5_SA_S6_PS5_21rocsparse_index_base_b,"axG",@progbits,_ZN9rocsparseL19gebsrmvn_3xn_kernelILj128ELj4ELj32E21rocsparse_complex_numIdEEEvi20rocsparse_direction_NS_24const_host_device_scalarIT2_EEPKiS8_PKS5_SA_S6_PS5_21rocsparse_index_base_b,comdat
	.globl	_ZN9rocsparseL19gebsrmvn_3xn_kernelILj128ELj4ELj32E21rocsparse_complex_numIdEEEvi20rocsparse_direction_NS_24const_host_device_scalarIT2_EEPKiS8_PKS5_SA_S6_PS5_21rocsparse_index_base_b ; -- Begin function _ZN9rocsparseL19gebsrmvn_3xn_kernelILj128ELj4ELj32E21rocsparse_complex_numIdEEEvi20rocsparse_direction_NS_24const_host_device_scalarIT2_EEPKiS8_PKS5_SA_S6_PS5_21rocsparse_index_base_b
	.p2align	8
	.type	_ZN9rocsparseL19gebsrmvn_3xn_kernelILj128ELj4ELj32E21rocsparse_complex_numIdEEEvi20rocsparse_direction_NS_24const_host_device_scalarIT2_EEPKiS8_PKS5_SA_S6_PS5_21rocsparse_index_base_b,@function
_ZN9rocsparseL19gebsrmvn_3xn_kernelILj128ELj4ELj32E21rocsparse_complex_numIdEEEvi20rocsparse_direction_NS_24const_host_device_scalarIT2_EEPKiS8_PKS5_SA_S6_PS5_21rocsparse_index_base_b: ; @_ZN9rocsparseL19gebsrmvn_3xn_kernelILj128ELj4ELj32E21rocsparse_complex_numIdEEEvi20rocsparse_direction_NS_24const_host_device_scalarIT2_EEPKiS8_PKS5_SA_S6_PS5_21rocsparse_index_base_b
; %bb.0:
	s_load_b64 s[12:13], s[2:3], 0x50
	s_load_b64 s[16:17], s[0:1], 0x4
	s_load_b128 s[8:11], s[2:3], 0x8
	v_bfe_u32 v1, v0, 10, 10
	s_mov_b64 s[0:1], src_shared_base
	s_load_b128 s[4:7], s[2:3], 0x38
	v_and_b32_e32 v10, 0x3ff, v0
	v_bfe_u32 v0, v0, 20, 10
	s_waitcnt lgkmcnt(0)
	s_bitcmp1_b32 s13, 0
	v_mul_u32_u24_e32 v1, s17, v1
	s_cselect_b32 s0, -1, 0
	s_delay_alu instid0(SALU_CYCLE_1)
	s_and_b32 vcc_lo, s0, exec_lo
	s_cselect_b32 s13, s1, s9
	s_lshr_b32 s14, s16, 16
	v_dual_mov_b32 v2, s4 :: v_dual_mov_b32 v3, s5
	s_mul_i32 s14, s14, s17
	v_mov_b32_e32 v6, s13
	v_mad_u32_u24 v1, s14, v10, v1
	s_delay_alu instid0(VALU_DEP_1) | instskip(SKIP_1) | instid1(VALU_DEP_2)
	v_add_lshl_u32 v4, v1, v0, 3
	v_dual_mov_b32 v0, s8 :: v_dual_mov_b32 v1, s9
	v_add_nc_u32_e32 v5, 0x400, v4
	ds_store_2addr_stride64_b64 v4, v[2:3], v[0:1] offset1:2
	v_dual_mov_b32 v2, s10 :: v_dual_mov_b32 v3, s11
	v_cndmask_b32_e64 v5, s8, v5, s0
	s_xor_b32 s10, s0, -1
	flat_load_b64 v[0:1], v[5:6]
	s_cbranch_vccnz .LBB124_2
; %bb.1:
	v_dual_mov_b32 v2, s8 :: v_dual_mov_b32 v3, s9
	flat_load_b64 v[2:3], v[2:3] offset:8
.LBB124_2:
	s_and_b32 s8, s0, exec_lo
	s_cselect_b32 s1, s1, s5
	v_cndmask_b32_e64 v4, s4, v4, s0
	v_dual_mov_b32 v5, s1 :: v_dual_mov_b32 v6, s6
	v_mov_b32_e32 v7, s7
	s_and_not1_b32 vcc_lo, exec_lo, s10
	flat_load_b64 v[4:5], v[4:5]
	s_cbranch_vccnz .LBB124_4
; %bb.3:
	v_dual_mov_b32 v7, s5 :: v_dual_mov_b32 v6, s4
	flat_load_b64 v[6:7], v[6:7] offset:8
.LBB124_4:
	s_waitcnt vmcnt(1) lgkmcnt(1)
	v_cmp_eq_f64_e32 vcc_lo, 0, v[0:1]
	v_cmp_eq_f64_e64 s0, 0, v[2:3]
	s_delay_alu instid0(VALU_DEP_1)
	s_and_b32 s4, vcc_lo, s0
	s_mov_b32 s0, -1
	s_and_saveexec_b32 s1, s4
	s_cbranch_execz .LBB124_6
; %bb.5:
	s_waitcnt vmcnt(0) lgkmcnt(0)
	v_cmp_neq_f64_e32 vcc_lo, 1.0, v[4:5]
	v_cmp_neq_f64_e64 s0, 0, v[6:7]
	s_delay_alu instid0(VALU_DEP_1) | instskip(NEXT) | instid1(SALU_CYCLE_1)
	s_or_b32 s0, vcc_lo, s0
	s_or_not1_b32 s0, s0, exec_lo
.LBB124_6:
	s_or_b32 exec_lo, exec_lo, s1
	s_and_saveexec_b32 s1, s0
	s_cbranch_execz .LBB124_25
; %bb.7:
	s_load_b64 s[0:1], s[2:3], 0x0
	v_lshrrev_b32_e32 v8, 5, v10
	s_delay_alu instid0(VALU_DEP_1) | instskip(SKIP_1) | instid1(VALU_DEP_1)
	v_lshl_or_b32 v8, s15, 2, v8
	s_waitcnt lgkmcnt(0)
	v_cmp_gt_i32_e32 vcc_lo, s0, v8
	s_and_b32 exec_lo, exec_lo, vcc_lo
	s_cbranch_execz .LBB124_25
; %bb.8:
	s_load_b256 s[4:11], s[2:3], 0x18
	v_ashrrev_i32_e32 v9, 31, v8
	v_and_b32_e32 v33, 31, v10
	s_cmp_lg_u32 s1, 0
	s_delay_alu instid0(VALU_DEP_2) | instskip(SKIP_1) | instid1(VALU_DEP_1)
	v_lshlrev_b64 v[11:12], 2, v[8:9]
	s_waitcnt lgkmcnt(0)
	v_add_co_u32 v11, vcc_lo, s4, v11
	s_delay_alu instid0(VALU_DEP_2) | instskip(SKIP_4) | instid1(VALU_DEP_2)
	v_add_co_ci_u32_e32 v12, vcc_lo, s5, v12, vcc_lo
	global_load_b64 v[11:12], v[11:12], off
	s_waitcnt vmcnt(0)
	v_subrev_nc_u32_e32 v9, s12, v11
	v_subrev_nc_u32_e32 v27, s12, v12
	v_add_nc_u32_e32 v21, v9, v33
	s_delay_alu instid0(VALU_DEP_1)
	v_cmp_lt_i32_e64 s0, v21, v27
	s_cbranch_scc0 .LBB124_14
; %bb.9:
	v_mov_b32_e32 v9, 0
	v_mov_b32_e32 v10, 0
	s_delay_alu instid0(VALU_DEP_1)
	v_dual_mov_b32 v12, v10 :: v_dual_mov_b32 v11, v9
	v_dual_mov_b32 v14, v10 :: v_dual_mov_b32 v13, v9
	;; [unrolled: 1-line block ×5, first 2 shown]
	s_and_saveexec_b32 s1, s0
	s_cbranch_execz .LBB124_13
; %bb.10:
	v_dual_mov_b32 v9, 0 :: v_dual_mov_b32 v24, 0
	v_dual_mov_b32 v10, 0 :: v_dual_mov_b32 v25, v21
	v_mad_u64_u32 v[22:23], null, v21, 12, 11
	s_mov_b32 s4, 0
	s_delay_alu instid0(VALU_DEP_2)
	v_dual_mov_b32 v12, v10 :: v_dual_mov_b32 v11, v9
	v_dual_mov_b32 v14, v10 :: v_dual_mov_b32 v13, v9
	;; [unrolled: 1-line block ×5, first 2 shown]
.LBB124_11:                             ; =>This Inner Loop Header: Depth=1
	v_ashrrev_i32_e32 v26, 31, v25
	v_add_nc_u32_e32 v23, -11, v22
	s_delay_alu instid0(VALU_DEP_2) | instskip(SKIP_1) | instid1(VALU_DEP_2)
	v_lshlrev_b64 v[28:29], 2, v[25:26]
	v_add_nc_u32_e32 v25, 32, v25
	v_add_co_u32 v28, vcc_lo, s6, v28
	s_delay_alu instid0(VALU_DEP_3) | instskip(SKIP_2) | instid1(VALU_DEP_1)
	v_add_co_ci_u32_e32 v29, vcc_lo, s7, v29, vcc_lo
	global_load_b32 v26, v[28:29], off
	v_lshlrev_b64 v[28:29], 4, v[23:24]
	v_add_co_u32 v42, vcc_lo, s8, v28
	s_delay_alu instid0(VALU_DEP_2)
	v_add_co_ci_u32_e32 v43, vcc_lo, s9, v29, vcc_lo
	s_clause 0x3
	global_load_b128 v[28:31], v[42:43], off offset:48
	global_load_b128 v[34:37], v[42:43], off offset:32
	;; [unrolled: 1-line block ×3, first 2 shown]
	global_load_b128 v[42:45], v[42:43], off
	s_waitcnt vmcnt(4)
	v_subrev_nc_u32_e32 v23, s12, v26
	s_delay_alu instid0(VALU_DEP_1) | instskip(SKIP_1) | instid1(VALU_DEP_2)
	v_dual_mov_b32 v47, v24 :: v_dual_lshlrev_b32 v46, 2, v23
	v_add_nc_u32_e32 v23, -7, v22
	v_lshlrev_b64 v[46:47], 4, v[46:47]
	s_delay_alu instid0(VALU_DEP_2) | instskip(SKIP_1) | instid1(VALU_DEP_3)
	v_lshlrev_b64 v[54:55], 4, v[23:24]
	v_add_nc_u32_e32 v23, -6, v22
	v_add_co_u32 v78, vcc_lo, s10, v46
	s_delay_alu instid0(VALU_DEP_4) | instskip(NEXT) | instid1(VALU_DEP_3)
	v_add_co_ci_u32_e32 v79, vcc_lo, s11, v47, vcc_lo
	v_lshlrev_b64 v[56:57], 4, v[23:24]
	v_add_co_u32 v54, vcc_lo, s8, v54
	s_clause 0x1
	global_load_b128 v[46:49], v[78:79], off
	global_load_b128 v[50:53], v[78:79], off offset:16
	v_add_co_ci_u32_e32 v55, vcc_lo, s9, v55, vcc_lo
	v_add_co_u32 v58, vcc_lo, s8, v56
	v_add_co_ci_u32_e32 v59, vcc_lo, s9, v57, vcc_lo
	s_clause 0x1
	global_load_b128 v[54:57], v[54:55], off
	global_load_b128 v[58:61], v[58:59], off
	v_add_nc_u32_e32 v23, -5, v22
	s_delay_alu instid0(VALU_DEP_1) | instskip(SKIP_1) | instid1(VALU_DEP_1)
	v_lshlrev_b64 v[62:63], 4, v[23:24]
	v_add_nc_u32_e32 v23, -4, v22
	v_lshlrev_b64 v[66:67], 4, v[23:24]
	v_add_nc_u32_e32 v23, -3, v22
	s_delay_alu instid0(VALU_DEP_4) | instskip(SKIP_1) | instid1(VALU_DEP_3)
	v_add_co_u32 v62, vcc_lo, s8, v62
	v_add_co_ci_u32_e32 v63, vcc_lo, s9, v63, vcc_lo
	v_lshlrev_b64 v[68:69], 4, v[23:24]
	v_add_co_u32 v66, vcc_lo, s8, v66
	v_add_co_ci_u32_e32 v67, vcc_lo, s9, v67, vcc_lo
	global_load_b128 v[62:65], v[62:63], off
	v_add_co_u32 v70, vcc_lo, s8, v68
	v_add_co_ci_u32_e32 v71, vcc_lo, s9, v69, vcc_lo
	s_clause 0x1
	global_load_b128 v[66:69], v[66:67], off
	global_load_b128 v[70:73], v[70:71], off
	s_clause 0x1
	global_load_b128 v[74:77], v[78:79], off offset:32
	global_load_b128 v[78:81], v[78:79], off offset:48
	v_mov_b32_e32 v23, v24
	s_delay_alu instid0(VALU_DEP_1) | instskip(SKIP_1) | instid1(VALU_DEP_2)
	v_lshlrev_b64 v[82:83], 4, v[22:23]
	v_add_nc_u32_e32 v23, -2, v22
	v_add_co_u32 v90, vcc_lo, s8, v82
	s_delay_alu instid0(VALU_DEP_3) | instskip(NEXT) | instid1(VALU_DEP_3)
	v_add_co_ci_u32_e32 v91, vcc_lo, s9, v83, vcc_lo
	v_lshlrev_b64 v[82:83], 4, v[23:24]
	v_add_nc_u32_e32 v23, -1, v22
	v_add_nc_u32_e32 v22, 0x180, v22
	s_delay_alu instid0(VALU_DEP_2) | instskip(NEXT) | instid1(VALU_DEP_4)
	v_lshlrev_b64 v[84:85], 4, v[23:24]
	v_add_co_u32 v82, vcc_lo, s8, v82
	v_add_co_ci_u32_e32 v83, vcc_lo, s9, v83, vcc_lo
	s_delay_alu instid0(VALU_DEP_3) | instskip(NEXT) | instid1(VALU_DEP_4)
	v_add_co_u32 v86, vcc_lo, s8, v84
	v_add_co_ci_u32_e32 v87, vcc_lo, s9, v85, vcc_lo
	s_clause 0x2
	global_load_b128 v[82:85], v[82:83], off
	global_load_b128 v[86:89], v[86:87], off
	;; [unrolled: 1-line block ×3, first 2 shown]
	v_cmp_ge_i32_e32 vcc_lo, v25, v27
	s_or_b32 s4, vcc_lo, s4
	s_waitcnt vmcnt(11)
	v_fma_f64 v[11:12], v[42:43], v[46:47], v[11:12]
	v_fma_f64 v[9:10], v[44:45], v[46:47], v[9:10]
	;; [unrolled: 1-line block ×6, first 2 shown]
	v_fma_f64 v[11:12], -v[44:45], v[48:49], v[11:12]
	v_fma_f64 v[9:10], v[42:43], v[48:49], v[9:10]
	v_fma_f64 v[17:18], -v[40:41], v[48:49], v[17:18]
	v_fma_f64 v[19:20], v[38:39], v[48:49], v[19:20]
	;; [unrolled: 2-line block ×3, first 2 shown]
	s_waitcnt vmcnt(10)
	v_fma_f64 v[11:12], v[28:29], v[50:51], v[11:12]
	v_fma_f64 v[9:10], v[30:31], v[50:51], v[9:10]
	s_waitcnt vmcnt(9)
	v_fma_f64 v[17:18], v[54:55], v[50:51], v[17:18]
	v_fma_f64 v[19:20], v[56:57], v[50:51], v[19:20]
	;; [unrolled: 3-line block ×3, first 2 shown]
	v_fma_f64 v[11:12], -v[30:31], v[52:53], v[11:12]
	v_fma_f64 v[9:10], v[28:29], v[52:53], v[9:10]
	v_fma_f64 v[17:18], -v[56:57], v[52:53], v[17:18]
	v_fma_f64 v[19:20], v[54:55], v[52:53], v[19:20]
	;; [unrolled: 2-line block ×3, first 2 shown]
	s_waitcnt vmcnt(4)
	v_fma_f64 v[11:12], v[62:63], v[74:75], v[11:12]
	v_fma_f64 v[9:10], v[64:65], v[74:75], v[9:10]
	;; [unrolled: 1-line block ×6, first 2 shown]
	v_fma_f64 v[11:12], -v[64:65], v[76:77], v[11:12]
	v_fma_f64 v[9:10], v[62:63], v[76:77], v[9:10]
	v_fma_f64 v[17:18], -v[68:69], v[76:77], v[17:18]
	v_fma_f64 v[19:20], v[66:67], v[76:77], v[19:20]
	;; [unrolled: 2-line block ×3, first 2 shown]
	s_waitcnt vmcnt(2)
	v_fma_f64 v[11:12], v[82:83], v[78:79], v[11:12]
	v_fma_f64 v[9:10], v[84:85], v[78:79], v[9:10]
	s_waitcnt vmcnt(1)
	v_fma_f64 v[17:18], v[86:87], v[78:79], v[17:18]
	v_fma_f64 v[19:20], v[88:89], v[78:79], v[19:20]
	;; [unrolled: 3-line block ×3, first 2 shown]
	v_fma_f64 v[11:12], -v[84:85], v[80:81], v[11:12]
	v_fma_f64 v[9:10], v[82:83], v[80:81], v[9:10]
	v_fma_f64 v[17:18], -v[88:89], v[80:81], v[17:18]
	v_fma_f64 v[19:20], v[86:87], v[80:81], v[19:20]
	v_fma_f64 v[13:14], -v[92:93], v[80:81], v[13:14]
	v_fma_f64 v[15:16], v[90:91], v[80:81], v[15:16]
	s_and_not1_b32 exec_lo, exec_lo, s4
	s_cbranch_execnz .LBB124_11
; %bb.12:
	s_or_b32 exec_lo, exec_lo, s4
.LBB124_13:
	s_delay_alu instid0(SALU_CYCLE_1)
	s_or_b32 exec_lo, exec_lo, s1
	s_cbranch_execz .LBB124_15
	s_branch .LBB124_20
.LBB124_14:
                                        ; implicit-def: $vgpr9_vgpr10
                                        ; implicit-def: $vgpr11_vgpr12
                                        ; implicit-def: $vgpr13_vgpr14
                                        ; implicit-def: $vgpr15_vgpr16
                                        ; implicit-def: $vgpr17_vgpr18
                                        ; implicit-def: $vgpr19_vgpr20
.LBB124_15:
	v_mov_b32_e32 v9, 0
	v_mov_b32_e32 v10, 0
	s_delay_alu instid0(VALU_DEP_1)
	v_dual_mov_b32 v12, v10 :: v_dual_mov_b32 v11, v9
	v_dual_mov_b32 v14, v10 :: v_dual_mov_b32 v13, v9
	;; [unrolled: 1-line block ×5, first 2 shown]
	s_and_saveexec_b32 s1, s0
	s_cbranch_execz .LBB124_19
; %bb.16:
	v_mov_b32_e32 v9, 0
	v_dual_mov_b32 v10, 0 :: v_dual_mov_b32 v25, 0
	v_mad_u64_u32 v[23:24], null, v21, 12, 11
	s_mov_b32 s0, 0
	s_delay_alu instid0(VALU_DEP_2)
	v_dual_mov_b32 v12, v10 :: v_dual_mov_b32 v11, v9
	v_dual_mov_b32 v14, v10 :: v_dual_mov_b32 v13, v9
	;; [unrolled: 1-line block ×5, first 2 shown]
.LBB124_17:                             ; =>This Inner Loop Header: Depth=1
	v_ashrrev_i32_e32 v22, 31, v21
	v_dual_mov_b32 v47, v25 :: v_dual_add_nc_u32 v24, -11, v23
	v_dual_mov_b32 v31, v25 :: v_dual_add_nc_u32 v30, -3, v23
	s_delay_alu instid0(VALU_DEP_3) | instskip(NEXT) | instid1(VALU_DEP_3)
	v_lshlrev_b64 v[28:29], 2, v[21:22]
	v_lshlrev_b64 v[34:35], 4, v[24:25]
	v_add_nc_u32_e32 v24, -6, v23
	v_add_nc_u32_e32 v21, 32, v21
	v_lshlrev_b64 v[30:31], 4, v[30:31]
	v_add_co_u32 v28, vcc_lo, s6, v28
	v_add_co_ci_u32_e32 v29, vcc_lo, s7, v29, vcc_lo
	v_add_co_u32 v66, vcc_lo, s8, v34
	v_add_co_ci_u32_e32 v67, vcc_lo, s9, v35, vcc_lo
	global_load_b32 v22, v[28:29], off
	v_dual_mov_b32 v29, v25 :: v_dual_add_nc_u32 v28, -7, v23
	v_lshlrev_b64 v[54:55], 4, v[24:25]
	v_add_nc_u32_e32 v24, -2, v23
	s_delay_alu instid0(VALU_DEP_3) | instskip(NEXT) | instid1(VALU_DEP_2)
	v_lshlrev_b64 v[28:29], 4, v[28:29]
	v_lshlrev_b64 v[56:57], 4, v[24:25]
	v_add_nc_u32_e32 v24, -5, v23
	s_delay_alu instid0(VALU_DEP_3) | instskip(NEXT) | instid1(VALU_DEP_4)
	v_add_co_u32 v38, vcc_lo, s8, v28
	v_add_co_ci_u32_e32 v39, vcc_lo, s9, v29, vcc_lo
	v_add_co_u32 v42, vcc_lo, s8, v30
	v_add_co_ci_u32_e32 v43, vcc_lo, s9, v31, vcc_lo
	s_clause 0x3
	global_load_b128 v[28:31], v[66:67], off offset:16
	global_load_b128 v[34:37], v[66:67], off
	global_load_b128 v[38:41], v[38:39], off
	;; [unrolled: 1-line block ×3, first 2 shown]
	v_lshlrev_b64 v[70:71], 4, v[24:25]
	v_add_nc_u32_e32 v24, -1, v23
	s_delay_alu instid0(VALU_DEP_1) | instskip(SKIP_1) | instid1(VALU_DEP_1)
	v_lshlrev_b64 v[72:73], 4, v[24:25]
	v_mov_b32_e32 v24, v25
	v_lshlrev_b64 v[86:87], 4, v[23:24]
	v_add_nc_u32_e32 v24, -4, v23
	v_add_nc_u32_e32 v23, 0x180, v23
	s_waitcnt vmcnt(4)
	v_subrev_nc_u32_e32 v22, s12, v22
	s_delay_alu instid0(VALU_DEP_1) | instskip(NEXT) | instid1(VALU_DEP_1)
	v_lshlrev_b32_e32 v46, 2, v22
	v_lshlrev_b64 v[46:47], 4, v[46:47]
	s_delay_alu instid0(VALU_DEP_1) | instskip(NEXT) | instid1(VALU_DEP_2)
	v_add_co_u32 v82, vcc_lo, s10, v46
	v_add_co_ci_u32_e32 v83, vcc_lo, s11, v47, vcc_lo
	v_add_co_u32 v54, vcc_lo, s8, v54
	s_clause 0x1
	global_load_b128 v[46:49], v[82:83], off
	global_load_b128 v[50:53], v[82:83], off offset:16
	v_add_co_ci_u32_e32 v55, vcc_lo, s9, v55, vcc_lo
	v_add_co_u32 v58, vcc_lo, s8, v56
	v_add_co_ci_u32_e32 v59, vcc_lo, s9, v57, vcc_lo
	s_clause 0x1
	global_load_b128 v[54:57], v[54:55], off
	global_load_b128 v[58:61], v[58:59], off
	v_add_co_u32 v70, vcc_lo, s8, v70
	v_add_co_ci_u32_e32 v71, vcc_lo, s9, v71, vcc_lo
	v_add_co_u32 v74, vcc_lo, s8, v72
	v_add_co_ci_u32_e32 v75, vcc_lo, s9, v73, vcc_lo
	s_clause 0x3
	global_load_b128 v[62:65], v[66:67], off offset:48
	global_load_b128 v[66:69], v[66:67], off offset:32
	global_load_b128 v[70:73], v[70:71], off
	global_load_b128 v[74:77], v[74:75], off
	s_clause 0x1
	global_load_b128 v[78:81], v[82:83], off offset:32
	global_load_b128 v[82:85], v[82:83], off offset:48
	v_add_co_u32 v90, vcc_lo, s8, v86
	v_add_co_ci_u32_e32 v91, vcc_lo, s9, v87, vcc_lo
	v_lshlrev_b64 v[86:87], 4, v[24:25]
	s_delay_alu instid0(VALU_DEP_1) | instskip(NEXT) | instid1(VALU_DEP_2)
	v_add_co_u32 v86, vcc_lo, s8, v86
	v_add_co_ci_u32_e32 v87, vcc_lo, s9, v87, vcc_lo
	s_clause 0x1
	global_load_b128 v[86:89], v[86:87], off
	global_load_b128 v[90:93], v[90:91], off
	v_cmp_ge_i32_e32 vcc_lo, v21, v27
	s_or_b32 s0, vcc_lo, s0
	s_waitcnt vmcnt(11)
	v_fma_f64 v[11:12], v[34:35], v[46:47], v[11:12]
	v_fma_f64 v[9:10], v[36:37], v[46:47], v[9:10]
	;; [unrolled: 1-line block ×6, first 2 shown]
	v_fma_f64 v[11:12], -v[36:37], v[48:49], v[11:12]
	v_fma_f64 v[9:10], v[34:35], v[48:49], v[9:10]
	v_fma_f64 v[17:18], -v[40:41], v[48:49], v[17:18]
	v_fma_f64 v[19:20], v[38:39], v[48:49], v[19:20]
	;; [unrolled: 2-line block ×3, first 2 shown]
	s_waitcnt vmcnt(10)
	v_fma_f64 v[11:12], v[28:29], v[50:51], v[11:12]
	v_fma_f64 v[9:10], v[30:31], v[50:51], v[9:10]
	s_waitcnt vmcnt(9)
	v_fma_f64 v[17:18], v[54:55], v[50:51], v[17:18]
	v_fma_f64 v[19:20], v[56:57], v[50:51], v[19:20]
	;; [unrolled: 3-line block ×3, first 2 shown]
	v_fma_f64 v[11:12], -v[30:31], v[52:53], v[11:12]
	v_fma_f64 v[9:10], v[28:29], v[52:53], v[9:10]
	v_fma_f64 v[17:18], -v[56:57], v[52:53], v[17:18]
	v_fma_f64 v[19:20], v[54:55], v[52:53], v[19:20]
	;; [unrolled: 2-line block ×3, first 2 shown]
	s_waitcnt vmcnt(3)
	v_fma_f64 v[11:12], v[66:67], v[78:79], v[11:12]
	v_fma_f64 v[9:10], v[68:69], v[78:79], v[9:10]
	;; [unrolled: 1-line block ×6, first 2 shown]
	v_fma_f64 v[11:12], -v[68:69], v[80:81], v[11:12]
	v_fma_f64 v[9:10], v[66:67], v[80:81], v[9:10]
	v_fma_f64 v[17:18], -v[72:73], v[80:81], v[17:18]
	v_fma_f64 v[19:20], v[70:71], v[80:81], v[19:20]
	;; [unrolled: 2-line block ×3, first 2 shown]
	s_waitcnt vmcnt(2)
	v_fma_f64 v[11:12], v[62:63], v[82:83], v[11:12]
	v_fma_f64 v[9:10], v[64:65], v[82:83], v[9:10]
	s_waitcnt vmcnt(1)
	v_fma_f64 v[17:18], v[86:87], v[82:83], v[17:18]
	v_fma_f64 v[19:20], v[88:89], v[82:83], v[19:20]
	;; [unrolled: 3-line block ×3, first 2 shown]
	v_fma_f64 v[11:12], -v[64:65], v[84:85], v[11:12]
	v_fma_f64 v[9:10], v[62:63], v[84:85], v[9:10]
	v_fma_f64 v[17:18], -v[88:89], v[84:85], v[17:18]
	v_fma_f64 v[19:20], v[86:87], v[84:85], v[19:20]
	;; [unrolled: 2-line block ×3, first 2 shown]
	s_and_not1_b32 exec_lo, exec_lo, s0
	s_cbranch_execnz .LBB124_17
; %bb.18:
	s_or_b32 exec_lo, exec_lo, s0
.LBB124_19:
	s_delay_alu instid0(SALU_CYCLE_1)
	s_or_b32 exec_lo, exec_lo, s1
.LBB124_20:
	v_mbcnt_lo_u32_b32 v34, -1, 0
	s_delay_alu instid0(VALU_DEP_1) | instskip(NEXT) | instid1(VALU_DEP_1)
	v_xor_b32_e32 v21, 16, v34
	v_cmp_gt_i32_e32 vcc_lo, 32, v21
	v_cndmask_b32_e32 v21, v34, v21, vcc_lo
	s_delay_alu instid0(VALU_DEP_1)
	v_lshlrev_b32_e32 v32, 2, v21
	ds_bpermute_b32 v21, v32, v11
	ds_bpermute_b32 v22, v32, v12
	;; [unrolled: 1-line block ×12, first 2 shown]
	s_waitcnt lgkmcnt(10)
	v_add_f64 v[11:12], v[11:12], v[21:22]
	v_xor_b32_e32 v21, 8, v34
	s_waitcnt lgkmcnt(8)
	v_add_f64 v[9:10], v[9:10], v[23:24]
	s_waitcnt lgkmcnt(6)
	v_add_f64 v[17:18], v[17:18], v[25:26]
	;; [unrolled: 2-line block ×3, first 2 shown]
	v_cmp_gt_i32_e32 vcc_lo, 32, v21
	s_waitcnt lgkmcnt(2)
	v_add_f64 v[13:14], v[13:14], v[29:30]
	s_waitcnt lgkmcnt(0)
	v_add_f64 v[15:16], v[15:16], v[31:32]
	v_cndmask_b32_e32 v21, v34, v21, vcc_lo
	s_delay_alu instid0(VALU_DEP_1)
	v_lshlrev_b32_e32 v32, 2, v21
	ds_bpermute_b32 v21, v32, v11
	ds_bpermute_b32 v22, v32, v12
	;; [unrolled: 1-line block ×12, first 2 shown]
	s_waitcnt lgkmcnt(10)
	v_add_f64 v[11:12], v[11:12], v[21:22]
	v_xor_b32_e32 v21, 4, v34
	s_waitcnt lgkmcnt(8)
	v_add_f64 v[9:10], v[9:10], v[23:24]
	s_waitcnt lgkmcnt(6)
	v_add_f64 v[17:18], v[17:18], v[25:26]
	;; [unrolled: 2-line block ×3, first 2 shown]
	v_cmp_gt_i32_e32 vcc_lo, 32, v21
	s_waitcnt lgkmcnt(2)
	v_add_f64 v[13:14], v[13:14], v[29:30]
	s_waitcnt lgkmcnt(0)
	v_add_f64 v[15:16], v[15:16], v[31:32]
	v_cndmask_b32_e32 v21, v34, v21, vcc_lo
	s_delay_alu instid0(VALU_DEP_1)
	v_lshlrev_b32_e32 v32, 2, v21
	ds_bpermute_b32 v21, v32, v11
	ds_bpermute_b32 v22, v32, v12
	;; [unrolled: 1-line block ×12, first 2 shown]
	s_waitcnt lgkmcnt(10)
	v_add_f64 v[11:12], v[11:12], v[21:22]
	s_waitcnt lgkmcnt(8)
	v_add_f64 v[21:22], v[9:10], v[23:24]
	v_xor_b32_e32 v9, 2, v34
	s_waitcnt lgkmcnt(6)
	v_add_f64 v[17:18], v[17:18], v[25:26]
	s_waitcnt lgkmcnt(4)
	v_add_f64 v[23:24], v[19:20], v[27:28]
	;; [unrolled: 2-line block ×3, first 2 shown]
	v_cmp_gt_i32_e32 vcc_lo, 32, v9
	s_waitcnt lgkmcnt(0)
	v_add_f64 v[15:16], v[15:16], v[31:32]
	v_cndmask_b32_e32 v9, v34, v9, vcc_lo
	s_delay_alu instid0(VALU_DEP_1)
	v_lshlrev_b32_e32 v32, 2, v9
	ds_bpermute_b32 v9, v32, v11
	ds_bpermute_b32 v10, v32, v12
	;; [unrolled: 1-line block ×12, first 2 shown]
	s_waitcnt lgkmcnt(10)
	v_add_f64 v[9:10], v[11:12], v[9:10]
	s_waitcnt lgkmcnt(8)
	v_add_f64 v[19:20], v[21:22], v[19:20]
	v_xor_b32_e32 v21, 1, v34
	s_waitcnt lgkmcnt(6)
	v_add_f64 v[11:12], v[17:18], v[25:26]
	s_waitcnt lgkmcnt(4)
	v_add_f64 v[17:18], v[23:24], v[27:28]
	;; [unrolled: 2-line block ×3, first 2 shown]
	v_cmp_gt_i32_e32 vcc_lo, 32, v21
	s_waitcnt lgkmcnt(0)
	v_add_f64 v[15:16], v[15:16], v[31:32]
	v_cndmask_b32_e32 v21, v34, v21, vcc_lo
	v_cmp_eq_u32_e32 vcc_lo, 31, v33
	s_delay_alu instid0(VALU_DEP_2)
	v_lshlrev_b32_e32 v24, 2, v21
	ds_bpermute_b32 v31, v24, v9
	ds_bpermute_b32 v32, v24, v10
	;; [unrolled: 1-line block ×12, first 2 shown]
	s_and_b32 exec_lo, exec_lo, vcc_lo
	s_cbranch_execz .LBB124_25
; %bb.21:
	v_cmp_eq_f64_e32 vcc_lo, 0, v[4:5]
	v_cmp_eq_f64_e64 s0, 0, v[6:7]
	s_waitcnt lgkmcnt(10)
	v_add_f64 v[9:10], v[9:10], v[31:32]
	s_waitcnt lgkmcnt(8)
	v_add_f64 v[19:20], v[19:20], v[29:30]
	;; [unrolled: 2-line block ×6, first 2 shown]
	s_load_b64 s[2:3], s[2:3], 0x48
	s_and_b32 s0, vcc_lo, s0
	s_delay_alu instid0(SALU_CYCLE_1) | instskip(NEXT) | instid1(SALU_CYCLE_1)
	s_and_saveexec_b32 s1, s0
	s_xor_b32 s0, exec_lo, s1
	s_cbranch_execz .LBB124_23
; %bb.22:
	v_mul_f64 v[4:5], v[19:20], -v[2:3]
	v_mul_f64 v[6:7], v[0:1], v[19:20]
	v_mul_f64 v[19:20], v[17:18], -v[2:3]
	v_mul_f64 v[17:18], v[0:1], v[17:18]
	;; [unrolled: 2-line block ×3, first 2 shown]
	v_fma_f64 v[4:5], v[0:1], v[9:10], v[4:5]
	v_fma_f64 v[6:7], v[2:3], v[9:10], v[6:7]
	;; [unrolled: 1-line block ×6, first 2 shown]
	v_lshl_add_u32 v13, v8, 1, v8
                                        ; implicit-def: $vgpr8
                                        ; implicit-def: $vgpr19_vgpr20
                                        ; implicit-def: $vgpr17_vgpr18
                                        ; implicit-def: $vgpr15_vgpr16
	s_delay_alu instid0(VALU_DEP_1) | instskip(NEXT) | instid1(VALU_DEP_1)
	v_ashrrev_i32_e32 v14, 31, v13
	v_lshlrev_b64 v[13:14], 4, v[13:14]
	s_waitcnt lgkmcnt(0)
	s_delay_alu instid0(VALU_DEP_1) | instskip(NEXT) | instid1(VALU_DEP_2)
	v_add_co_u32 v13, vcc_lo, s2, v13
	v_add_co_ci_u32_e32 v14, vcc_lo, s3, v14, vcc_lo
	s_clause 0x2
	global_store_b128 v[13:14], v[4:7], off
	global_store_b128 v[13:14], v[9:12], off offset:16
	global_store_b128 v[13:14], v[0:3], off offset:32
                                        ; implicit-def: $vgpr0_vgpr1
                                        ; implicit-def: $vgpr2_vgpr3
                                        ; implicit-def: $vgpr4_vgpr5
                                        ; implicit-def: $vgpr6_vgpr7
                                        ; implicit-def: $vgpr9_vgpr10
                                        ; implicit-def: $vgpr11_vgpr12
                                        ; implicit-def: $vgpr13_vgpr14
.LBB124_23:
	s_and_not1_saveexec_b32 s0, s0
	s_cbranch_execz .LBB124_25
; %bb.24:
	v_lshl_add_u32 v21, v8, 1, v8
	v_mul_f64 v[35:36], v[19:20], -v[2:3]
	v_mul_f64 v[19:20], v[0:1], v[19:20]
	v_mul_f64 v[37:38], v[17:18], -v[2:3]
	v_mul_f64 v[17:18], v[0:1], v[17:18]
	v_ashrrev_i32_e32 v22, 31, v21
	v_mul_f64 v[39:40], v[15:16], -v[2:3]
	v_mul_f64 v[15:16], v[0:1], v[15:16]
	s_delay_alu instid0(VALU_DEP_3) | instskip(SKIP_1) | instid1(VALU_DEP_1)
	v_lshlrev_b64 v[21:22], 4, v[21:22]
	s_waitcnt lgkmcnt(0)
	v_add_co_u32 v33, vcc_lo, s2, v21
	s_delay_alu instid0(VALU_DEP_2)
	v_add_co_ci_u32_e32 v34, vcc_lo, s3, v22, vcc_lo
	s_clause 0x2
	global_load_b128 v[21:24], v[33:34], off
	global_load_b128 v[25:28], v[33:34], off offset:16
	global_load_b128 v[29:32], v[33:34], off offset:32
	v_fma_f64 v[35:36], v[0:1], v[9:10], v[35:36]
	v_fma_f64 v[8:9], v[2:3], v[9:10], v[19:20]
	;; [unrolled: 1-line block ×6, first 2 shown]
	s_waitcnt vmcnt(2)
	v_fma_f64 v[12:13], v[4:5], v[21:22], v[35:36]
	v_fma_f64 v[8:9], v[6:7], v[21:22], v[8:9]
	s_waitcnt vmcnt(1)
	v_fma_f64 v[14:15], v[4:5], v[25:26], v[19:20]
	v_fma_f64 v[10:11], v[6:7], v[25:26], v[10:11]
	;; [unrolled: 3-line block ×3, first 2 shown]
	v_fma_f64 v[0:1], -v[6:7], v[23:24], v[12:13]
	v_fma_f64 v[2:3], v[4:5], v[23:24], v[8:9]
	v_fma_f64 v[8:9], -v[6:7], v[27:28], v[14:15]
	v_fma_f64 v[10:11], v[4:5], v[27:28], v[10:11]
	;; [unrolled: 2-line block ×3, first 2 shown]
	s_clause 0x2
	global_store_b128 v[33:34], v[0:3], off
	global_store_b128 v[33:34], v[8:11], off offset:16
	global_store_b128 v[33:34], v[12:15], off offset:32
.LBB124_25:
	s_nop 0
	s_sendmsg sendmsg(MSG_DEALLOC_VGPRS)
	s_endpgm
	.section	.rodata,"a",@progbits
	.p2align	6, 0x0
	.amdhsa_kernel _ZN9rocsparseL19gebsrmvn_3xn_kernelILj128ELj4ELj32E21rocsparse_complex_numIdEEEvi20rocsparse_direction_NS_24const_host_device_scalarIT2_EEPKiS8_PKS5_SA_S6_PS5_21rocsparse_index_base_b
		.amdhsa_group_segment_fixed_size 2048
		.amdhsa_private_segment_fixed_size 0
		.amdhsa_kernarg_size 88
		.amdhsa_user_sgpr_count 15
		.amdhsa_user_sgpr_dispatch_ptr 1
		.amdhsa_user_sgpr_queue_ptr 0
		.amdhsa_user_sgpr_kernarg_segment_ptr 1
		.amdhsa_user_sgpr_dispatch_id 0
		.amdhsa_user_sgpr_private_segment_size 0
		.amdhsa_wavefront_size32 1
		.amdhsa_uses_dynamic_stack 0
		.amdhsa_enable_private_segment 0
		.amdhsa_system_sgpr_workgroup_id_x 1
		.amdhsa_system_sgpr_workgroup_id_y 0
		.amdhsa_system_sgpr_workgroup_id_z 0
		.amdhsa_system_sgpr_workgroup_info 0
		.amdhsa_system_vgpr_workitem_id 2
		.amdhsa_next_free_vgpr 94
		.amdhsa_next_free_sgpr 18
		.amdhsa_reserve_vcc 1
		.amdhsa_float_round_mode_32 0
		.amdhsa_float_round_mode_16_64 0
		.amdhsa_float_denorm_mode_32 3
		.amdhsa_float_denorm_mode_16_64 3
		.amdhsa_dx10_clamp 1
		.amdhsa_ieee_mode 1
		.amdhsa_fp16_overflow 0
		.amdhsa_workgroup_processor_mode 1
		.amdhsa_memory_ordered 1
		.amdhsa_forward_progress 0
		.amdhsa_shared_vgpr_count 0
		.amdhsa_exception_fp_ieee_invalid_op 0
		.amdhsa_exception_fp_denorm_src 0
		.amdhsa_exception_fp_ieee_div_zero 0
		.amdhsa_exception_fp_ieee_overflow 0
		.amdhsa_exception_fp_ieee_underflow 0
		.amdhsa_exception_fp_ieee_inexact 0
		.amdhsa_exception_int_div_zero 0
	.end_amdhsa_kernel
	.section	.text._ZN9rocsparseL19gebsrmvn_3xn_kernelILj128ELj4ELj32E21rocsparse_complex_numIdEEEvi20rocsparse_direction_NS_24const_host_device_scalarIT2_EEPKiS8_PKS5_SA_S6_PS5_21rocsparse_index_base_b,"axG",@progbits,_ZN9rocsparseL19gebsrmvn_3xn_kernelILj128ELj4ELj32E21rocsparse_complex_numIdEEEvi20rocsparse_direction_NS_24const_host_device_scalarIT2_EEPKiS8_PKS5_SA_S6_PS5_21rocsparse_index_base_b,comdat
.Lfunc_end124:
	.size	_ZN9rocsparseL19gebsrmvn_3xn_kernelILj128ELj4ELj32E21rocsparse_complex_numIdEEEvi20rocsparse_direction_NS_24const_host_device_scalarIT2_EEPKiS8_PKS5_SA_S6_PS5_21rocsparse_index_base_b, .Lfunc_end124-_ZN9rocsparseL19gebsrmvn_3xn_kernelILj128ELj4ELj32E21rocsparse_complex_numIdEEEvi20rocsparse_direction_NS_24const_host_device_scalarIT2_EEPKiS8_PKS5_SA_S6_PS5_21rocsparse_index_base_b
                                        ; -- End function
	.section	.AMDGPU.csdata,"",@progbits
; Kernel info:
; codeLenInByte = 4100
; NumSgprs: 20
; NumVgprs: 94
; ScratchSize: 0
; MemoryBound: 0
; FloatMode: 240
; IeeeMode: 1
; LDSByteSize: 2048 bytes/workgroup (compile time only)
; SGPRBlocks: 2
; VGPRBlocks: 11
; NumSGPRsForWavesPerEU: 20
; NumVGPRsForWavesPerEU: 94
; Occupancy: 16
; WaveLimiterHint : 1
; COMPUTE_PGM_RSRC2:SCRATCH_EN: 0
; COMPUTE_PGM_RSRC2:USER_SGPR: 15
; COMPUTE_PGM_RSRC2:TRAP_HANDLER: 0
; COMPUTE_PGM_RSRC2:TGID_X_EN: 1
; COMPUTE_PGM_RSRC2:TGID_Y_EN: 0
; COMPUTE_PGM_RSRC2:TGID_Z_EN: 0
; COMPUTE_PGM_RSRC2:TIDIG_COMP_CNT: 2
	.section	.text._ZN9rocsparseL19gebsrmvn_3xn_kernelILj128ELj4ELj64E21rocsparse_complex_numIdEEEvi20rocsparse_direction_NS_24const_host_device_scalarIT2_EEPKiS8_PKS5_SA_S6_PS5_21rocsparse_index_base_b,"axG",@progbits,_ZN9rocsparseL19gebsrmvn_3xn_kernelILj128ELj4ELj64E21rocsparse_complex_numIdEEEvi20rocsparse_direction_NS_24const_host_device_scalarIT2_EEPKiS8_PKS5_SA_S6_PS5_21rocsparse_index_base_b,comdat
	.globl	_ZN9rocsparseL19gebsrmvn_3xn_kernelILj128ELj4ELj64E21rocsparse_complex_numIdEEEvi20rocsparse_direction_NS_24const_host_device_scalarIT2_EEPKiS8_PKS5_SA_S6_PS5_21rocsparse_index_base_b ; -- Begin function _ZN9rocsparseL19gebsrmvn_3xn_kernelILj128ELj4ELj64E21rocsparse_complex_numIdEEEvi20rocsparse_direction_NS_24const_host_device_scalarIT2_EEPKiS8_PKS5_SA_S6_PS5_21rocsparse_index_base_b
	.p2align	8
	.type	_ZN9rocsparseL19gebsrmvn_3xn_kernelILj128ELj4ELj64E21rocsparse_complex_numIdEEEvi20rocsparse_direction_NS_24const_host_device_scalarIT2_EEPKiS8_PKS5_SA_S6_PS5_21rocsparse_index_base_b,@function
_ZN9rocsparseL19gebsrmvn_3xn_kernelILj128ELj4ELj64E21rocsparse_complex_numIdEEEvi20rocsparse_direction_NS_24const_host_device_scalarIT2_EEPKiS8_PKS5_SA_S6_PS5_21rocsparse_index_base_b: ; @_ZN9rocsparseL19gebsrmvn_3xn_kernelILj128ELj4ELj64E21rocsparse_complex_numIdEEEvi20rocsparse_direction_NS_24const_host_device_scalarIT2_EEPKiS8_PKS5_SA_S6_PS5_21rocsparse_index_base_b
; %bb.0:
	s_load_b64 s[12:13], s[2:3], 0x50
	s_load_b64 s[16:17], s[0:1], 0x4
	s_load_b128 s[8:11], s[2:3], 0x8
	v_bfe_u32 v1, v0, 10, 10
	s_mov_b64 s[0:1], src_shared_base
	s_load_b128 s[4:7], s[2:3], 0x38
	v_and_b32_e32 v10, 0x3ff, v0
	v_bfe_u32 v0, v0, 20, 10
	s_waitcnt lgkmcnt(0)
	s_bitcmp1_b32 s13, 0
	v_mul_u32_u24_e32 v1, s17, v1
	s_cselect_b32 s0, -1, 0
	s_delay_alu instid0(SALU_CYCLE_1)
	s_and_b32 vcc_lo, s0, exec_lo
	s_cselect_b32 s13, s1, s9
	s_lshr_b32 s14, s16, 16
	v_dual_mov_b32 v2, s4 :: v_dual_mov_b32 v3, s5
	s_mul_i32 s14, s14, s17
	v_mov_b32_e32 v6, s13
	v_mad_u32_u24 v1, s14, v10, v1
	s_delay_alu instid0(VALU_DEP_1) | instskip(SKIP_1) | instid1(VALU_DEP_2)
	v_add_lshl_u32 v4, v1, v0, 3
	v_dual_mov_b32 v0, s8 :: v_dual_mov_b32 v1, s9
	v_add_nc_u32_e32 v5, 0x400, v4
	ds_store_2addr_stride64_b64 v4, v[2:3], v[0:1] offset1:2
	v_dual_mov_b32 v2, s10 :: v_dual_mov_b32 v3, s11
	v_cndmask_b32_e64 v5, s8, v5, s0
	s_xor_b32 s10, s0, -1
	flat_load_b64 v[0:1], v[5:6]
	s_cbranch_vccnz .LBB125_2
; %bb.1:
	v_dual_mov_b32 v2, s8 :: v_dual_mov_b32 v3, s9
	flat_load_b64 v[2:3], v[2:3] offset:8
.LBB125_2:
	s_and_b32 s8, s0, exec_lo
	s_cselect_b32 s1, s1, s5
	v_cndmask_b32_e64 v4, s4, v4, s0
	v_dual_mov_b32 v5, s1 :: v_dual_mov_b32 v6, s6
	v_mov_b32_e32 v7, s7
	s_and_not1_b32 vcc_lo, exec_lo, s10
	flat_load_b64 v[4:5], v[4:5]
	s_cbranch_vccnz .LBB125_4
; %bb.3:
	v_dual_mov_b32 v7, s5 :: v_dual_mov_b32 v6, s4
	flat_load_b64 v[6:7], v[6:7] offset:8
.LBB125_4:
	s_waitcnt vmcnt(1) lgkmcnt(1)
	v_cmp_eq_f64_e32 vcc_lo, 0, v[0:1]
	v_cmp_eq_f64_e64 s0, 0, v[2:3]
	s_delay_alu instid0(VALU_DEP_1)
	s_and_b32 s4, vcc_lo, s0
	s_mov_b32 s0, -1
	s_and_saveexec_b32 s1, s4
	s_cbranch_execz .LBB125_6
; %bb.5:
	s_waitcnt vmcnt(0) lgkmcnt(0)
	v_cmp_neq_f64_e32 vcc_lo, 1.0, v[4:5]
	v_cmp_neq_f64_e64 s0, 0, v[6:7]
	s_delay_alu instid0(VALU_DEP_1) | instskip(NEXT) | instid1(SALU_CYCLE_1)
	s_or_b32 s0, vcc_lo, s0
	s_or_not1_b32 s0, s0, exec_lo
.LBB125_6:
	s_or_b32 exec_lo, exec_lo, s1
	s_and_saveexec_b32 s1, s0
	s_cbranch_execz .LBB125_25
; %bb.7:
	s_load_b64 s[0:1], s[2:3], 0x0
	v_lshrrev_b32_e32 v8, 6, v10
	s_delay_alu instid0(VALU_DEP_1) | instskip(SKIP_1) | instid1(VALU_DEP_1)
	v_lshl_or_b32 v8, s15, 1, v8
	s_waitcnt lgkmcnt(0)
	v_cmp_gt_i32_e32 vcc_lo, s0, v8
	s_and_b32 exec_lo, exec_lo, vcc_lo
	s_cbranch_execz .LBB125_25
; %bb.8:
	s_load_b256 s[4:11], s[2:3], 0x18
	v_ashrrev_i32_e32 v9, 31, v8
	v_and_b32_e32 v33, 63, v10
	s_cmp_lg_u32 s1, 0
	s_delay_alu instid0(VALU_DEP_2) | instskip(SKIP_1) | instid1(VALU_DEP_1)
	v_lshlrev_b64 v[11:12], 2, v[8:9]
	s_waitcnt lgkmcnt(0)
	v_add_co_u32 v11, vcc_lo, s4, v11
	s_delay_alu instid0(VALU_DEP_2) | instskip(SKIP_4) | instid1(VALU_DEP_2)
	v_add_co_ci_u32_e32 v12, vcc_lo, s5, v12, vcc_lo
	global_load_b64 v[11:12], v[11:12], off
	s_waitcnt vmcnt(0)
	v_subrev_nc_u32_e32 v9, s12, v11
	v_subrev_nc_u32_e32 v27, s12, v12
	v_add_nc_u32_e32 v21, v9, v33
	s_delay_alu instid0(VALU_DEP_1)
	v_cmp_lt_i32_e64 s0, v21, v27
	s_cbranch_scc0 .LBB125_14
; %bb.9:
	v_mov_b32_e32 v9, 0
	v_mov_b32_e32 v10, 0
	s_delay_alu instid0(VALU_DEP_1)
	v_dual_mov_b32 v12, v10 :: v_dual_mov_b32 v11, v9
	v_dual_mov_b32 v14, v10 :: v_dual_mov_b32 v13, v9
	;; [unrolled: 1-line block ×5, first 2 shown]
	s_and_saveexec_b32 s1, s0
	s_cbranch_execz .LBB125_13
; %bb.10:
	v_dual_mov_b32 v9, 0 :: v_dual_mov_b32 v24, 0
	v_dual_mov_b32 v10, 0 :: v_dual_mov_b32 v25, v21
	v_mad_u64_u32 v[22:23], null, v21, 12, 11
	s_mov_b32 s4, 0
	s_delay_alu instid0(VALU_DEP_2)
	v_dual_mov_b32 v12, v10 :: v_dual_mov_b32 v11, v9
	v_dual_mov_b32 v14, v10 :: v_dual_mov_b32 v13, v9
	v_dual_mov_b32 v16, v10 :: v_dual_mov_b32 v15, v9
	v_dual_mov_b32 v18, v10 :: v_dual_mov_b32 v17, v9
	v_dual_mov_b32 v20, v10 :: v_dual_mov_b32 v19, v9
.LBB125_11:                             ; =>This Inner Loop Header: Depth=1
	v_ashrrev_i32_e32 v26, 31, v25
	v_add_nc_u32_e32 v23, -11, v22
	s_delay_alu instid0(VALU_DEP_2) | instskip(SKIP_1) | instid1(VALU_DEP_2)
	v_lshlrev_b64 v[28:29], 2, v[25:26]
	v_add_nc_u32_e32 v25, 64, v25
	v_add_co_u32 v28, vcc_lo, s6, v28
	s_delay_alu instid0(VALU_DEP_3) | instskip(SKIP_2) | instid1(VALU_DEP_1)
	v_add_co_ci_u32_e32 v29, vcc_lo, s7, v29, vcc_lo
	global_load_b32 v26, v[28:29], off
	v_lshlrev_b64 v[28:29], 4, v[23:24]
	v_add_co_u32 v42, vcc_lo, s8, v28
	s_delay_alu instid0(VALU_DEP_2)
	v_add_co_ci_u32_e32 v43, vcc_lo, s9, v29, vcc_lo
	s_clause 0x3
	global_load_b128 v[28:31], v[42:43], off offset:48
	global_load_b128 v[34:37], v[42:43], off offset:32
	;; [unrolled: 1-line block ×3, first 2 shown]
	global_load_b128 v[42:45], v[42:43], off
	s_waitcnt vmcnt(4)
	v_subrev_nc_u32_e32 v23, s12, v26
	s_delay_alu instid0(VALU_DEP_1) | instskip(SKIP_1) | instid1(VALU_DEP_2)
	v_dual_mov_b32 v47, v24 :: v_dual_lshlrev_b32 v46, 2, v23
	v_add_nc_u32_e32 v23, -7, v22
	v_lshlrev_b64 v[46:47], 4, v[46:47]
	s_delay_alu instid0(VALU_DEP_2) | instskip(SKIP_1) | instid1(VALU_DEP_3)
	v_lshlrev_b64 v[54:55], 4, v[23:24]
	v_add_nc_u32_e32 v23, -6, v22
	v_add_co_u32 v78, vcc_lo, s10, v46
	s_delay_alu instid0(VALU_DEP_4) | instskip(NEXT) | instid1(VALU_DEP_3)
	v_add_co_ci_u32_e32 v79, vcc_lo, s11, v47, vcc_lo
	v_lshlrev_b64 v[56:57], 4, v[23:24]
	v_add_co_u32 v54, vcc_lo, s8, v54
	s_clause 0x1
	global_load_b128 v[46:49], v[78:79], off
	global_load_b128 v[50:53], v[78:79], off offset:16
	v_add_co_ci_u32_e32 v55, vcc_lo, s9, v55, vcc_lo
	v_add_co_u32 v58, vcc_lo, s8, v56
	v_add_co_ci_u32_e32 v59, vcc_lo, s9, v57, vcc_lo
	s_clause 0x1
	global_load_b128 v[54:57], v[54:55], off
	global_load_b128 v[58:61], v[58:59], off
	v_add_nc_u32_e32 v23, -5, v22
	s_delay_alu instid0(VALU_DEP_1) | instskip(SKIP_1) | instid1(VALU_DEP_1)
	v_lshlrev_b64 v[62:63], 4, v[23:24]
	v_add_nc_u32_e32 v23, -4, v22
	v_lshlrev_b64 v[66:67], 4, v[23:24]
	v_add_nc_u32_e32 v23, -3, v22
	s_delay_alu instid0(VALU_DEP_4) | instskip(SKIP_1) | instid1(VALU_DEP_3)
	v_add_co_u32 v62, vcc_lo, s8, v62
	v_add_co_ci_u32_e32 v63, vcc_lo, s9, v63, vcc_lo
	v_lshlrev_b64 v[68:69], 4, v[23:24]
	v_add_co_u32 v66, vcc_lo, s8, v66
	v_add_co_ci_u32_e32 v67, vcc_lo, s9, v67, vcc_lo
	global_load_b128 v[62:65], v[62:63], off
	v_add_co_u32 v70, vcc_lo, s8, v68
	v_add_co_ci_u32_e32 v71, vcc_lo, s9, v69, vcc_lo
	s_clause 0x1
	global_load_b128 v[66:69], v[66:67], off
	global_load_b128 v[70:73], v[70:71], off
	s_clause 0x1
	global_load_b128 v[74:77], v[78:79], off offset:32
	global_load_b128 v[78:81], v[78:79], off offset:48
	v_mov_b32_e32 v23, v24
	s_delay_alu instid0(VALU_DEP_1) | instskip(SKIP_1) | instid1(VALU_DEP_2)
	v_lshlrev_b64 v[82:83], 4, v[22:23]
	v_add_nc_u32_e32 v23, -2, v22
	v_add_co_u32 v90, vcc_lo, s8, v82
	s_delay_alu instid0(VALU_DEP_3) | instskip(NEXT) | instid1(VALU_DEP_3)
	v_add_co_ci_u32_e32 v91, vcc_lo, s9, v83, vcc_lo
	v_lshlrev_b64 v[82:83], 4, v[23:24]
	v_add_nc_u32_e32 v23, -1, v22
	v_add_nc_u32_e32 v22, 0x300, v22
	s_delay_alu instid0(VALU_DEP_2) | instskip(NEXT) | instid1(VALU_DEP_4)
	v_lshlrev_b64 v[84:85], 4, v[23:24]
	v_add_co_u32 v82, vcc_lo, s8, v82
	v_add_co_ci_u32_e32 v83, vcc_lo, s9, v83, vcc_lo
	s_delay_alu instid0(VALU_DEP_3) | instskip(NEXT) | instid1(VALU_DEP_4)
	v_add_co_u32 v86, vcc_lo, s8, v84
	v_add_co_ci_u32_e32 v87, vcc_lo, s9, v85, vcc_lo
	s_clause 0x2
	global_load_b128 v[82:85], v[82:83], off
	global_load_b128 v[86:89], v[86:87], off
	;; [unrolled: 1-line block ×3, first 2 shown]
	v_cmp_ge_i32_e32 vcc_lo, v25, v27
	s_or_b32 s4, vcc_lo, s4
	s_waitcnt vmcnt(11)
	v_fma_f64 v[11:12], v[42:43], v[46:47], v[11:12]
	v_fma_f64 v[9:10], v[44:45], v[46:47], v[9:10]
	;; [unrolled: 1-line block ×6, first 2 shown]
	v_fma_f64 v[11:12], -v[44:45], v[48:49], v[11:12]
	v_fma_f64 v[9:10], v[42:43], v[48:49], v[9:10]
	v_fma_f64 v[17:18], -v[40:41], v[48:49], v[17:18]
	v_fma_f64 v[19:20], v[38:39], v[48:49], v[19:20]
	;; [unrolled: 2-line block ×3, first 2 shown]
	s_waitcnt vmcnt(10)
	v_fma_f64 v[11:12], v[28:29], v[50:51], v[11:12]
	v_fma_f64 v[9:10], v[30:31], v[50:51], v[9:10]
	s_waitcnt vmcnt(9)
	v_fma_f64 v[17:18], v[54:55], v[50:51], v[17:18]
	v_fma_f64 v[19:20], v[56:57], v[50:51], v[19:20]
	;; [unrolled: 3-line block ×3, first 2 shown]
	v_fma_f64 v[11:12], -v[30:31], v[52:53], v[11:12]
	v_fma_f64 v[9:10], v[28:29], v[52:53], v[9:10]
	v_fma_f64 v[17:18], -v[56:57], v[52:53], v[17:18]
	v_fma_f64 v[19:20], v[54:55], v[52:53], v[19:20]
	;; [unrolled: 2-line block ×3, first 2 shown]
	s_waitcnt vmcnt(4)
	v_fma_f64 v[11:12], v[62:63], v[74:75], v[11:12]
	v_fma_f64 v[9:10], v[64:65], v[74:75], v[9:10]
	;; [unrolled: 1-line block ×6, first 2 shown]
	v_fma_f64 v[11:12], -v[64:65], v[76:77], v[11:12]
	v_fma_f64 v[9:10], v[62:63], v[76:77], v[9:10]
	v_fma_f64 v[17:18], -v[68:69], v[76:77], v[17:18]
	v_fma_f64 v[19:20], v[66:67], v[76:77], v[19:20]
	;; [unrolled: 2-line block ×3, first 2 shown]
	s_waitcnt vmcnt(2)
	v_fma_f64 v[11:12], v[82:83], v[78:79], v[11:12]
	v_fma_f64 v[9:10], v[84:85], v[78:79], v[9:10]
	s_waitcnt vmcnt(1)
	v_fma_f64 v[17:18], v[86:87], v[78:79], v[17:18]
	v_fma_f64 v[19:20], v[88:89], v[78:79], v[19:20]
	;; [unrolled: 3-line block ×3, first 2 shown]
	v_fma_f64 v[11:12], -v[84:85], v[80:81], v[11:12]
	v_fma_f64 v[9:10], v[82:83], v[80:81], v[9:10]
	v_fma_f64 v[17:18], -v[88:89], v[80:81], v[17:18]
	v_fma_f64 v[19:20], v[86:87], v[80:81], v[19:20]
	;; [unrolled: 2-line block ×3, first 2 shown]
	s_and_not1_b32 exec_lo, exec_lo, s4
	s_cbranch_execnz .LBB125_11
; %bb.12:
	s_or_b32 exec_lo, exec_lo, s4
.LBB125_13:
	s_delay_alu instid0(SALU_CYCLE_1)
	s_or_b32 exec_lo, exec_lo, s1
	s_cbranch_execz .LBB125_15
	s_branch .LBB125_20
.LBB125_14:
                                        ; implicit-def: $vgpr9_vgpr10
                                        ; implicit-def: $vgpr11_vgpr12
                                        ; implicit-def: $vgpr13_vgpr14
                                        ; implicit-def: $vgpr15_vgpr16
                                        ; implicit-def: $vgpr17_vgpr18
                                        ; implicit-def: $vgpr19_vgpr20
.LBB125_15:
	v_mov_b32_e32 v9, 0
	v_mov_b32_e32 v10, 0
	s_delay_alu instid0(VALU_DEP_1)
	v_dual_mov_b32 v12, v10 :: v_dual_mov_b32 v11, v9
	v_dual_mov_b32 v14, v10 :: v_dual_mov_b32 v13, v9
	;; [unrolled: 1-line block ×5, first 2 shown]
	s_and_saveexec_b32 s1, s0
	s_cbranch_execz .LBB125_19
; %bb.16:
	v_mov_b32_e32 v9, 0
	v_dual_mov_b32 v10, 0 :: v_dual_mov_b32 v25, 0
	v_mad_u64_u32 v[23:24], null, v21, 12, 11
	s_mov_b32 s0, 0
	s_delay_alu instid0(VALU_DEP_2)
	v_dual_mov_b32 v12, v10 :: v_dual_mov_b32 v11, v9
	v_dual_mov_b32 v14, v10 :: v_dual_mov_b32 v13, v9
	;; [unrolled: 1-line block ×5, first 2 shown]
.LBB125_17:                             ; =>This Inner Loop Header: Depth=1
	v_ashrrev_i32_e32 v22, 31, v21
	v_dual_mov_b32 v47, v25 :: v_dual_add_nc_u32 v24, -11, v23
	v_dual_mov_b32 v31, v25 :: v_dual_add_nc_u32 v30, -3, v23
	s_delay_alu instid0(VALU_DEP_3) | instskip(NEXT) | instid1(VALU_DEP_3)
	v_lshlrev_b64 v[28:29], 2, v[21:22]
	v_lshlrev_b64 v[34:35], 4, v[24:25]
	v_add_nc_u32_e32 v24, -6, v23
	v_add_nc_u32_e32 v21, 64, v21
	v_lshlrev_b64 v[30:31], 4, v[30:31]
	v_add_co_u32 v28, vcc_lo, s6, v28
	v_add_co_ci_u32_e32 v29, vcc_lo, s7, v29, vcc_lo
	v_add_co_u32 v66, vcc_lo, s8, v34
	v_add_co_ci_u32_e32 v67, vcc_lo, s9, v35, vcc_lo
	global_load_b32 v22, v[28:29], off
	v_dual_mov_b32 v29, v25 :: v_dual_add_nc_u32 v28, -7, v23
	v_lshlrev_b64 v[54:55], 4, v[24:25]
	v_add_nc_u32_e32 v24, -2, v23
	s_delay_alu instid0(VALU_DEP_3) | instskip(NEXT) | instid1(VALU_DEP_2)
	v_lshlrev_b64 v[28:29], 4, v[28:29]
	v_lshlrev_b64 v[56:57], 4, v[24:25]
	v_add_nc_u32_e32 v24, -5, v23
	s_delay_alu instid0(VALU_DEP_3) | instskip(NEXT) | instid1(VALU_DEP_4)
	v_add_co_u32 v38, vcc_lo, s8, v28
	v_add_co_ci_u32_e32 v39, vcc_lo, s9, v29, vcc_lo
	v_add_co_u32 v42, vcc_lo, s8, v30
	v_add_co_ci_u32_e32 v43, vcc_lo, s9, v31, vcc_lo
	s_clause 0x3
	global_load_b128 v[28:31], v[66:67], off offset:16
	global_load_b128 v[34:37], v[66:67], off
	global_load_b128 v[38:41], v[38:39], off
	;; [unrolled: 1-line block ×3, first 2 shown]
	v_lshlrev_b64 v[70:71], 4, v[24:25]
	v_add_nc_u32_e32 v24, -1, v23
	s_delay_alu instid0(VALU_DEP_1) | instskip(SKIP_1) | instid1(VALU_DEP_1)
	v_lshlrev_b64 v[72:73], 4, v[24:25]
	v_mov_b32_e32 v24, v25
	v_lshlrev_b64 v[86:87], 4, v[23:24]
	v_add_nc_u32_e32 v24, -4, v23
	v_add_nc_u32_e32 v23, 0x300, v23
	s_waitcnt vmcnt(4)
	v_subrev_nc_u32_e32 v22, s12, v22
	s_delay_alu instid0(VALU_DEP_1) | instskip(NEXT) | instid1(VALU_DEP_1)
	v_lshlrev_b32_e32 v46, 2, v22
	v_lshlrev_b64 v[46:47], 4, v[46:47]
	s_delay_alu instid0(VALU_DEP_1) | instskip(NEXT) | instid1(VALU_DEP_2)
	v_add_co_u32 v82, vcc_lo, s10, v46
	v_add_co_ci_u32_e32 v83, vcc_lo, s11, v47, vcc_lo
	v_add_co_u32 v54, vcc_lo, s8, v54
	s_clause 0x1
	global_load_b128 v[46:49], v[82:83], off
	global_load_b128 v[50:53], v[82:83], off offset:16
	v_add_co_ci_u32_e32 v55, vcc_lo, s9, v55, vcc_lo
	v_add_co_u32 v58, vcc_lo, s8, v56
	v_add_co_ci_u32_e32 v59, vcc_lo, s9, v57, vcc_lo
	s_clause 0x1
	global_load_b128 v[54:57], v[54:55], off
	global_load_b128 v[58:61], v[58:59], off
	v_add_co_u32 v70, vcc_lo, s8, v70
	v_add_co_ci_u32_e32 v71, vcc_lo, s9, v71, vcc_lo
	v_add_co_u32 v74, vcc_lo, s8, v72
	v_add_co_ci_u32_e32 v75, vcc_lo, s9, v73, vcc_lo
	s_clause 0x3
	global_load_b128 v[62:65], v[66:67], off offset:48
	global_load_b128 v[66:69], v[66:67], off offset:32
	global_load_b128 v[70:73], v[70:71], off
	global_load_b128 v[74:77], v[74:75], off
	s_clause 0x1
	global_load_b128 v[78:81], v[82:83], off offset:32
	global_load_b128 v[82:85], v[82:83], off offset:48
	v_add_co_u32 v90, vcc_lo, s8, v86
	v_add_co_ci_u32_e32 v91, vcc_lo, s9, v87, vcc_lo
	v_lshlrev_b64 v[86:87], 4, v[24:25]
	s_delay_alu instid0(VALU_DEP_1) | instskip(NEXT) | instid1(VALU_DEP_2)
	v_add_co_u32 v86, vcc_lo, s8, v86
	v_add_co_ci_u32_e32 v87, vcc_lo, s9, v87, vcc_lo
	s_clause 0x1
	global_load_b128 v[86:89], v[86:87], off
	global_load_b128 v[90:93], v[90:91], off
	v_cmp_ge_i32_e32 vcc_lo, v21, v27
	s_or_b32 s0, vcc_lo, s0
	s_waitcnt vmcnt(11)
	v_fma_f64 v[11:12], v[34:35], v[46:47], v[11:12]
	v_fma_f64 v[9:10], v[36:37], v[46:47], v[9:10]
	;; [unrolled: 1-line block ×6, first 2 shown]
	v_fma_f64 v[11:12], -v[36:37], v[48:49], v[11:12]
	v_fma_f64 v[9:10], v[34:35], v[48:49], v[9:10]
	v_fma_f64 v[17:18], -v[40:41], v[48:49], v[17:18]
	v_fma_f64 v[19:20], v[38:39], v[48:49], v[19:20]
	;; [unrolled: 2-line block ×3, first 2 shown]
	s_waitcnt vmcnt(10)
	v_fma_f64 v[11:12], v[28:29], v[50:51], v[11:12]
	v_fma_f64 v[9:10], v[30:31], v[50:51], v[9:10]
	s_waitcnt vmcnt(9)
	v_fma_f64 v[17:18], v[54:55], v[50:51], v[17:18]
	v_fma_f64 v[19:20], v[56:57], v[50:51], v[19:20]
	s_waitcnt vmcnt(8)
	v_fma_f64 v[13:14], v[58:59], v[50:51], v[13:14]
	v_fma_f64 v[15:16], v[60:61], v[50:51], v[15:16]
	v_fma_f64 v[11:12], -v[30:31], v[52:53], v[11:12]
	v_fma_f64 v[9:10], v[28:29], v[52:53], v[9:10]
	v_fma_f64 v[17:18], -v[56:57], v[52:53], v[17:18]
	v_fma_f64 v[19:20], v[54:55], v[52:53], v[19:20]
	;; [unrolled: 2-line block ×3, first 2 shown]
	s_waitcnt vmcnt(3)
	v_fma_f64 v[11:12], v[66:67], v[78:79], v[11:12]
	v_fma_f64 v[9:10], v[68:69], v[78:79], v[9:10]
	;; [unrolled: 1-line block ×6, first 2 shown]
	v_fma_f64 v[11:12], -v[68:69], v[80:81], v[11:12]
	v_fma_f64 v[9:10], v[66:67], v[80:81], v[9:10]
	v_fma_f64 v[17:18], -v[72:73], v[80:81], v[17:18]
	v_fma_f64 v[19:20], v[70:71], v[80:81], v[19:20]
	;; [unrolled: 2-line block ×3, first 2 shown]
	s_waitcnt vmcnt(2)
	v_fma_f64 v[11:12], v[62:63], v[82:83], v[11:12]
	v_fma_f64 v[9:10], v[64:65], v[82:83], v[9:10]
	s_waitcnt vmcnt(1)
	v_fma_f64 v[17:18], v[86:87], v[82:83], v[17:18]
	v_fma_f64 v[19:20], v[88:89], v[82:83], v[19:20]
	;; [unrolled: 3-line block ×3, first 2 shown]
	v_fma_f64 v[11:12], -v[64:65], v[84:85], v[11:12]
	v_fma_f64 v[9:10], v[62:63], v[84:85], v[9:10]
	v_fma_f64 v[17:18], -v[88:89], v[84:85], v[17:18]
	v_fma_f64 v[19:20], v[86:87], v[84:85], v[19:20]
	;; [unrolled: 2-line block ×3, first 2 shown]
	s_and_not1_b32 exec_lo, exec_lo, s0
	s_cbranch_execnz .LBB125_17
; %bb.18:
	s_or_b32 exec_lo, exec_lo, s0
.LBB125_19:
	s_delay_alu instid0(SALU_CYCLE_1)
	s_or_b32 exec_lo, exec_lo, s1
.LBB125_20:
	v_mbcnt_lo_u32_b32 v34, -1, 0
	s_delay_alu instid0(VALU_DEP_1) | instskip(NEXT) | instid1(VALU_DEP_1)
	v_or_b32_e32 v21, 32, v34
	v_cmp_gt_i32_e32 vcc_lo, 32, v21
	v_cndmask_b32_e32 v21, v34, v21, vcc_lo
	s_delay_alu instid0(VALU_DEP_1)
	v_lshlrev_b32_e32 v32, 2, v21
	ds_bpermute_b32 v21, v32, v11
	ds_bpermute_b32 v22, v32, v12
	ds_bpermute_b32 v23, v32, v9
	ds_bpermute_b32 v24, v32, v10
	ds_bpermute_b32 v25, v32, v17
	ds_bpermute_b32 v26, v32, v18
	ds_bpermute_b32 v27, v32, v19
	ds_bpermute_b32 v28, v32, v20
	ds_bpermute_b32 v29, v32, v13
	ds_bpermute_b32 v30, v32, v14
	ds_bpermute_b32 v31, v32, v15
	ds_bpermute_b32 v32, v32, v16
	s_waitcnt lgkmcnt(10)
	v_add_f64 v[11:12], v[11:12], v[21:22]
	v_xor_b32_e32 v21, 16, v34
	s_waitcnt lgkmcnt(8)
	v_add_f64 v[9:10], v[9:10], v[23:24]
	s_waitcnt lgkmcnt(6)
	v_add_f64 v[17:18], v[17:18], v[25:26]
	s_waitcnt lgkmcnt(4)
	v_add_f64 v[19:20], v[19:20], v[27:28]
	v_cmp_gt_i32_e32 vcc_lo, 32, v21
	s_waitcnt lgkmcnt(2)
	v_add_f64 v[13:14], v[13:14], v[29:30]
	s_waitcnt lgkmcnt(0)
	v_add_f64 v[15:16], v[15:16], v[31:32]
	v_cndmask_b32_e32 v21, v34, v21, vcc_lo
	s_delay_alu instid0(VALU_DEP_1)
	v_lshlrev_b32_e32 v32, 2, v21
	ds_bpermute_b32 v21, v32, v11
	ds_bpermute_b32 v22, v32, v12
	ds_bpermute_b32 v23, v32, v9
	ds_bpermute_b32 v24, v32, v10
	ds_bpermute_b32 v25, v32, v17
	ds_bpermute_b32 v26, v32, v18
	ds_bpermute_b32 v27, v32, v19
	ds_bpermute_b32 v28, v32, v20
	ds_bpermute_b32 v29, v32, v13
	ds_bpermute_b32 v30, v32, v14
	ds_bpermute_b32 v31, v32, v15
	ds_bpermute_b32 v32, v32, v16
	s_waitcnt lgkmcnt(10)
	v_add_f64 v[11:12], v[11:12], v[21:22]
	v_xor_b32_e32 v21, 8, v34
	s_waitcnt lgkmcnt(8)
	v_add_f64 v[9:10], v[9:10], v[23:24]
	s_waitcnt lgkmcnt(6)
	v_add_f64 v[17:18], v[17:18], v[25:26]
	s_waitcnt lgkmcnt(4)
	v_add_f64 v[19:20], v[19:20], v[27:28]
	v_cmp_gt_i32_e32 vcc_lo, 32, v21
	s_waitcnt lgkmcnt(2)
	v_add_f64 v[13:14], v[13:14], v[29:30]
	s_waitcnt lgkmcnt(0)
	v_add_f64 v[15:16], v[15:16], v[31:32]
	;; [unrolled: 29-line block ×3, first 2 shown]
	v_cndmask_b32_e32 v21, v34, v21, vcc_lo
	s_delay_alu instid0(VALU_DEP_1)
	v_lshlrev_b32_e32 v32, 2, v21
	ds_bpermute_b32 v21, v32, v11
	ds_bpermute_b32 v22, v32, v12
	;; [unrolled: 1-line block ×12, first 2 shown]
	s_waitcnt lgkmcnt(10)
	v_add_f64 v[11:12], v[11:12], v[21:22]
	s_waitcnt lgkmcnt(8)
	v_add_f64 v[21:22], v[9:10], v[23:24]
	v_xor_b32_e32 v9, 2, v34
	s_waitcnt lgkmcnt(6)
	v_add_f64 v[17:18], v[17:18], v[25:26]
	s_waitcnt lgkmcnt(4)
	v_add_f64 v[23:24], v[19:20], v[27:28]
	;; [unrolled: 2-line block ×3, first 2 shown]
	v_cmp_gt_i32_e32 vcc_lo, 32, v9
	s_waitcnt lgkmcnt(0)
	v_add_f64 v[15:16], v[15:16], v[31:32]
	v_cndmask_b32_e32 v9, v34, v9, vcc_lo
	s_delay_alu instid0(VALU_DEP_1)
	v_lshlrev_b32_e32 v32, 2, v9
	ds_bpermute_b32 v9, v32, v11
	ds_bpermute_b32 v10, v32, v12
	;; [unrolled: 1-line block ×12, first 2 shown]
	s_waitcnt lgkmcnt(10)
	v_add_f64 v[9:10], v[11:12], v[9:10]
	s_waitcnt lgkmcnt(8)
	v_add_f64 v[19:20], v[21:22], v[19:20]
	v_xor_b32_e32 v21, 1, v34
	s_waitcnt lgkmcnt(6)
	v_add_f64 v[11:12], v[17:18], v[25:26]
	s_waitcnt lgkmcnt(4)
	v_add_f64 v[17:18], v[23:24], v[27:28]
	;; [unrolled: 2-line block ×3, first 2 shown]
	v_cmp_gt_i32_e32 vcc_lo, 32, v21
	s_waitcnt lgkmcnt(0)
	v_add_f64 v[15:16], v[15:16], v[31:32]
	v_cndmask_b32_e32 v21, v34, v21, vcc_lo
	v_cmp_eq_u32_e32 vcc_lo, 63, v33
	s_delay_alu instid0(VALU_DEP_2)
	v_lshlrev_b32_e32 v24, 2, v21
	ds_bpermute_b32 v31, v24, v9
	ds_bpermute_b32 v32, v24, v10
	;; [unrolled: 1-line block ×12, first 2 shown]
	s_and_b32 exec_lo, exec_lo, vcc_lo
	s_cbranch_execz .LBB125_25
; %bb.21:
	v_cmp_eq_f64_e32 vcc_lo, 0, v[4:5]
	v_cmp_eq_f64_e64 s0, 0, v[6:7]
	s_waitcnt lgkmcnt(10)
	v_add_f64 v[9:10], v[9:10], v[31:32]
	s_waitcnt lgkmcnt(8)
	v_add_f64 v[19:20], v[19:20], v[29:30]
	;; [unrolled: 2-line block ×6, first 2 shown]
	s_load_b64 s[2:3], s[2:3], 0x48
	s_and_b32 s0, vcc_lo, s0
	s_delay_alu instid0(SALU_CYCLE_1) | instskip(NEXT) | instid1(SALU_CYCLE_1)
	s_and_saveexec_b32 s1, s0
	s_xor_b32 s0, exec_lo, s1
	s_cbranch_execz .LBB125_23
; %bb.22:
	v_mul_f64 v[4:5], v[19:20], -v[2:3]
	v_mul_f64 v[6:7], v[0:1], v[19:20]
	v_mul_f64 v[19:20], v[17:18], -v[2:3]
	v_mul_f64 v[17:18], v[0:1], v[17:18]
	;; [unrolled: 2-line block ×3, first 2 shown]
	v_fma_f64 v[4:5], v[0:1], v[9:10], v[4:5]
	v_fma_f64 v[6:7], v[2:3], v[9:10], v[6:7]
	;; [unrolled: 1-line block ×6, first 2 shown]
	v_lshl_add_u32 v13, v8, 1, v8
                                        ; implicit-def: $vgpr8
                                        ; implicit-def: $vgpr19_vgpr20
                                        ; implicit-def: $vgpr17_vgpr18
                                        ; implicit-def: $vgpr15_vgpr16
	s_delay_alu instid0(VALU_DEP_1) | instskip(NEXT) | instid1(VALU_DEP_1)
	v_ashrrev_i32_e32 v14, 31, v13
	v_lshlrev_b64 v[13:14], 4, v[13:14]
	s_waitcnt lgkmcnt(0)
	s_delay_alu instid0(VALU_DEP_1) | instskip(NEXT) | instid1(VALU_DEP_2)
	v_add_co_u32 v13, vcc_lo, s2, v13
	v_add_co_ci_u32_e32 v14, vcc_lo, s3, v14, vcc_lo
	s_clause 0x2
	global_store_b128 v[13:14], v[4:7], off
	global_store_b128 v[13:14], v[9:12], off offset:16
	global_store_b128 v[13:14], v[0:3], off offset:32
                                        ; implicit-def: $vgpr0_vgpr1
                                        ; implicit-def: $vgpr2_vgpr3
                                        ; implicit-def: $vgpr4_vgpr5
                                        ; implicit-def: $vgpr6_vgpr7
                                        ; implicit-def: $vgpr9_vgpr10
                                        ; implicit-def: $vgpr11_vgpr12
                                        ; implicit-def: $vgpr13_vgpr14
.LBB125_23:
	s_and_not1_saveexec_b32 s0, s0
	s_cbranch_execz .LBB125_25
; %bb.24:
	v_lshl_add_u32 v21, v8, 1, v8
	v_mul_f64 v[35:36], v[19:20], -v[2:3]
	v_mul_f64 v[19:20], v[0:1], v[19:20]
	v_mul_f64 v[37:38], v[17:18], -v[2:3]
	v_mul_f64 v[17:18], v[0:1], v[17:18]
	v_ashrrev_i32_e32 v22, 31, v21
	v_mul_f64 v[39:40], v[15:16], -v[2:3]
	v_mul_f64 v[15:16], v[0:1], v[15:16]
	s_delay_alu instid0(VALU_DEP_3) | instskip(SKIP_1) | instid1(VALU_DEP_1)
	v_lshlrev_b64 v[21:22], 4, v[21:22]
	s_waitcnt lgkmcnt(0)
	v_add_co_u32 v33, vcc_lo, s2, v21
	s_delay_alu instid0(VALU_DEP_2)
	v_add_co_ci_u32_e32 v34, vcc_lo, s3, v22, vcc_lo
	s_clause 0x2
	global_load_b128 v[21:24], v[33:34], off
	global_load_b128 v[25:28], v[33:34], off offset:16
	global_load_b128 v[29:32], v[33:34], off offset:32
	v_fma_f64 v[35:36], v[0:1], v[9:10], v[35:36]
	v_fma_f64 v[8:9], v[2:3], v[9:10], v[19:20]
	;; [unrolled: 1-line block ×6, first 2 shown]
	s_waitcnt vmcnt(2)
	v_fma_f64 v[12:13], v[4:5], v[21:22], v[35:36]
	v_fma_f64 v[8:9], v[6:7], v[21:22], v[8:9]
	s_waitcnt vmcnt(1)
	v_fma_f64 v[14:15], v[4:5], v[25:26], v[19:20]
	v_fma_f64 v[10:11], v[6:7], v[25:26], v[10:11]
	;; [unrolled: 3-line block ×3, first 2 shown]
	v_fma_f64 v[0:1], -v[6:7], v[23:24], v[12:13]
	v_fma_f64 v[2:3], v[4:5], v[23:24], v[8:9]
	v_fma_f64 v[8:9], -v[6:7], v[27:28], v[14:15]
	v_fma_f64 v[10:11], v[4:5], v[27:28], v[10:11]
	;; [unrolled: 2-line block ×3, first 2 shown]
	s_clause 0x2
	global_store_b128 v[33:34], v[0:3], off
	global_store_b128 v[33:34], v[8:11], off offset:16
	global_store_b128 v[33:34], v[12:15], off offset:32
.LBB125_25:
	s_nop 0
	s_sendmsg sendmsg(MSG_DEALLOC_VGPRS)
	s_endpgm
	.section	.rodata,"a",@progbits
	.p2align	6, 0x0
	.amdhsa_kernel _ZN9rocsparseL19gebsrmvn_3xn_kernelILj128ELj4ELj64E21rocsparse_complex_numIdEEEvi20rocsparse_direction_NS_24const_host_device_scalarIT2_EEPKiS8_PKS5_SA_S6_PS5_21rocsparse_index_base_b
		.amdhsa_group_segment_fixed_size 2048
		.amdhsa_private_segment_fixed_size 0
		.amdhsa_kernarg_size 88
		.amdhsa_user_sgpr_count 15
		.amdhsa_user_sgpr_dispatch_ptr 1
		.amdhsa_user_sgpr_queue_ptr 0
		.amdhsa_user_sgpr_kernarg_segment_ptr 1
		.amdhsa_user_sgpr_dispatch_id 0
		.amdhsa_user_sgpr_private_segment_size 0
		.amdhsa_wavefront_size32 1
		.amdhsa_uses_dynamic_stack 0
		.amdhsa_enable_private_segment 0
		.amdhsa_system_sgpr_workgroup_id_x 1
		.amdhsa_system_sgpr_workgroup_id_y 0
		.amdhsa_system_sgpr_workgroup_id_z 0
		.amdhsa_system_sgpr_workgroup_info 0
		.amdhsa_system_vgpr_workitem_id 2
		.amdhsa_next_free_vgpr 94
		.amdhsa_next_free_sgpr 18
		.amdhsa_reserve_vcc 1
		.amdhsa_float_round_mode_32 0
		.amdhsa_float_round_mode_16_64 0
		.amdhsa_float_denorm_mode_32 3
		.amdhsa_float_denorm_mode_16_64 3
		.amdhsa_dx10_clamp 1
		.amdhsa_ieee_mode 1
		.amdhsa_fp16_overflow 0
		.amdhsa_workgroup_processor_mode 1
		.amdhsa_memory_ordered 1
		.amdhsa_forward_progress 0
		.amdhsa_shared_vgpr_count 0
		.amdhsa_exception_fp_ieee_invalid_op 0
		.amdhsa_exception_fp_denorm_src 0
		.amdhsa_exception_fp_ieee_div_zero 0
		.amdhsa_exception_fp_ieee_overflow 0
		.amdhsa_exception_fp_ieee_underflow 0
		.amdhsa_exception_fp_ieee_inexact 0
		.amdhsa_exception_int_div_zero 0
	.end_amdhsa_kernel
	.section	.text._ZN9rocsparseL19gebsrmvn_3xn_kernelILj128ELj4ELj64E21rocsparse_complex_numIdEEEvi20rocsparse_direction_NS_24const_host_device_scalarIT2_EEPKiS8_PKS5_SA_S6_PS5_21rocsparse_index_base_b,"axG",@progbits,_ZN9rocsparseL19gebsrmvn_3xn_kernelILj128ELj4ELj64E21rocsparse_complex_numIdEEEvi20rocsparse_direction_NS_24const_host_device_scalarIT2_EEPKiS8_PKS5_SA_S6_PS5_21rocsparse_index_base_b,comdat
.Lfunc_end125:
	.size	_ZN9rocsparseL19gebsrmvn_3xn_kernelILj128ELj4ELj64E21rocsparse_complex_numIdEEEvi20rocsparse_direction_NS_24const_host_device_scalarIT2_EEPKiS8_PKS5_SA_S6_PS5_21rocsparse_index_base_b, .Lfunc_end125-_ZN9rocsparseL19gebsrmvn_3xn_kernelILj128ELj4ELj64E21rocsparse_complex_numIdEEEvi20rocsparse_direction_NS_24const_host_device_scalarIT2_EEPKiS8_PKS5_SA_S6_PS5_21rocsparse_index_base_b
                                        ; -- End function
	.section	.AMDGPU.csdata,"",@progbits
; Kernel info:
; codeLenInByte = 4288
; NumSgprs: 20
; NumVgprs: 94
; ScratchSize: 0
; MemoryBound: 0
; FloatMode: 240
; IeeeMode: 1
; LDSByteSize: 2048 bytes/workgroup (compile time only)
; SGPRBlocks: 2
; VGPRBlocks: 11
; NumSGPRsForWavesPerEU: 20
; NumVGPRsForWavesPerEU: 94
; Occupancy: 16
; WaveLimiterHint : 1
; COMPUTE_PGM_RSRC2:SCRATCH_EN: 0
; COMPUTE_PGM_RSRC2:USER_SGPR: 15
; COMPUTE_PGM_RSRC2:TRAP_HANDLER: 0
; COMPUTE_PGM_RSRC2:TGID_X_EN: 1
; COMPUTE_PGM_RSRC2:TGID_Y_EN: 0
; COMPUTE_PGM_RSRC2:TGID_Z_EN: 0
; COMPUTE_PGM_RSRC2:TIDIG_COMP_CNT: 2
	.section	.text._ZN9rocsparseL19gebsrmvn_3xn_kernelILj128ELj5ELj4E21rocsparse_complex_numIdEEEvi20rocsparse_direction_NS_24const_host_device_scalarIT2_EEPKiS8_PKS5_SA_S6_PS5_21rocsparse_index_base_b,"axG",@progbits,_ZN9rocsparseL19gebsrmvn_3xn_kernelILj128ELj5ELj4E21rocsparse_complex_numIdEEEvi20rocsparse_direction_NS_24const_host_device_scalarIT2_EEPKiS8_PKS5_SA_S6_PS5_21rocsparse_index_base_b,comdat
	.globl	_ZN9rocsparseL19gebsrmvn_3xn_kernelILj128ELj5ELj4E21rocsparse_complex_numIdEEEvi20rocsparse_direction_NS_24const_host_device_scalarIT2_EEPKiS8_PKS5_SA_S6_PS5_21rocsparse_index_base_b ; -- Begin function _ZN9rocsparseL19gebsrmvn_3xn_kernelILj128ELj5ELj4E21rocsparse_complex_numIdEEEvi20rocsparse_direction_NS_24const_host_device_scalarIT2_EEPKiS8_PKS5_SA_S6_PS5_21rocsparse_index_base_b
	.p2align	8
	.type	_ZN9rocsparseL19gebsrmvn_3xn_kernelILj128ELj5ELj4E21rocsparse_complex_numIdEEEvi20rocsparse_direction_NS_24const_host_device_scalarIT2_EEPKiS8_PKS5_SA_S6_PS5_21rocsparse_index_base_b,@function
_ZN9rocsparseL19gebsrmvn_3xn_kernelILj128ELj5ELj4E21rocsparse_complex_numIdEEEvi20rocsparse_direction_NS_24const_host_device_scalarIT2_EEPKiS8_PKS5_SA_S6_PS5_21rocsparse_index_base_b: ; @_ZN9rocsparseL19gebsrmvn_3xn_kernelILj128ELj5ELj4E21rocsparse_complex_numIdEEEvi20rocsparse_direction_NS_24const_host_device_scalarIT2_EEPKiS8_PKS5_SA_S6_PS5_21rocsparse_index_base_b
; %bb.0:
	s_load_b64 s[12:13], s[2:3], 0x50
	s_load_b64 s[16:17], s[0:1], 0x4
	s_load_b128 s[8:11], s[2:3], 0x8
	v_bfe_u32 v1, v0, 10, 10
	s_mov_b64 s[0:1], src_shared_base
	s_load_b128 s[4:7], s[2:3], 0x38
	v_and_b32_e32 v10, 0x3ff, v0
	v_bfe_u32 v0, v0, 20, 10
	s_waitcnt lgkmcnt(0)
	s_bitcmp1_b32 s13, 0
	v_mul_u32_u24_e32 v1, s17, v1
	s_cselect_b32 s0, -1, 0
	s_delay_alu instid0(SALU_CYCLE_1)
	s_and_b32 vcc_lo, s0, exec_lo
	s_cselect_b32 s13, s1, s9
	s_lshr_b32 s14, s16, 16
	v_dual_mov_b32 v2, s4 :: v_dual_mov_b32 v3, s5
	s_mul_i32 s14, s14, s17
	v_mov_b32_e32 v6, s13
	v_mad_u32_u24 v1, s14, v10, v1
	s_delay_alu instid0(VALU_DEP_1) | instskip(SKIP_1) | instid1(VALU_DEP_2)
	v_add_lshl_u32 v4, v1, v0, 3
	v_dual_mov_b32 v0, s8 :: v_dual_mov_b32 v1, s9
	v_add_nc_u32_e32 v5, 0x400, v4
	ds_store_2addr_stride64_b64 v4, v[2:3], v[0:1] offset1:2
	v_dual_mov_b32 v2, s10 :: v_dual_mov_b32 v3, s11
	v_cndmask_b32_e64 v5, s8, v5, s0
	s_xor_b32 s10, s0, -1
	flat_load_b64 v[0:1], v[5:6]
	s_cbranch_vccnz .LBB126_2
; %bb.1:
	v_dual_mov_b32 v2, s8 :: v_dual_mov_b32 v3, s9
	flat_load_b64 v[2:3], v[2:3] offset:8
.LBB126_2:
	s_and_b32 s8, s0, exec_lo
	s_cselect_b32 s1, s1, s5
	v_cndmask_b32_e64 v4, s4, v4, s0
	v_dual_mov_b32 v5, s1 :: v_dual_mov_b32 v6, s6
	v_mov_b32_e32 v7, s7
	s_and_not1_b32 vcc_lo, exec_lo, s10
	flat_load_b64 v[4:5], v[4:5]
	s_cbranch_vccnz .LBB126_4
; %bb.3:
	v_dual_mov_b32 v7, s5 :: v_dual_mov_b32 v6, s4
	flat_load_b64 v[6:7], v[6:7] offset:8
.LBB126_4:
	s_waitcnt vmcnt(1) lgkmcnt(1)
	v_cmp_eq_f64_e32 vcc_lo, 0, v[0:1]
	v_cmp_eq_f64_e64 s0, 0, v[2:3]
	s_delay_alu instid0(VALU_DEP_1)
	s_and_b32 s4, vcc_lo, s0
	s_mov_b32 s0, -1
	s_and_saveexec_b32 s1, s4
	s_cbranch_execz .LBB126_6
; %bb.5:
	s_waitcnt vmcnt(0) lgkmcnt(0)
	v_cmp_neq_f64_e32 vcc_lo, 1.0, v[4:5]
	v_cmp_neq_f64_e64 s0, 0, v[6:7]
	s_delay_alu instid0(VALU_DEP_1) | instskip(NEXT) | instid1(SALU_CYCLE_1)
	s_or_b32 s0, vcc_lo, s0
	s_or_not1_b32 s0, s0, exec_lo
.LBB126_6:
	s_or_b32 exec_lo, exec_lo, s1
	s_and_saveexec_b32 s1, s0
	s_cbranch_execz .LBB126_25
; %bb.7:
	s_load_b64 s[0:1], s[2:3], 0x0
	v_lshrrev_b32_e32 v8, 2, v10
	s_delay_alu instid0(VALU_DEP_1) | instskip(SKIP_1) | instid1(VALU_DEP_1)
	v_lshl_or_b32 v8, s15, 5, v8
	s_waitcnt lgkmcnt(0)
	v_cmp_gt_i32_e32 vcc_lo, s0, v8
	s_and_b32 exec_lo, exec_lo, vcc_lo
	s_cbranch_execz .LBB126_25
; %bb.8:
	s_load_b256 s[4:11], s[2:3], 0x18
	v_ashrrev_i32_e32 v9, 31, v8
	v_and_b32_e32 v33, 3, v10
	s_cmp_lg_u32 s1, 0
	s_delay_alu instid0(VALU_DEP_2) | instskip(SKIP_1) | instid1(VALU_DEP_1)
	v_lshlrev_b64 v[11:12], 2, v[8:9]
	s_waitcnt lgkmcnt(0)
	v_add_co_u32 v11, vcc_lo, s4, v11
	s_delay_alu instid0(VALU_DEP_2) | instskip(SKIP_4) | instid1(VALU_DEP_2)
	v_add_co_ci_u32_e32 v12, vcc_lo, s5, v12, vcc_lo
	global_load_b64 v[11:12], v[11:12], off
	s_waitcnt vmcnt(0)
	v_subrev_nc_u32_e32 v9, s12, v11
	v_subrev_nc_u32_e32 v28, s12, v12
	v_add_nc_u32_e32 v9, v9, v33
	s_delay_alu instid0(VALU_DEP_1)
	v_cmp_lt_i32_e64 s0, v9, v28
	s_cbranch_scc0 .LBB126_14
; %bb.9:
	v_mov_b32_e32 v11, 0
	v_mov_b32_e32 v12, 0
	s_delay_alu instid0(VALU_DEP_1)
	v_dual_mov_b32 v18, v12 :: v_dual_mov_b32 v17, v11
	v_dual_mov_b32 v14, v12 :: v_dual_mov_b32 v13, v11
	;; [unrolled: 1-line block ×5, first 2 shown]
	s_and_saveexec_b32 s1, s0
	s_cbranch_execz .LBB126_13
; %bb.10:
	v_dual_mov_b32 v11, 0 :: v_dual_mov_b32 v26, v9
	v_dual_mov_b32 v12, 0 :: v_dual_mov_b32 v25, 0
	v_mad_u64_u32 v[23:24], null, v9, 15, 14
	s_mov_b32 s4, 0
	s_delay_alu instid0(VALU_DEP_2)
	v_dual_mov_b32 v18, v12 :: v_dual_mov_b32 v17, v11
	v_dual_mov_b32 v14, v12 :: v_dual_mov_b32 v13, v11
	;; [unrolled: 1-line block ×5, first 2 shown]
.LBB126_11:                             ; =>This Inner Loop Header: Depth=1
	v_ashrrev_i32_e32 v27, 31, v26
	v_dual_mov_b32 v99, v25 :: v_dual_add_nc_u32 v24, -14, v23
	s_delay_alu instid0(VALU_DEP_2) | instskip(SKIP_1) | instid1(VALU_DEP_2)
	v_lshlrev_b64 v[29:30], 2, v[26:27]
	v_add_nc_u32_e32 v26, 4, v26
	v_add_co_u32 v29, vcc_lo, s6, v29
	s_delay_alu instid0(VALU_DEP_3) | instskip(SKIP_3) | instid1(VALU_DEP_1)
	v_add_co_ci_u32_e32 v30, vcc_lo, s7, v30, vcc_lo
	global_load_b32 v10, v[29:30], off
	v_lshlrev_b64 v[29:30], 4, v[24:25]
	v_add_nc_u32_e32 v24, -13, v23
	v_lshlrev_b64 v[34:35], 4, v[24:25]
	v_add_nc_u32_e32 v24, -12, v23
	s_delay_alu instid0(VALU_DEP_4) | instskip(SKIP_1) | instid1(VALU_DEP_3)
	v_add_co_u32 v29, vcc_lo, s8, v29
	v_add_co_ci_u32_e32 v30, vcc_lo, s9, v30, vcc_lo
	v_lshlrev_b64 v[36:37], 4, v[24:25]
	v_add_co_u32 v34, vcc_lo, s8, v34
	v_add_co_ci_u32_e32 v35, vcc_lo, s9, v35, vcc_lo
	global_load_b128 v[29:32], v[29:30], off
	v_add_co_u32 v38, vcc_lo, s8, v36
	v_add_co_ci_u32_e32 v39, vcc_lo, s9, v37, vcc_lo
	s_clause 0x1
	global_load_b128 v[34:37], v[34:35], off
	global_load_b128 v[38:41], v[38:39], off
	v_add_nc_u32_e32 v24, -11, v23
	s_delay_alu instid0(VALU_DEP_1) | instskip(SKIP_2) | instid1(VALU_DEP_1)
	v_lshlrev_b64 v[46:47], 4, v[24:25]
	s_waitcnt vmcnt(3)
	v_subrev_nc_u32_e32 v10, s12, v10
	v_lshl_add_u32 v98, v10, 2, v10
	s_delay_alu instid0(VALU_DEP_1) | instskip(SKIP_1) | instid1(VALU_DEP_1)
	v_lshlrev_b64 v[42:43], 4, v[98:99]
	v_add_nc_u32_e32 v24, 1, v98
	v_lshlrev_b64 v[50:51], 4, v[24:25]
	s_delay_alu instid0(VALU_DEP_3) | instskip(NEXT) | instid1(VALU_DEP_4)
	v_add_co_u32 v42, vcc_lo, s10, v42
	v_add_co_ci_u32_e32 v43, vcc_lo, s11, v43, vcc_lo
	v_add_nc_u32_e32 v24, -10, v23
	v_add_co_u32 v46, vcc_lo, s8, v46
	global_load_b128 v[42:45], v[42:43], off
	v_add_co_ci_u32_e32 v47, vcc_lo, s9, v47, vcc_lo
	v_lshlrev_b64 v[52:53], 4, v[24:25]
	v_add_nc_u32_e32 v24, -9, v23
	v_add_co_u32 v50, vcc_lo, s10, v50
	v_add_co_ci_u32_e32 v51, vcc_lo, s11, v51, vcc_lo
	s_delay_alu instid0(VALU_DEP_3)
	v_lshlrev_b64 v[54:55], 4, v[24:25]
	v_add_co_u32 v56, vcc_lo, s8, v52
	v_add_co_ci_u32_e32 v57, vcc_lo, s9, v53, vcc_lo
	global_load_b128 v[46:49], v[46:47], off
	v_add_co_u32 v58, vcc_lo, s8, v54
	v_add_co_ci_u32_e32 v59, vcc_lo, s9, v55, vcc_lo
	global_load_b128 v[50:53], v[50:51], off
	s_clause 0x1
	global_load_b128 v[54:57], v[56:57], off
	global_load_b128 v[58:61], v[58:59], off
	v_add_nc_u32_e32 v24, -8, v23
	s_delay_alu instid0(VALU_DEP_1) | instskip(SKIP_1) | instid1(VALU_DEP_1)
	v_lshlrev_b64 v[62:63], 4, v[24:25]
	v_add_nc_u32_e32 v24, 2, v98
	v_lshlrev_b64 v[66:67], 4, v[24:25]
	v_add_nc_u32_e32 v24, -7, v23
	s_delay_alu instid0(VALU_DEP_4) | instskip(SKIP_1) | instid1(VALU_DEP_3)
	v_add_co_u32 v62, vcc_lo, s8, v62
	v_add_co_ci_u32_e32 v63, vcc_lo, s9, v63, vcc_lo
	v_lshlrev_b64 v[68:69], 4, v[24:25]
	v_add_nc_u32_e32 v24, -6, v23
	v_add_co_u32 v66, vcc_lo, s10, v66
	v_add_co_ci_u32_e32 v67, vcc_lo, s11, v67, vcc_lo
	s_delay_alu instid0(VALU_DEP_3)
	v_lshlrev_b64 v[70:71], 4, v[24:25]
	v_add_co_u32 v72, vcc_lo, s8, v68
	v_add_co_ci_u32_e32 v73, vcc_lo, s9, v69, vcc_lo
	global_load_b128 v[62:65], v[62:63], off
	v_add_co_u32 v74, vcc_lo, s8, v70
	v_add_co_ci_u32_e32 v75, vcc_lo, s9, v71, vcc_lo
	global_load_b128 v[66:69], v[66:67], off
	s_clause 0x1
	global_load_b128 v[70:73], v[72:73], off
	global_load_b128 v[74:77], v[74:75], off
	v_add_nc_u32_e32 v24, -5, v23
	s_delay_alu instid0(VALU_DEP_1) | instskip(SKIP_1) | instid1(VALU_DEP_1)
	v_lshlrev_b64 v[78:79], 4, v[24:25]
	v_add_nc_u32_e32 v24, 3, v98
	v_lshlrev_b64 v[82:83], 4, v[24:25]
	v_add_nc_u32_e32 v24, -4, v23
	s_delay_alu instid0(VALU_DEP_4) | instskip(SKIP_1) | instid1(VALU_DEP_3)
	v_add_co_u32 v78, vcc_lo, s8, v78
	v_add_co_ci_u32_e32 v79, vcc_lo, s9, v79, vcc_lo
	v_lshlrev_b64 v[84:85], 4, v[24:25]
	v_add_nc_u32_e32 v24, -3, v23
	v_add_co_u32 v82, vcc_lo, s10, v82
	v_add_co_ci_u32_e32 v83, vcc_lo, s11, v83, vcc_lo
	s_delay_alu instid0(VALU_DEP_3)
	v_lshlrev_b64 v[86:87], 4, v[24:25]
	v_add_co_u32 v88, vcc_lo, s8, v84
	v_add_co_ci_u32_e32 v89, vcc_lo, s9, v85, vcc_lo
	global_load_b128 v[78:81], v[78:79], off
	v_add_co_u32 v90, vcc_lo, s8, v86
	v_add_co_ci_u32_e32 v91, vcc_lo, s9, v87, vcc_lo
	global_load_b128 v[82:85], v[82:83], off
	s_clause 0x1
	global_load_b128 v[86:89], v[88:89], off
	global_load_b128 v[90:93], v[90:91], off
	v_mov_b32_e32 v24, v25
	s_delay_alu instid0(VALU_DEP_1) | instskip(SKIP_1) | instid1(VALU_DEP_1)
	v_lshlrev_b64 v[94:95], 4, v[23:24]
	v_add_nc_u32_e32 v24, -2, v23
	v_lshlrev_b64 v[99:100], 4, v[24:25]
	v_add_nc_u32_e32 v24, 4, v98
	s_delay_alu instid0(VALU_DEP_4) | instskip(SKIP_1) | instid1(VALU_DEP_3)
	v_add_co_u32 v94, vcc_lo, s8, v94
	v_add_co_ci_u32_e32 v95, vcc_lo, s9, v95, vcc_lo
	v_lshlrev_b64 v[102:103], 4, v[24:25]
	v_add_nc_u32_e32 v24, -1, v23
	v_add_nc_u32_e32 v23, 60, v23
	v_add_co_u32 v98, vcc_lo, s8, v99
	v_add_co_ci_u32_e32 v99, vcc_lo, s9, v100, vcc_lo
	s_delay_alu instid0(VALU_DEP_4)
	v_lshlrev_b64 v[104:105], 4, v[24:25]
	v_add_co_u32 v102, vcc_lo, s10, v102
	v_add_co_ci_u32_e32 v103, vcc_lo, s11, v103, vcc_lo
	s_clause 0x1
	global_load_b128 v[94:97], v[94:95], off
	global_load_b128 v[98:101], v[98:99], off
	v_add_co_u32 v106, vcc_lo, s8, v104
	v_add_co_ci_u32_e32 v107, vcc_lo, s9, v105, vcc_lo
	global_load_b128 v[102:105], v[102:103], off
	global_load_b128 v[106:109], v[106:107], off
	v_cmp_ge_i32_e32 vcc_lo, v26, v28
	s_or_b32 s4, vcc_lo, s4
	s_waitcnt vmcnt(16)
	v_fma_f64 v[17:18], v[29:30], v[42:43], v[17:18]
	v_fma_f64 v[10:11], v[31:32], v[42:43], v[11:12]
	;; [unrolled: 1-line block ×6, first 2 shown]
	v_fma_f64 v[16:17], -v[31:32], v[44:45], v[17:18]
	v_fma_f64 v[10:11], v[29:30], v[44:45], v[10:11]
	v_fma_f64 v[18:19], -v[36:37], v[44:45], v[19:20]
	v_fma_f64 v[20:21], v[34:35], v[44:45], v[21:22]
	v_fma_f64 v[12:13], -v[40:41], v[44:45], v[12:13]
	v_fma_f64 v[14:15], v[38:39], v[44:45], v[14:15]
	s_waitcnt vmcnt(14)
	v_fma_f64 v[16:17], v[46:47], v[50:51], v[16:17]
	v_fma_f64 v[10:11], v[48:49], v[50:51], v[10:11]
	s_waitcnt vmcnt(13)
	v_fma_f64 v[18:19], v[54:55], v[50:51], v[18:19]
	v_fma_f64 v[20:21], v[56:57], v[50:51], v[20:21]
	s_waitcnt vmcnt(12)
	v_fma_f64 v[12:13], v[58:59], v[50:51], v[12:13]
	v_fma_f64 v[14:15], v[60:61], v[50:51], v[14:15]
	v_fma_f64 v[16:17], -v[48:49], v[52:53], v[16:17]
	v_fma_f64 v[10:11], v[46:47], v[52:53], v[10:11]
	v_fma_f64 v[18:19], -v[56:57], v[52:53], v[18:19]
	v_fma_f64 v[20:21], v[54:55], v[52:53], v[20:21]
	v_fma_f64 v[12:13], -v[60:61], v[52:53], v[12:13]
	v_fma_f64 v[14:15], v[58:59], v[52:53], v[14:15]
	s_waitcnt vmcnt(10)
	v_fma_f64 v[16:17], v[62:63], v[66:67], v[16:17]
	v_fma_f64 v[10:11], v[64:65], v[66:67], v[10:11]
	s_waitcnt vmcnt(9)
	v_fma_f64 v[18:19], v[70:71], v[66:67], v[18:19]
	v_fma_f64 v[20:21], v[72:73], v[66:67], v[20:21]
	s_waitcnt vmcnt(8)
	v_fma_f64 v[12:13], v[74:75], v[66:67], v[12:13]
	v_fma_f64 v[14:15], v[76:77], v[66:67], v[14:15]
	;; [unrolled: 15-line block ×3, first 2 shown]
	v_fma_f64 v[16:17], -v[80:81], v[84:85], v[16:17]
	v_fma_f64 v[10:11], v[78:79], v[84:85], v[10:11]
	v_fma_f64 v[18:19], -v[88:89], v[84:85], v[18:19]
	v_fma_f64 v[20:21], v[86:87], v[84:85], v[20:21]
	;; [unrolled: 2-line block ×3, first 2 shown]
	s_waitcnt vmcnt(1)
	v_fma_f64 v[16:17], v[98:99], v[102:103], v[16:17]
	v_fma_f64 v[10:11], v[100:101], v[102:103], v[10:11]
	s_waitcnt vmcnt(0)
	v_fma_f64 v[29:30], v[106:107], v[102:103], v[18:19]
	v_fma_f64 v[21:22], v[108:109], v[102:103], v[20:21]
	;; [unrolled: 1-line block ×4, first 2 shown]
	v_fma_f64 v[17:18], -v[100:101], v[104:105], v[16:17]
	v_fma_f64 v[11:12], v[98:99], v[104:105], v[10:11]
	v_fma_f64 v[19:20], -v[108:109], v[104:105], v[29:30]
	v_fma_f64 v[21:22], v[106:107], v[104:105], v[21:22]
	;; [unrolled: 2-line block ×3, first 2 shown]
	s_and_not1_b32 exec_lo, exec_lo, s4
	s_cbranch_execnz .LBB126_11
; %bb.12:
	s_or_b32 exec_lo, exec_lo, s4
.LBB126_13:
	s_delay_alu instid0(SALU_CYCLE_1)
	s_or_b32 exec_lo, exec_lo, s1
	s_cbranch_execz .LBB126_15
	s_branch .LBB126_20
.LBB126_14:
                                        ; implicit-def: $vgpr11_vgpr12
                                        ; implicit-def: $vgpr17_vgpr18
                                        ; implicit-def: $vgpr13_vgpr14
                                        ; implicit-def: $vgpr15_vgpr16
                                        ; implicit-def: $vgpr19_vgpr20
                                        ; implicit-def: $vgpr21_vgpr22
.LBB126_15:
	v_mov_b32_e32 v11, 0
	v_mov_b32_e32 v12, 0
	s_delay_alu instid0(VALU_DEP_1)
	v_dual_mov_b32 v18, v12 :: v_dual_mov_b32 v17, v11
	v_dual_mov_b32 v14, v12 :: v_dual_mov_b32 v13, v11
	;; [unrolled: 1-line block ×5, first 2 shown]
	s_and_saveexec_b32 s1, s0
	s_cbranch_execz .LBB126_19
; %bb.16:
	v_dual_mov_b32 v11, 0 :: v_dual_mov_b32 v26, 0
	v_mov_b32_e32 v12, 0
	v_mad_u64_u32 v[23:24], null, v9, 15, 14
	s_mov_b32 s0, 0
	s_delay_alu instid0(VALU_DEP_2)
	v_dual_mov_b32 v18, v12 :: v_dual_mov_b32 v17, v11
	v_dual_mov_b32 v14, v12 :: v_dual_mov_b32 v13, v11
	;; [unrolled: 1-line block ×5, first 2 shown]
.LBB126_17:                             ; =>This Inner Loop Header: Depth=1
	v_ashrrev_i32_e32 v10, 31, v9
	v_dual_mov_b32 v32, v26 :: v_dual_add_nc_u32 v29, -9, v23
	v_add_nc_u32_e32 v31, -4, v23
	v_mov_b32_e32 v91, v26
	s_delay_alu instid0(VALU_DEP_4) | instskip(SKIP_1) | instid1(VALU_DEP_4)
	v_lshlrev_b64 v[24:25], 2, v[9:10]
	v_dual_mov_b32 v30, v26 :: v_dual_add_nc_u32 v9, 4, v9
	v_lshlrev_b64 v[31:32], 4, v[31:32]
	s_delay_alu instid0(VALU_DEP_3) | instskip(NEXT) | instid1(VALU_DEP_4)
	v_add_co_u32 v24, vcc_lo, s6, v24
	v_add_co_ci_u32_e32 v25, vcc_lo, s7, v25, vcc_lo
	s_delay_alu instid0(VALU_DEP_4) | instskip(SKIP_2) | instid1(VALU_DEP_1)
	v_lshlrev_b64 v[29:30], 4, v[29:30]
	global_load_b32 v10, v[24:25], off
	v_add_nc_u32_e32 v25, -14, v23
	v_lshlrev_b64 v[24:25], 4, v[25:26]
	s_delay_alu instid0(VALU_DEP_1) | instskip(NEXT) | instid1(VALU_DEP_2)
	v_add_co_u32 v24, vcc_lo, s8, v24
	v_add_co_ci_u32_e32 v25, vcc_lo, s9, v25, vcc_lo
	v_add_co_u32 v34, vcc_lo, s8, v29
	v_add_co_ci_u32_e32 v35, vcc_lo, s9, v30, vcc_lo
	;; [unrolled: 2-line block ×3, first 2 shown]
	s_clause 0x2
	global_load_b128 v[29:32], v[24:25], off
	global_load_b128 v[34:37], v[34:35], off
	;; [unrolled: 1-line block ×3, first 2 shown]
	s_waitcnt vmcnt(3)
	v_subrev_nc_u32_e32 v10, s12, v10
	s_delay_alu instid0(VALU_DEP_1) | instskip(NEXT) | instid1(VALU_DEP_1)
	v_lshl_add_u32 v90, v10, 2, v10
	v_lshlrev_b64 v[24:25], 4, v[90:91]
	s_delay_alu instid0(VALU_DEP_1) | instskip(NEXT) | instid1(VALU_DEP_2)
	v_add_co_u32 v24, vcc_lo, s10, v24
	v_add_co_ci_u32_e32 v25, vcc_lo, s11, v25, vcc_lo
	global_load_b128 v[42:45], v[24:25], off
	v_add_nc_u32_e32 v25, -13, v23
	s_delay_alu instid0(VALU_DEP_1) | instskip(NEXT) | instid1(VALU_DEP_1)
	v_lshlrev_b64 v[24:25], 4, v[25:26]
	v_add_co_u32 v24, vcc_lo, s8, v24
	s_delay_alu instid0(VALU_DEP_2) | instskip(SKIP_2) | instid1(VALU_DEP_1)
	v_add_co_ci_u32_e32 v25, vcc_lo, s9, v25, vcc_lo
	global_load_b128 v[46:49], v[24:25], off
	v_add_nc_u32_e32 v25, 1, v90
	v_lshlrev_b64 v[50:51], 4, v[25:26]
	v_add_nc_u32_e32 v25, -8, v23
	s_delay_alu instid0(VALU_DEP_1) | instskip(SKIP_1) | instid1(VALU_DEP_4)
	v_lshlrev_b64 v[52:53], 4, v[25:26]
	v_add_nc_u32_e32 v25, -3, v23
	v_add_co_u32 v50, vcc_lo, s10, v50
	v_add_co_ci_u32_e32 v51, vcc_lo, s11, v51, vcc_lo
	s_delay_alu instid0(VALU_DEP_3) | instskip(SKIP_2) | instid1(VALU_DEP_3)
	v_lshlrev_b64 v[24:25], 4, v[25:26]
	v_add_co_u32 v54, vcc_lo, s8, v52
	v_add_co_ci_u32_e32 v55, vcc_lo, s9, v53, vcc_lo
	v_add_co_u32 v24, vcc_lo, s8, v24
	s_delay_alu instid0(VALU_DEP_4)
	v_add_co_ci_u32_e32 v25, vcc_lo, s9, v25, vcc_lo
	global_load_b128 v[50:53], v[50:51], off
	s_clause 0x1
	global_load_b128 v[54:57], v[54:55], off
	global_load_b128 v[58:61], v[24:25], off
	v_dual_mov_b32 v24, v26 :: v_dual_add_nc_u32 v25, -12, v23
	s_delay_alu instid0(VALU_DEP_1) | instskip(SKIP_1) | instid1(VALU_DEP_1)
	v_lshlrev_b64 v[62:63], 4, v[25:26]
	v_add_nc_u32_e32 v25, 2, v90
	v_lshlrev_b64 v[64:65], 4, v[25:26]
	v_add_nc_u32_e32 v25, -7, v23
	s_delay_alu instid0(VALU_DEP_4) | instskip(SKIP_1) | instid1(VALU_DEP_3)
	v_add_co_u32 v62, vcc_lo, s8, v62
	v_add_co_ci_u32_e32 v63, vcc_lo, s9, v63, vcc_lo
	v_lshlrev_b64 v[70:71], 4, v[25:26]
	v_add_nc_u32_e32 v25, -2, v23
	v_add_co_u32 v66, vcc_lo, s10, v64
	v_add_co_ci_u32_e32 v67, vcc_lo, s11, v65, vcc_lo
	s_delay_alu instid0(VALU_DEP_3)
	v_lshlrev_b64 v[72:73], 4, v[25:26]
	v_add_co_u32 v70, vcc_lo, s8, v70
	v_add_co_ci_u32_e32 v71, vcc_lo, s9, v71, vcc_lo
	global_load_b128 v[62:65], v[62:63], off
	v_add_co_u32 v74, vcc_lo, s8, v72
	v_add_co_ci_u32_e32 v75, vcc_lo, s9, v73, vcc_lo
	global_load_b128 v[66:69], v[66:67], off
	s_clause 0x1
	global_load_b128 v[70:73], v[70:71], off
	global_load_b128 v[74:77], v[74:75], off
	v_lshlrev_b64 v[24:25], 4, v[23:24]
	s_delay_alu instid0(VALU_DEP_1) | instskip(NEXT) | instid1(VALU_DEP_2)
	v_add_co_u32 v24, vcc_lo, s8, v24
	v_add_co_ci_u32_e32 v25, vcc_lo, s9, v25, vcc_lo
	global_load_b128 v[78:81], v[24:25], off
	v_add_nc_u32_e32 v25, -11, v23
	s_delay_alu instid0(VALU_DEP_1) | instskip(SKIP_1) | instid1(VALU_DEP_1)
	v_lshlrev_b64 v[82:83], 4, v[25:26]
	v_add_nc_u32_e32 v25, 3, v90
	v_lshlrev_b64 v[84:85], 4, v[25:26]
	v_add_nc_u32_e32 v25, -6, v23
	s_delay_alu instid0(VALU_DEP_4) | instskip(SKIP_1) | instid1(VALU_DEP_3)
	v_add_co_u32 v82, vcc_lo, s8, v82
	v_add_co_ci_u32_e32 v83, vcc_lo, s9, v83, vcc_lo
	v_lshlrev_b64 v[86:87], 4, v[25:26]
	v_add_nc_u32_e32 v25, -1, v23
	v_add_co_u32 v88, vcc_lo, s10, v84
	v_add_co_ci_u32_e32 v89, vcc_lo, s11, v85, vcc_lo
	s_delay_alu instid0(VALU_DEP_3) | instskip(SKIP_3) | instid1(VALU_DEP_3)
	v_lshlrev_b64 v[91:92], 4, v[25:26]
	v_add_nc_u32_e32 v25, -10, v23
	v_add_co_u32 v93, vcc_lo, s8, v86
	v_add_co_ci_u32_e32 v94, vcc_lo, s9, v87, vcc_lo
	v_lshlrev_b64 v[95:96], 4, v[25:26]
	v_add_co_u32 v97, vcc_lo, s8, v91
	v_add_co_ci_u32_e32 v98, vcc_lo, s9, v92, vcc_lo
	global_load_b128 v[82:85], v[82:83], off
	v_add_co_u32 v101, vcc_lo, s8, v95
	v_add_co_ci_u32_e32 v102, vcc_lo, s9, v96, vcc_lo
	global_load_b128 v[86:89], v[88:89], off
	v_add_nc_u32_e32 v25, 4, v90
	global_load_b128 v[90:93], v[93:94], off
	v_lshlrev_b64 v[99:100], 4, v[25:26]
	v_add_nc_u32_e32 v25, -5, v23
	v_add_nc_u32_e32 v23, 60, v23
	s_delay_alu instid0(VALU_DEP_2)
	v_lshlrev_b64 v[24:25], 4, v[25:26]
	s_waitcnt vmcnt(12)
	v_fma_f64 v[17:18], v[29:30], v[42:43], v[17:18]
	v_fma_f64 v[10:11], v[31:32], v[42:43], v[11:12]
	v_fma_f64 v[19:20], v[34:35], v[42:43], v[19:20]
	v_fma_f64 v[21:22], v[36:37], v[42:43], v[21:22]
	v_fma_f64 v[12:13], v[38:39], v[42:43], v[13:14]
	v_fma_f64 v[14:15], v[40:41], v[42:43], v[15:16]
	v_fma_f64 v[17:18], -v[31:32], v[44:45], v[17:18]
	v_fma_f64 v[10:11], v[29:30], v[44:45], v[10:11]
	s_clause 0x1
	global_load_b128 v[29:32], v[101:102], off
	global_load_b128 v[94:97], v[97:98], off
	v_add_co_u32 v98, vcc_lo, s10, v99
	v_add_co_ci_u32_e32 v99, vcc_lo, s11, v100, vcc_lo
	v_add_co_u32 v24, vcc_lo, s8, v24
	v_add_co_ci_u32_e32 v25, vcc_lo, s9, v25, vcc_lo
	v_fma_f64 v[19:20], -v[36:37], v[44:45], v[19:20]
	v_fma_f64 v[21:22], v[34:35], v[44:45], v[21:22]
	global_load_b128 v[34:37], v[98:99], off
	global_load_b128 v[98:101], v[24:25], off
	v_fma_f64 v[12:13], -v[40:41], v[44:45], v[12:13]
	v_fma_f64 v[14:15], v[38:39], v[44:45], v[14:15]
	v_cmp_ge_i32_e32 vcc_lo, v9, v28
	s_or_b32 s0, vcc_lo, s0
	s_waitcnt vmcnt(14)
	v_fma_f64 v[16:17], v[46:47], v[50:51], v[17:18]
	v_fma_f64 v[10:11], v[48:49], v[50:51], v[10:11]
	s_waitcnt vmcnt(13)
	v_fma_f64 v[18:19], v[54:55], v[50:51], v[19:20]
	v_fma_f64 v[20:21], v[56:57], v[50:51], v[21:22]
	;; [unrolled: 3-line block ×3, first 2 shown]
	v_fma_f64 v[16:17], -v[48:49], v[52:53], v[16:17]
	v_fma_f64 v[10:11], v[46:47], v[52:53], v[10:11]
	v_fma_f64 v[18:19], -v[56:57], v[52:53], v[18:19]
	v_fma_f64 v[20:21], v[54:55], v[52:53], v[20:21]
	;; [unrolled: 2-line block ×3, first 2 shown]
	s_waitcnt vmcnt(10)
	v_fma_f64 v[16:17], v[62:63], v[66:67], v[16:17]
	v_fma_f64 v[10:11], v[64:65], v[66:67], v[10:11]
	s_waitcnt vmcnt(9)
	v_fma_f64 v[18:19], v[70:71], v[66:67], v[18:19]
	v_fma_f64 v[20:21], v[72:73], v[66:67], v[20:21]
	;; [unrolled: 3-line block ×3, first 2 shown]
	v_fma_f64 v[16:17], -v[64:65], v[68:69], v[16:17]
	v_fma_f64 v[10:11], v[62:63], v[68:69], v[10:11]
	v_fma_f64 v[18:19], -v[72:73], v[68:69], v[18:19]
	v_fma_f64 v[20:21], v[70:71], v[68:69], v[20:21]
	;; [unrolled: 2-line block ×3, first 2 shown]
	s_waitcnt vmcnt(5)
	v_fma_f64 v[16:17], v[82:83], v[86:87], v[16:17]
	v_fma_f64 v[10:11], v[84:85], v[86:87], v[10:11]
	s_waitcnt vmcnt(4)
	v_fma_f64 v[18:19], v[90:91], v[86:87], v[18:19]
	v_fma_f64 v[20:21], v[92:93], v[86:87], v[20:21]
	s_delay_alu instid0(VALU_DEP_4) | instskip(NEXT) | instid1(VALU_DEP_4)
	v_fma_f64 v[16:17], -v[84:85], v[88:89], v[16:17]
	v_fma_f64 v[10:11], v[82:83], v[88:89], v[10:11]
	s_delay_alu instid0(VALU_DEP_4) | instskip(NEXT) | instid1(VALU_DEP_4)
	v_fma_f64 v[18:19], -v[92:93], v[88:89], v[18:19]
	v_fma_f64 v[20:21], v[90:91], v[88:89], v[20:21]
	s_waitcnt vmcnt(2)
	v_fma_f64 v[12:13], v[94:95], v[86:87], v[12:13]
	v_fma_f64 v[14:15], v[96:97], v[86:87], v[14:15]
	s_waitcnt vmcnt(1)
	v_fma_f64 v[16:17], v[29:30], v[34:35], v[16:17]
	;; [unrolled: 3-line block ×3, first 2 shown]
	v_fma_f64 v[21:22], v[100:101], v[34:35], v[20:21]
	v_fma_f64 v[12:13], -v[96:97], v[88:89], v[12:13]
	v_fma_f64 v[14:15], v[94:95], v[88:89], v[14:15]
	v_fma_f64 v[17:18], -v[31:32], v[36:37], v[16:17]
	v_fma_f64 v[19:20], -v[100:101], v[36:37], v[24:25]
	v_fma_f64 v[21:22], v[98:99], v[36:37], v[21:22]
	v_fma_f64 v[38:39], v[78:79], v[34:35], v[12:13]
	v_fma_f64 v[34:35], v[80:81], v[34:35], v[14:15]
	v_fma_f64 v[11:12], v[29:30], v[36:37], v[10:11]
	s_delay_alu instid0(VALU_DEP_3) | instskip(NEXT) | instid1(VALU_DEP_3)
	v_fma_f64 v[13:14], -v[80:81], v[36:37], v[38:39]
	v_fma_f64 v[15:16], v[78:79], v[36:37], v[34:35]
	s_and_not1_b32 exec_lo, exec_lo, s0
	s_cbranch_execnz .LBB126_17
; %bb.18:
	s_or_b32 exec_lo, exec_lo, s0
.LBB126_19:
	s_delay_alu instid0(SALU_CYCLE_1)
	s_or_b32 exec_lo, exec_lo, s1
.LBB126_20:
	v_mbcnt_lo_u32_b32 v34, -1, 0
	s_delay_alu instid0(VALU_DEP_1) | instskip(NEXT) | instid1(VALU_DEP_1)
	v_xor_b32_e32 v9, 2, v34
	v_cmp_gt_i32_e32 vcc_lo, 32, v9
	v_cndmask_b32_e32 v9, v34, v9, vcc_lo
	s_delay_alu instid0(VALU_DEP_1)
	v_lshlrev_b32_e32 v32, 2, v9
	ds_bpermute_b32 v23, v32, v11
	ds_bpermute_b32 v24, v32, v12
	;; [unrolled: 1-line block ×4, first 2 shown]
	s_waitcnt lgkmcnt(2)
	v_add_f64 v[23:24], v[11:12], v[23:24]
	s_waitcnt lgkmcnt(0)
	v_add_f64 v[11:12], v[19:20], v[25:26]
	v_xor_b32_e32 v19, 1, v34
	s_delay_alu instid0(VALU_DEP_1)
	v_cmp_gt_i32_e32 vcc_lo, 32, v19
	v_cndmask_b32_e32 v19, v34, v19, vcc_lo
	ds_bpermute_b32 v9, v32, v17
	ds_bpermute_b32 v10, v32, v18
	;; [unrolled: 1-line block ×8, first 2 shown]
	v_lshlrev_b32_e32 v26, 2, v19
	v_cmp_eq_u32_e32 vcc_lo, 3, v33
	s_waitcnt lgkmcnt(6)
	v_add_f64 v[9:10], v[17:18], v[9:10]
	s_waitcnt lgkmcnt(4)
	v_add_f64 v[17:18], v[21:22], v[27:28]
	ds_bpermute_b32 v19, v26, v23
	s_waitcnt lgkmcnt(3)
	v_add_f64 v[13:14], v[13:14], v[29:30]
	ds_bpermute_b32 v20, v26, v24
	;; [unrolled: 3-line block ×3, first 2 shown]
	ds_bpermute_b32 v30, v26, v12
	ds_bpermute_b32 v31, v26, v9
	;; [unrolled: 1-line block ×9, first 2 shown]
	s_and_b32 exec_lo, exec_lo, vcc_lo
	s_cbranch_execz .LBB126_25
; %bb.21:
	v_cmp_eq_f64_e32 vcc_lo, 0, v[4:5]
	v_cmp_eq_f64_e64 s0, 0, v[6:7]
	s_waitcnt lgkmcnt(6)
	v_add_f64 v[9:10], v[9:10], v[31:32]
	v_add_f64 v[19:20], v[23:24], v[19:20]
	;; [unrolled: 1-line block ×3, first 2 shown]
	s_waitcnt lgkmcnt(4)
	v_add_f64 v[17:18], v[17:18], v[27:28]
	s_waitcnt lgkmcnt(2)
	v_add_f64 v[13:14], v[13:14], v[21:22]
	;; [unrolled: 2-line block ×3, first 2 shown]
	s_load_b64 s[2:3], s[2:3], 0x48
	s_and_b32 s0, vcc_lo, s0
	s_delay_alu instid0(SALU_CYCLE_1) | instskip(NEXT) | instid1(SALU_CYCLE_1)
	s_and_saveexec_b32 s1, s0
	s_xor_b32 s0, exec_lo, s1
	s_cbranch_execz .LBB126_23
; %bb.22:
	v_mul_f64 v[4:5], v[19:20], -v[2:3]
	v_mul_f64 v[6:7], v[0:1], v[19:20]
	v_mul_f64 v[19:20], v[17:18], -v[2:3]
	v_mul_f64 v[17:18], v[0:1], v[17:18]
	;; [unrolled: 2-line block ×3, first 2 shown]
	v_fma_f64 v[4:5], v[0:1], v[9:10], v[4:5]
	v_fma_f64 v[6:7], v[2:3], v[9:10], v[6:7]
	;; [unrolled: 1-line block ×6, first 2 shown]
	v_lshl_add_u32 v13, v8, 1, v8
                                        ; implicit-def: $vgpr8
                                        ; implicit-def: $vgpr19_vgpr20
                                        ; implicit-def: $vgpr17_vgpr18
                                        ; implicit-def: $vgpr15_vgpr16
	s_delay_alu instid0(VALU_DEP_1) | instskip(NEXT) | instid1(VALU_DEP_1)
	v_ashrrev_i32_e32 v14, 31, v13
	v_lshlrev_b64 v[13:14], 4, v[13:14]
	s_waitcnt lgkmcnt(0)
	s_delay_alu instid0(VALU_DEP_1) | instskip(NEXT) | instid1(VALU_DEP_2)
	v_add_co_u32 v13, vcc_lo, s2, v13
	v_add_co_ci_u32_e32 v14, vcc_lo, s3, v14, vcc_lo
	s_clause 0x2
	global_store_b128 v[13:14], v[4:7], off
	global_store_b128 v[13:14], v[9:12], off offset:16
	global_store_b128 v[13:14], v[0:3], off offset:32
                                        ; implicit-def: $vgpr0_vgpr1
                                        ; implicit-def: $vgpr2_vgpr3
                                        ; implicit-def: $vgpr4_vgpr5
                                        ; implicit-def: $vgpr6_vgpr7
                                        ; implicit-def: $vgpr9_vgpr10
                                        ; implicit-def: $vgpr11_vgpr12
                                        ; implicit-def: $vgpr13_vgpr14
.LBB126_23:
	s_and_not1_saveexec_b32 s0, s0
	s_cbranch_execz .LBB126_25
; %bb.24:
	v_lshl_add_u32 v21, v8, 1, v8
	v_mul_f64 v[35:36], v[19:20], -v[2:3]
	v_mul_f64 v[19:20], v[0:1], v[19:20]
	v_mul_f64 v[37:38], v[17:18], -v[2:3]
	v_mul_f64 v[17:18], v[0:1], v[17:18]
	v_ashrrev_i32_e32 v22, 31, v21
	v_mul_f64 v[39:40], v[15:16], -v[2:3]
	v_mul_f64 v[15:16], v[0:1], v[15:16]
	s_delay_alu instid0(VALU_DEP_3) | instskip(SKIP_1) | instid1(VALU_DEP_1)
	v_lshlrev_b64 v[21:22], 4, v[21:22]
	s_waitcnt lgkmcnt(0)
	v_add_co_u32 v33, vcc_lo, s2, v21
	s_delay_alu instid0(VALU_DEP_2)
	v_add_co_ci_u32_e32 v34, vcc_lo, s3, v22, vcc_lo
	s_clause 0x2
	global_load_b128 v[21:24], v[33:34], off
	global_load_b128 v[25:28], v[33:34], off offset:16
	global_load_b128 v[29:32], v[33:34], off offset:32
	v_fma_f64 v[35:36], v[0:1], v[9:10], v[35:36]
	v_fma_f64 v[8:9], v[2:3], v[9:10], v[19:20]
	;; [unrolled: 1-line block ×6, first 2 shown]
	s_waitcnt vmcnt(2)
	v_fma_f64 v[12:13], v[4:5], v[21:22], v[35:36]
	v_fma_f64 v[8:9], v[6:7], v[21:22], v[8:9]
	s_waitcnt vmcnt(1)
	v_fma_f64 v[14:15], v[4:5], v[25:26], v[19:20]
	v_fma_f64 v[10:11], v[6:7], v[25:26], v[10:11]
	;; [unrolled: 3-line block ×3, first 2 shown]
	v_fma_f64 v[0:1], -v[6:7], v[23:24], v[12:13]
	v_fma_f64 v[2:3], v[4:5], v[23:24], v[8:9]
	v_fma_f64 v[8:9], -v[6:7], v[27:28], v[14:15]
	v_fma_f64 v[10:11], v[4:5], v[27:28], v[10:11]
	;; [unrolled: 2-line block ×3, first 2 shown]
	s_clause 0x2
	global_store_b128 v[33:34], v[0:3], off
	global_store_b128 v[33:34], v[8:11], off offset:16
	global_store_b128 v[33:34], v[12:15], off offset:32
.LBB126_25:
	s_nop 0
	s_sendmsg sendmsg(MSG_DEALLOC_VGPRS)
	s_endpgm
	.section	.rodata,"a",@progbits
	.p2align	6, 0x0
	.amdhsa_kernel _ZN9rocsparseL19gebsrmvn_3xn_kernelILj128ELj5ELj4E21rocsparse_complex_numIdEEEvi20rocsparse_direction_NS_24const_host_device_scalarIT2_EEPKiS8_PKS5_SA_S6_PS5_21rocsparse_index_base_b
		.amdhsa_group_segment_fixed_size 2048
		.amdhsa_private_segment_fixed_size 0
		.amdhsa_kernarg_size 88
		.amdhsa_user_sgpr_count 15
		.amdhsa_user_sgpr_dispatch_ptr 1
		.amdhsa_user_sgpr_queue_ptr 0
		.amdhsa_user_sgpr_kernarg_segment_ptr 1
		.amdhsa_user_sgpr_dispatch_id 0
		.amdhsa_user_sgpr_private_segment_size 0
		.amdhsa_wavefront_size32 1
		.amdhsa_uses_dynamic_stack 0
		.amdhsa_enable_private_segment 0
		.amdhsa_system_sgpr_workgroup_id_x 1
		.amdhsa_system_sgpr_workgroup_id_y 0
		.amdhsa_system_sgpr_workgroup_id_z 0
		.amdhsa_system_sgpr_workgroup_info 0
		.amdhsa_system_vgpr_workitem_id 2
		.amdhsa_next_free_vgpr 110
		.amdhsa_next_free_sgpr 18
		.amdhsa_reserve_vcc 1
		.amdhsa_float_round_mode_32 0
		.amdhsa_float_round_mode_16_64 0
		.amdhsa_float_denorm_mode_32 3
		.amdhsa_float_denorm_mode_16_64 3
		.amdhsa_dx10_clamp 1
		.amdhsa_ieee_mode 1
		.amdhsa_fp16_overflow 0
		.amdhsa_workgroup_processor_mode 1
		.amdhsa_memory_ordered 1
		.amdhsa_forward_progress 0
		.amdhsa_shared_vgpr_count 0
		.amdhsa_exception_fp_ieee_invalid_op 0
		.amdhsa_exception_fp_denorm_src 0
		.amdhsa_exception_fp_ieee_div_zero 0
		.amdhsa_exception_fp_ieee_overflow 0
		.amdhsa_exception_fp_ieee_underflow 0
		.amdhsa_exception_fp_ieee_inexact 0
		.amdhsa_exception_int_div_zero 0
	.end_amdhsa_kernel
	.section	.text._ZN9rocsparseL19gebsrmvn_3xn_kernelILj128ELj5ELj4E21rocsparse_complex_numIdEEEvi20rocsparse_direction_NS_24const_host_device_scalarIT2_EEPKiS8_PKS5_SA_S6_PS5_21rocsparse_index_base_b,"axG",@progbits,_ZN9rocsparseL19gebsrmvn_3xn_kernelILj128ELj5ELj4E21rocsparse_complex_numIdEEEvi20rocsparse_direction_NS_24const_host_device_scalarIT2_EEPKiS8_PKS5_SA_S6_PS5_21rocsparse_index_base_b,comdat
.Lfunc_end126:
	.size	_ZN9rocsparseL19gebsrmvn_3xn_kernelILj128ELj5ELj4E21rocsparse_complex_numIdEEEvi20rocsparse_direction_NS_24const_host_device_scalarIT2_EEPKiS8_PKS5_SA_S6_PS5_21rocsparse_index_base_b, .Lfunc_end126-_ZN9rocsparseL19gebsrmvn_3xn_kernelILj128ELj5ELj4E21rocsparse_complex_numIdEEEvi20rocsparse_direction_NS_24const_host_device_scalarIT2_EEPKiS8_PKS5_SA_S6_PS5_21rocsparse_index_base_b
                                        ; -- End function
	.section	.AMDGPU.csdata,"",@progbits
; Kernel info:
; codeLenInByte = 4360
; NumSgprs: 20
; NumVgprs: 110
; ScratchSize: 0
; MemoryBound: 0
; FloatMode: 240
; IeeeMode: 1
; LDSByteSize: 2048 bytes/workgroup (compile time only)
; SGPRBlocks: 2
; VGPRBlocks: 13
; NumSGPRsForWavesPerEU: 20
; NumVGPRsForWavesPerEU: 110
; Occupancy: 12
; WaveLimiterHint : 1
; COMPUTE_PGM_RSRC2:SCRATCH_EN: 0
; COMPUTE_PGM_RSRC2:USER_SGPR: 15
; COMPUTE_PGM_RSRC2:TRAP_HANDLER: 0
; COMPUTE_PGM_RSRC2:TGID_X_EN: 1
; COMPUTE_PGM_RSRC2:TGID_Y_EN: 0
; COMPUTE_PGM_RSRC2:TGID_Z_EN: 0
; COMPUTE_PGM_RSRC2:TIDIG_COMP_CNT: 2
	.section	.text._ZN9rocsparseL19gebsrmvn_3xn_kernelILj128ELj5ELj8E21rocsparse_complex_numIdEEEvi20rocsparse_direction_NS_24const_host_device_scalarIT2_EEPKiS8_PKS5_SA_S6_PS5_21rocsparse_index_base_b,"axG",@progbits,_ZN9rocsparseL19gebsrmvn_3xn_kernelILj128ELj5ELj8E21rocsparse_complex_numIdEEEvi20rocsparse_direction_NS_24const_host_device_scalarIT2_EEPKiS8_PKS5_SA_S6_PS5_21rocsparse_index_base_b,comdat
	.globl	_ZN9rocsparseL19gebsrmvn_3xn_kernelILj128ELj5ELj8E21rocsparse_complex_numIdEEEvi20rocsparse_direction_NS_24const_host_device_scalarIT2_EEPKiS8_PKS5_SA_S6_PS5_21rocsparse_index_base_b ; -- Begin function _ZN9rocsparseL19gebsrmvn_3xn_kernelILj128ELj5ELj8E21rocsparse_complex_numIdEEEvi20rocsparse_direction_NS_24const_host_device_scalarIT2_EEPKiS8_PKS5_SA_S6_PS5_21rocsparse_index_base_b
	.p2align	8
	.type	_ZN9rocsparseL19gebsrmvn_3xn_kernelILj128ELj5ELj8E21rocsparse_complex_numIdEEEvi20rocsparse_direction_NS_24const_host_device_scalarIT2_EEPKiS8_PKS5_SA_S6_PS5_21rocsparse_index_base_b,@function
_ZN9rocsparseL19gebsrmvn_3xn_kernelILj128ELj5ELj8E21rocsparse_complex_numIdEEEvi20rocsparse_direction_NS_24const_host_device_scalarIT2_EEPKiS8_PKS5_SA_S6_PS5_21rocsparse_index_base_b: ; @_ZN9rocsparseL19gebsrmvn_3xn_kernelILj128ELj5ELj8E21rocsparse_complex_numIdEEEvi20rocsparse_direction_NS_24const_host_device_scalarIT2_EEPKiS8_PKS5_SA_S6_PS5_21rocsparse_index_base_b
; %bb.0:
	s_load_b64 s[12:13], s[2:3], 0x50
	s_load_b64 s[16:17], s[0:1], 0x4
	s_load_b128 s[8:11], s[2:3], 0x8
	v_bfe_u32 v1, v0, 10, 10
	s_mov_b64 s[0:1], src_shared_base
	s_load_b128 s[4:7], s[2:3], 0x38
	v_and_b32_e32 v10, 0x3ff, v0
	v_bfe_u32 v0, v0, 20, 10
	s_waitcnt lgkmcnt(0)
	s_bitcmp1_b32 s13, 0
	v_mul_u32_u24_e32 v1, s17, v1
	s_cselect_b32 s0, -1, 0
	s_delay_alu instid0(SALU_CYCLE_1)
	s_and_b32 vcc_lo, s0, exec_lo
	s_cselect_b32 s13, s1, s9
	s_lshr_b32 s14, s16, 16
	v_dual_mov_b32 v2, s4 :: v_dual_mov_b32 v3, s5
	s_mul_i32 s14, s14, s17
	v_mov_b32_e32 v6, s13
	v_mad_u32_u24 v1, s14, v10, v1
	s_delay_alu instid0(VALU_DEP_1) | instskip(SKIP_1) | instid1(VALU_DEP_2)
	v_add_lshl_u32 v4, v1, v0, 3
	v_dual_mov_b32 v0, s8 :: v_dual_mov_b32 v1, s9
	v_add_nc_u32_e32 v5, 0x400, v4
	ds_store_2addr_stride64_b64 v4, v[2:3], v[0:1] offset1:2
	v_dual_mov_b32 v2, s10 :: v_dual_mov_b32 v3, s11
	v_cndmask_b32_e64 v5, s8, v5, s0
	s_xor_b32 s10, s0, -1
	flat_load_b64 v[0:1], v[5:6]
	s_cbranch_vccnz .LBB127_2
; %bb.1:
	v_dual_mov_b32 v2, s8 :: v_dual_mov_b32 v3, s9
	flat_load_b64 v[2:3], v[2:3] offset:8
.LBB127_2:
	s_and_b32 s8, s0, exec_lo
	s_cselect_b32 s1, s1, s5
	v_cndmask_b32_e64 v4, s4, v4, s0
	v_dual_mov_b32 v5, s1 :: v_dual_mov_b32 v6, s6
	v_mov_b32_e32 v7, s7
	s_and_not1_b32 vcc_lo, exec_lo, s10
	flat_load_b64 v[4:5], v[4:5]
	s_cbranch_vccnz .LBB127_4
; %bb.3:
	v_dual_mov_b32 v7, s5 :: v_dual_mov_b32 v6, s4
	flat_load_b64 v[6:7], v[6:7] offset:8
.LBB127_4:
	s_waitcnt vmcnt(1) lgkmcnt(1)
	v_cmp_eq_f64_e32 vcc_lo, 0, v[0:1]
	v_cmp_eq_f64_e64 s0, 0, v[2:3]
	s_delay_alu instid0(VALU_DEP_1)
	s_and_b32 s4, vcc_lo, s0
	s_mov_b32 s0, -1
	s_and_saveexec_b32 s1, s4
	s_cbranch_execz .LBB127_6
; %bb.5:
	s_waitcnt vmcnt(0) lgkmcnt(0)
	v_cmp_neq_f64_e32 vcc_lo, 1.0, v[4:5]
	v_cmp_neq_f64_e64 s0, 0, v[6:7]
	s_delay_alu instid0(VALU_DEP_1) | instskip(NEXT) | instid1(SALU_CYCLE_1)
	s_or_b32 s0, vcc_lo, s0
	s_or_not1_b32 s0, s0, exec_lo
.LBB127_6:
	s_or_b32 exec_lo, exec_lo, s1
	s_and_saveexec_b32 s1, s0
	s_cbranch_execz .LBB127_25
; %bb.7:
	s_load_b64 s[0:1], s[2:3], 0x0
	v_lshrrev_b32_e32 v8, 3, v10
	s_delay_alu instid0(VALU_DEP_1) | instskip(SKIP_1) | instid1(VALU_DEP_1)
	v_lshl_or_b32 v8, s15, 4, v8
	s_waitcnt lgkmcnt(0)
	v_cmp_gt_i32_e32 vcc_lo, s0, v8
	s_and_b32 exec_lo, exec_lo, vcc_lo
	s_cbranch_execz .LBB127_25
; %bb.8:
	s_load_b256 s[4:11], s[2:3], 0x18
	v_ashrrev_i32_e32 v9, 31, v8
	v_and_b32_e32 v33, 7, v10
	s_cmp_lg_u32 s1, 0
	s_delay_alu instid0(VALU_DEP_2) | instskip(SKIP_1) | instid1(VALU_DEP_1)
	v_lshlrev_b64 v[11:12], 2, v[8:9]
	s_waitcnt lgkmcnt(0)
	v_add_co_u32 v11, vcc_lo, s4, v11
	s_delay_alu instid0(VALU_DEP_2) | instskip(SKIP_4) | instid1(VALU_DEP_2)
	v_add_co_ci_u32_e32 v12, vcc_lo, s5, v12, vcc_lo
	global_load_b64 v[11:12], v[11:12], off
	s_waitcnt vmcnt(0)
	v_subrev_nc_u32_e32 v9, s12, v11
	v_subrev_nc_u32_e32 v28, s12, v12
	v_add_nc_u32_e32 v9, v9, v33
	s_delay_alu instid0(VALU_DEP_1)
	v_cmp_lt_i32_e64 s0, v9, v28
	s_cbranch_scc0 .LBB127_14
; %bb.9:
	v_mov_b32_e32 v11, 0
	v_mov_b32_e32 v12, 0
	s_delay_alu instid0(VALU_DEP_1)
	v_dual_mov_b32 v18, v12 :: v_dual_mov_b32 v17, v11
	v_dual_mov_b32 v14, v12 :: v_dual_mov_b32 v13, v11
	;; [unrolled: 1-line block ×5, first 2 shown]
	s_and_saveexec_b32 s1, s0
	s_cbranch_execz .LBB127_13
; %bb.10:
	v_dual_mov_b32 v11, 0 :: v_dual_mov_b32 v26, v9
	v_dual_mov_b32 v12, 0 :: v_dual_mov_b32 v25, 0
	v_mad_u64_u32 v[23:24], null, v9, 15, 14
	s_mov_b32 s4, 0
	s_delay_alu instid0(VALU_DEP_2)
	v_dual_mov_b32 v18, v12 :: v_dual_mov_b32 v17, v11
	v_dual_mov_b32 v14, v12 :: v_dual_mov_b32 v13, v11
	v_dual_mov_b32 v16, v12 :: v_dual_mov_b32 v15, v11
	v_dual_mov_b32 v20, v12 :: v_dual_mov_b32 v19, v11
	v_dual_mov_b32 v22, v12 :: v_dual_mov_b32 v21, v11
.LBB127_11:                             ; =>This Inner Loop Header: Depth=1
	v_ashrrev_i32_e32 v27, 31, v26
	v_dual_mov_b32 v99, v25 :: v_dual_add_nc_u32 v24, -14, v23
	s_delay_alu instid0(VALU_DEP_2) | instskip(SKIP_1) | instid1(VALU_DEP_2)
	v_lshlrev_b64 v[29:30], 2, v[26:27]
	v_add_nc_u32_e32 v26, 8, v26
	v_add_co_u32 v29, vcc_lo, s6, v29
	s_delay_alu instid0(VALU_DEP_3) | instskip(SKIP_3) | instid1(VALU_DEP_1)
	v_add_co_ci_u32_e32 v30, vcc_lo, s7, v30, vcc_lo
	global_load_b32 v10, v[29:30], off
	v_lshlrev_b64 v[29:30], 4, v[24:25]
	v_add_nc_u32_e32 v24, -13, v23
	v_lshlrev_b64 v[34:35], 4, v[24:25]
	v_add_nc_u32_e32 v24, -12, v23
	s_delay_alu instid0(VALU_DEP_4) | instskip(SKIP_1) | instid1(VALU_DEP_3)
	v_add_co_u32 v29, vcc_lo, s8, v29
	v_add_co_ci_u32_e32 v30, vcc_lo, s9, v30, vcc_lo
	v_lshlrev_b64 v[36:37], 4, v[24:25]
	v_add_co_u32 v34, vcc_lo, s8, v34
	v_add_co_ci_u32_e32 v35, vcc_lo, s9, v35, vcc_lo
	global_load_b128 v[29:32], v[29:30], off
	v_add_co_u32 v38, vcc_lo, s8, v36
	v_add_co_ci_u32_e32 v39, vcc_lo, s9, v37, vcc_lo
	s_clause 0x1
	global_load_b128 v[34:37], v[34:35], off
	global_load_b128 v[38:41], v[38:39], off
	v_add_nc_u32_e32 v24, -11, v23
	s_delay_alu instid0(VALU_DEP_1) | instskip(SKIP_2) | instid1(VALU_DEP_1)
	v_lshlrev_b64 v[46:47], 4, v[24:25]
	s_waitcnt vmcnt(3)
	v_subrev_nc_u32_e32 v10, s12, v10
	v_lshl_add_u32 v98, v10, 2, v10
	s_delay_alu instid0(VALU_DEP_1) | instskip(SKIP_1) | instid1(VALU_DEP_1)
	v_lshlrev_b64 v[42:43], 4, v[98:99]
	v_add_nc_u32_e32 v24, 1, v98
	v_lshlrev_b64 v[50:51], 4, v[24:25]
	s_delay_alu instid0(VALU_DEP_3) | instskip(NEXT) | instid1(VALU_DEP_4)
	v_add_co_u32 v42, vcc_lo, s10, v42
	v_add_co_ci_u32_e32 v43, vcc_lo, s11, v43, vcc_lo
	v_add_nc_u32_e32 v24, -10, v23
	v_add_co_u32 v46, vcc_lo, s8, v46
	global_load_b128 v[42:45], v[42:43], off
	v_add_co_ci_u32_e32 v47, vcc_lo, s9, v47, vcc_lo
	v_lshlrev_b64 v[52:53], 4, v[24:25]
	v_add_nc_u32_e32 v24, -9, v23
	v_add_co_u32 v50, vcc_lo, s10, v50
	v_add_co_ci_u32_e32 v51, vcc_lo, s11, v51, vcc_lo
	s_delay_alu instid0(VALU_DEP_3)
	v_lshlrev_b64 v[54:55], 4, v[24:25]
	v_add_co_u32 v56, vcc_lo, s8, v52
	v_add_co_ci_u32_e32 v57, vcc_lo, s9, v53, vcc_lo
	global_load_b128 v[46:49], v[46:47], off
	v_add_co_u32 v58, vcc_lo, s8, v54
	v_add_co_ci_u32_e32 v59, vcc_lo, s9, v55, vcc_lo
	global_load_b128 v[50:53], v[50:51], off
	s_clause 0x1
	global_load_b128 v[54:57], v[56:57], off
	global_load_b128 v[58:61], v[58:59], off
	v_add_nc_u32_e32 v24, -8, v23
	s_delay_alu instid0(VALU_DEP_1) | instskip(SKIP_1) | instid1(VALU_DEP_1)
	v_lshlrev_b64 v[62:63], 4, v[24:25]
	v_add_nc_u32_e32 v24, 2, v98
	v_lshlrev_b64 v[66:67], 4, v[24:25]
	v_add_nc_u32_e32 v24, -7, v23
	s_delay_alu instid0(VALU_DEP_4) | instskip(SKIP_1) | instid1(VALU_DEP_3)
	v_add_co_u32 v62, vcc_lo, s8, v62
	v_add_co_ci_u32_e32 v63, vcc_lo, s9, v63, vcc_lo
	v_lshlrev_b64 v[68:69], 4, v[24:25]
	v_add_nc_u32_e32 v24, -6, v23
	v_add_co_u32 v66, vcc_lo, s10, v66
	v_add_co_ci_u32_e32 v67, vcc_lo, s11, v67, vcc_lo
	s_delay_alu instid0(VALU_DEP_3)
	v_lshlrev_b64 v[70:71], 4, v[24:25]
	v_add_co_u32 v72, vcc_lo, s8, v68
	v_add_co_ci_u32_e32 v73, vcc_lo, s9, v69, vcc_lo
	global_load_b128 v[62:65], v[62:63], off
	v_add_co_u32 v74, vcc_lo, s8, v70
	v_add_co_ci_u32_e32 v75, vcc_lo, s9, v71, vcc_lo
	global_load_b128 v[66:69], v[66:67], off
	s_clause 0x1
	global_load_b128 v[70:73], v[72:73], off
	global_load_b128 v[74:77], v[74:75], off
	v_add_nc_u32_e32 v24, -5, v23
	s_delay_alu instid0(VALU_DEP_1) | instskip(SKIP_1) | instid1(VALU_DEP_1)
	v_lshlrev_b64 v[78:79], 4, v[24:25]
	v_add_nc_u32_e32 v24, 3, v98
	v_lshlrev_b64 v[82:83], 4, v[24:25]
	v_add_nc_u32_e32 v24, -4, v23
	s_delay_alu instid0(VALU_DEP_4) | instskip(SKIP_1) | instid1(VALU_DEP_3)
	v_add_co_u32 v78, vcc_lo, s8, v78
	v_add_co_ci_u32_e32 v79, vcc_lo, s9, v79, vcc_lo
	v_lshlrev_b64 v[84:85], 4, v[24:25]
	v_add_nc_u32_e32 v24, -3, v23
	v_add_co_u32 v82, vcc_lo, s10, v82
	v_add_co_ci_u32_e32 v83, vcc_lo, s11, v83, vcc_lo
	s_delay_alu instid0(VALU_DEP_3)
	v_lshlrev_b64 v[86:87], 4, v[24:25]
	v_add_co_u32 v88, vcc_lo, s8, v84
	v_add_co_ci_u32_e32 v89, vcc_lo, s9, v85, vcc_lo
	global_load_b128 v[78:81], v[78:79], off
	v_add_co_u32 v90, vcc_lo, s8, v86
	v_add_co_ci_u32_e32 v91, vcc_lo, s9, v87, vcc_lo
	global_load_b128 v[82:85], v[82:83], off
	s_clause 0x1
	global_load_b128 v[86:89], v[88:89], off
	global_load_b128 v[90:93], v[90:91], off
	v_mov_b32_e32 v24, v25
	s_delay_alu instid0(VALU_DEP_1) | instskip(SKIP_1) | instid1(VALU_DEP_1)
	v_lshlrev_b64 v[94:95], 4, v[23:24]
	v_add_nc_u32_e32 v24, -2, v23
	v_lshlrev_b64 v[99:100], 4, v[24:25]
	v_add_nc_u32_e32 v24, 4, v98
	s_delay_alu instid0(VALU_DEP_4) | instskip(SKIP_1) | instid1(VALU_DEP_3)
	v_add_co_u32 v94, vcc_lo, s8, v94
	v_add_co_ci_u32_e32 v95, vcc_lo, s9, v95, vcc_lo
	v_lshlrev_b64 v[102:103], 4, v[24:25]
	v_add_nc_u32_e32 v24, -1, v23
	v_add_nc_u32_e32 v23, 0x78, v23
	v_add_co_u32 v98, vcc_lo, s8, v99
	v_add_co_ci_u32_e32 v99, vcc_lo, s9, v100, vcc_lo
	s_delay_alu instid0(VALU_DEP_4)
	v_lshlrev_b64 v[104:105], 4, v[24:25]
	v_add_co_u32 v102, vcc_lo, s10, v102
	v_add_co_ci_u32_e32 v103, vcc_lo, s11, v103, vcc_lo
	s_clause 0x1
	global_load_b128 v[94:97], v[94:95], off
	global_load_b128 v[98:101], v[98:99], off
	v_add_co_u32 v106, vcc_lo, s8, v104
	v_add_co_ci_u32_e32 v107, vcc_lo, s9, v105, vcc_lo
	global_load_b128 v[102:105], v[102:103], off
	global_load_b128 v[106:109], v[106:107], off
	v_cmp_ge_i32_e32 vcc_lo, v26, v28
	s_or_b32 s4, vcc_lo, s4
	s_waitcnt vmcnt(16)
	v_fma_f64 v[17:18], v[29:30], v[42:43], v[17:18]
	v_fma_f64 v[10:11], v[31:32], v[42:43], v[11:12]
	;; [unrolled: 1-line block ×6, first 2 shown]
	v_fma_f64 v[16:17], -v[31:32], v[44:45], v[17:18]
	v_fma_f64 v[10:11], v[29:30], v[44:45], v[10:11]
	v_fma_f64 v[18:19], -v[36:37], v[44:45], v[19:20]
	v_fma_f64 v[20:21], v[34:35], v[44:45], v[21:22]
	v_fma_f64 v[12:13], -v[40:41], v[44:45], v[12:13]
	v_fma_f64 v[14:15], v[38:39], v[44:45], v[14:15]
	s_waitcnt vmcnt(14)
	v_fma_f64 v[16:17], v[46:47], v[50:51], v[16:17]
	v_fma_f64 v[10:11], v[48:49], v[50:51], v[10:11]
	s_waitcnt vmcnt(13)
	v_fma_f64 v[18:19], v[54:55], v[50:51], v[18:19]
	v_fma_f64 v[20:21], v[56:57], v[50:51], v[20:21]
	s_waitcnt vmcnt(12)
	v_fma_f64 v[12:13], v[58:59], v[50:51], v[12:13]
	v_fma_f64 v[14:15], v[60:61], v[50:51], v[14:15]
	v_fma_f64 v[16:17], -v[48:49], v[52:53], v[16:17]
	v_fma_f64 v[10:11], v[46:47], v[52:53], v[10:11]
	v_fma_f64 v[18:19], -v[56:57], v[52:53], v[18:19]
	v_fma_f64 v[20:21], v[54:55], v[52:53], v[20:21]
	v_fma_f64 v[12:13], -v[60:61], v[52:53], v[12:13]
	v_fma_f64 v[14:15], v[58:59], v[52:53], v[14:15]
	s_waitcnt vmcnt(10)
	v_fma_f64 v[16:17], v[62:63], v[66:67], v[16:17]
	v_fma_f64 v[10:11], v[64:65], v[66:67], v[10:11]
	s_waitcnt vmcnt(9)
	v_fma_f64 v[18:19], v[70:71], v[66:67], v[18:19]
	v_fma_f64 v[20:21], v[72:73], v[66:67], v[20:21]
	s_waitcnt vmcnt(8)
	v_fma_f64 v[12:13], v[74:75], v[66:67], v[12:13]
	v_fma_f64 v[14:15], v[76:77], v[66:67], v[14:15]
	v_fma_f64 v[16:17], -v[64:65], v[68:69], v[16:17]
	v_fma_f64 v[10:11], v[62:63], v[68:69], v[10:11]
	v_fma_f64 v[18:19], -v[72:73], v[68:69], v[18:19]
	v_fma_f64 v[20:21], v[70:71], v[68:69], v[20:21]
	v_fma_f64 v[12:13], -v[76:77], v[68:69], v[12:13]
	v_fma_f64 v[14:15], v[74:75], v[68:69], v[14:15]
	s_waitcnt vmcnt(6)
	v_fma_f64 v[16:17], v[78:79], v[82:83], v[16:17]
	v_fma_f64 v[10:11], v[80:81], v[82:83], v[10:11]
	s_waitcnt vmcnt(5)
	v_fma_f64 v[18:19], v[86:87], v[82:83], v[18:19]
	v_fma_f64 v[20:21], v[88:89], v[82:83], v[20:21]
	s_waitcnt vmcnt(4)
	v_fma_f64 v[12:13], v[90:91], v[82:83], v[12:13]
	v_fma_f64 v[14:15], v[92:93], v[82:83], v[14:15]
	v_fma_f64 v[16:17], -v[80:81], v[84:85], v[16:17]
	v_fma_f64 v[10:11], v[78:79], v[84:85], v[10:11]
	v_fma_f64 v[18:19], -v[88:89], v[84:85], v[18:19]
	v_fma_f64 v[20:21], v[86:87], v[84:85], v[20:21]
	;; [unrolled: 2-line block ×3, first 2 shown]
	s_waitcnt vmcnt(1)
	v_fma_f64 v[16:17], v[98:99], v[102:103], v[16:17]
	v_fma_f64 v[10:11], v[100:101], v[102:103], v[10:11]
	s_waitcnt vmcnt(0)
	v_fma_f64 v[29:30], v[106:107], v[102:103], v[18:19]
	v_fma_f64 v[21:22], v[108:109], v[102:103], v[20:21]
	;; [unrolled: 1-line block ×4, first 2 shown]
	v_fma_f64 v[17:18], -v[100:101], v[104:105], v[16:17]
	v_fma_f64 v[11:12], v[98:99], v[104:105], v[10:11]
	v_fma_f64 v[19:20], -v[108:109], v[104:105], v[29:30]
	v_fma_f64 v[21:22], v[106:107], v[104:105], v[21:22]
	;; [unrolled: 2-line block ×3, first 2 shown]
	s_and_not1_b32 exec_lo, exec_lo, s4
	s_cbranch_execnz .LBB127_11
; %bb.12:
	s_or_b32 exec_lo, exec_lo, s4
.LBB127_13:
	s_delay_alu instid0(SALU_CYCLE_1)
	s_or_b32 exec_lo, exec_lo, s1
	s_cbranch_execz .LBB127_15
	s_branch .LBB127_20
.LBB127_14:
                                        ; implicit-def: $vgpr11_vgpr12
                                        ; implicit-def: $vgpr17_vgpr18
                                        ; implicit-def: $vgpr13_vgpr14
                                        ; implicit-def: $vgpr15_vgpr16
                                        ; implicit-def: $vgpr19_vgpr20
                                        ; implicit-def: $vgpr21_vgpr22
.LBB127_15:
	v_mov_b32_e32 v11, 0
	v_mov_b32_e32 v12, 0
	s_delay_alu instid0(VALU_DEP_1)
	v_dual_mov_b32 v18, v12 :: v_dual_mov_b32 v17, v11
	v_dual_mov_b32 v14, v12 :: v_dual_mov_b32 v13, v11
	;; [unrolled: 1-line block ×5, first 2 shown]
	s_and_saveexec_b32 s1, s0
	s_cbranch_execz .LBB127_19
; %bb.16:
	v_dual_mov_b32 v11, 0 :: v_dual_mov_b32 v26, 0
	v_mov_b32_e32 v12, 0
	v_mad_u64_u32 v[23:24], null, v9, 15, 14
	s_mov_b32 s0, 0
	s_delay_alu instid0(VALU_DEP_2)
	v_dual_mov_b32 v18, v12 :: v_dual_mov_b32 v17, v11
	v_dual_mov_b32 v14, v12 :: v_dual_mov_b32 v13, v11
	;; [unrolled: 1-line block ×5, first 2 shown]
.LBB127_17:                             ; =>This Inner Loop Header: Depth=1
	v_ashrrev_i32_e32 v10, 31, v9
	v_dual_mov_b32 v32, v26 :: v_dual_add_nc_u32 v29, -9, v23
	v_add_nc_u32_e32 v31, -4, v23
	v_mov_b32_e32 v91, v26
	s_delay_alu instid0(VALU_DEP_4) | instskip(SKIP_1) | instid1(VALU_DEP_4)
	v_lshlrev_b64 v[24:25], 2, v[9:10]
	v_dual_mov_b32 v30, v26 :: v_dual_add_nc_u32 v9, 8, v9
	v_lshlrev_b64 v[31:32], 4, v[31:32]
	s_delay_alu instid0(VALU_DEP_3) | instskip(NEXT) | instid1(VALU_DEP_4)
	v_add_co_u32 v24, vcc_lo, s6, v24
	v_add_co_ci_u32_e32 v25, vcc_lo, s7, v25, vcc_lo
	s_delay_alu instid0(VALU_DEP_4) | instskip(SKIP_2) | instid1(VALU_DEP_1)
	v_lshlrev_b64 v[29:30], 4, v[29:30]
	global_load_b32 v10, v[24:25], off
	v_add_nc_u32_e32 v25, -14, v23
	v_lshlrev_b64 v[24:25], 4, v[25:26]
	s_delay_alu instid0(VALU_DEP_1) | instskip(NEXT) | instid1(VALU_DEP_2)
	v_add_co_u32 v24, vcc_lo, s8, v24
	v_add_co_ci_u32_e32 v25, vcc_lo, s9, v25, vcc_lo
	v_add_co_u32 v34, vcc_lo, s8, v29
	v_add_co_ci_u32_e32 v35, vcc_lo, s9, v30, vcc_lo
	;; [unrolled: 2-line block ×3, first 2 shown]
	s_clause 0x2
	global_load_b128 v[29:32], v[24:25], off
	global_load_b128 v[34:37], v[34:35], off
	;; [unrolled: 1-line block ×3, first 2 shown]
	s_waitcnt vmcnt(3)
	v_subrev_nc_u32_e32 v10, s12, v10
	s_delay_alu instid0(VALU_DEP_1) | instskip(NEXT) | instid1(VALU_DEP_1)
	v_lshl_add_u32 v90, v10, 2, v10
	v_lshlrev_b64 v[24:25], 4, v[90:91]
	s_delay_alu instid0(VALU_DEP_1) | instskip(NEXT) | instid1(VALU_DEP_2)
	v_add_co_u32 v24, vcc_lo, s10, v24
	v_add_co_ci_u32_e32 v25, vcc_lo, s11, v25, vcc_lo
	global_load_b128 v[42:45], v[24:25], off
	v_add_nc_u32_e32 v25, -13, v23
	s_delay_alu instid0(VALU_DEP_1) | instskip(NEXT) | instid1(VALU_DEP_1)
	v_lshlrev_b64 v[24:25], 4, v[25:26]
	v_add_co_u32 v24, vcc_lo, s8, v24
	s_delay_alu instid0(VALU_DEP_2) | instskip(SKIP_2) | instid1(VALU_DEP_1)
	v_add_co_ci_u32_e32 v25, vcc_lo, s9, v25, vcc_lo
	global_load_b128 v[46:49], v[24:25], off
	v_add_nc_u32_e32 v25, 1, v90
	v_lshlrev_b64 v[50:51], 4, v[25:26]
	v_add_nc_u32_e32 v25, -8, v23
	s_delay_alu instid0(VALU_DEP_1) | instskip(SKIP_1) | instid1(VALU_DEP_4)
	v_lshlrev_b64 v[52:53], 4, v[25:26]
	v_add_nc_u32_e32 v25, -3, v23
	v_add_co_u32 v50, vcc_lo, s10, v50
	v_add_co_ci_u32_e32 v51, vcc_lo, s11, v51, vcc_lo
	s_delay_alu instid0(VALU_DEP_3) | instskip(SKIP_2) | instid1(VALU_DEP_3)
	v_lshlrev_b64 v[24:25], 4, v[25:26]
	v_add_co_u32 v54, vcc_lo, s8, v52
	v_add_co_ci_u32_e32 v55, vcc_lo, s9, v53, vcc_lo
	v_add_co_u32 v24, vcc_lo, s8, v24
	s_delay_alu instid0(VALU_DEP_4)
	v_add_co_ci_u32_e32 v25, vcc_lo, s9, v25, vcc_lo
	global_load_b128 v[50:53], v[50:51], off
	s_clause 0x1
	global_load_b128 v[54:57], v[54:55], off
	global_load_b128 v[58:61], v[24:25], off
	v_dual_mov_b32 v24, v26 :: v_dual_add_nc_u32 v25, -12, v23
	s_delay_alu instid0(VALU_DEP_1) | instskip(SKIP_1) | instid1(VALU_DEP_1)
	v_lshlrev_b64 v[62:63], 4, v[25:26]
	v_add_nc_u32_e32 v25, 2, v90
	v_lshlrev_b64 v[64:65], 4, v[25:26]
	v_add_nc_u32_e32 v25, -7, v23
	s_delay_alu instid0(VALU_DEP_4) | instskip(SKIP_1) | instid1(VALU_DEP_3)
	v_add_co_u32 v62, vcc_lo, s8, v62
	v_add_co_ci_u32_e32 v63, vcc_lo, s9, v63, vcc_lo
	v_lshlrev_b64 v[70:71], 4, v[25:26]
	v_add_nc_u32_e32 v25, -2, v23
	v_add_co_u32 v66, vcc_lo, s10, v64
	v_add_co_ci_u32_e32 v67, vcc_lo, s11, v65, vcc_lo
	s_delay_alu instid0(VALU_DEP_3)
	v_lshlrev_b64 v[72:73], 4, v[25:26]
	v_add_co_u32 v70, vcc_lo, s8, v70
	v_add_co_ci_u32_e32 v71, vcc_lo, s9, v71, vcc_lo
	global_load_b128 v[62:65], v[62:63], off
	v_add_co_u32 v74, vcc_lo, s8, v72
	v_add_co_ci_u32_e32 v75, vcc_lo, s9, v73, vcc_lo
	global_load_b128 v[66:69], v[66:67], off
	s_clause 0x1
	global_load_b128 v[70:73], v[70:71], off
	global_load_b128 v[74:77], v[74:75], off
	v_lshlrev_b64 v[24:25], 4, v[23:24]
	s_delay_alu instid0(VALU_DEP_1) | instskip(NEXT) | instid1(VALU_DEP_2)
	v_add_co_u32 v24, vcc_lo, s8, v24
	v_add_co_ci_u32_e32 v25, vcc_lo, s9, v25, vcc_lo
	global_load_b128 v[78:81], v[24:25], off
	v_add_nc_u32_e32 v25, -11, v23
	s_delay_alu instid0(VALU_DEP_1) | instskip(SKIP_1) | instid1(VALU_DEP_1)
	v_lshlrev_b64 v[82:83], 4, v[25:26]
	v_add_nc_u32_e32 v25, 3, v90
	v_lshlrev_b64 v[84:85], 4, v[25:26]
	v_add_nc_u32_e32 v25, -6, v23
	s_delay_alu instid0(VALU_DEP_4) | instskip(SKIP_1) | instid1(VALU_DEP_3)
	v_add_co_u32 v82, vcc_lo, s8, v82
	v_add_co_ci_u32_e32 v83, vcc_lo, s9, v83, vcc_lo
	v_lshlrev_b64 v[86:87], 4, v[25:26]
	v_add_nc_u32_e32 v25, -1, v23
	v_add_co_u32 v88, vcc_lo, s10, v84
	v_add_co_ci_u32_e32 v89, vcc_lo, s11, v85, vcc_lo
	s_delay_alu instid0(VALU_DEP_3) | instskip(SKIP_3) | instid1(VALU_DEP_3)
	v_lshlrev_b64 v[91:92], 4, v[25:26]
	v_add_nc_u32_e32 v25, -10, v23
	v_add_co_u32 v93, vcc_lo, s8, v86
	v_add_co_ci_u32_e32 v94, vcc_lo, s9, v87, vcc_lo
	v_lshlrev_b64 v[95:96], 4, v[25:26]
	v_add_co_u32 v97, vcc_lo, s8, v91
	v_add_co_ci_u32_e32 v98, vcc_lo, s9, v92, vcc_lo
	global_load_b128 v[82:85], v[82:83], off
	v_add_co_u32 v101, vcc_lo, s8, v95
	v_add_co_ci_u32_e32 v102, vcc_lo, s9, v96, vcc_lo
	global_load_b128 v[86:89], v[88:89], off
	v_add_nc_u32_e32 v25, 4, v90
	global_load_b128 v[90:93], v[93:94], off
	v_lshlrev_b64 v[99:100], 4, v[25:26]
	v_add_nc_u32_e32 v25, -5, v23
	v_add_nc_u32_e32 v23, 0x78, v23
	s_delay_alu instid0(VALU_DEP_2)
	v_lshlrev_b64 v[24:25], 4, v[25:26]
	s_waitcnt vmcnt(12)
	v_fma_f64 v[17:18], v[29:30], v[42:43], v[17:18]
	v_fma_f64 v[10:11], v[31:32], v[42:43], v[11:12]
	;; [unrolled: 1-line block ×6, first 2 shown]
	v_fma_f64 v[17:18], -v[31:32], v[44:45], v[17:18]
	v_fma_f64 v[10:11], v[29:30], v[44:45], v[10:11]
	s_clause 0x1
	global_load_b128 v[29:32], v[101:102], off
	global_load_b128 v[94:97], v[97:98], off
	v_add_co_u32 v98, vcc_lo, s10, v99
	v_add_co_ci_u32_e32 v99, vcc_lo, s11, v100, vcc_lo
	v_add_co_u32 v24, vcc_lo, s8, v24
	v_add_co_ci_u32_e32 v25, vcc_lo, s9, v25, vcc_lo
	v_fma_f64 v[19:20], -v[36:37], v[44:45], v[19:20]
	v_fma_f64 v[21:22], v[34:35], v[44:45], v[21:22]
	global_load_b128 v[34:37], v[98:99], off
	global_load_b128 v[98:101], v[24:25], off
	v_fma_f64 v[12:13], -v[40:41], v[44:45], v[12:13]
	v_fma_f64 v[14:15], v[38:39], v[44:45], v[14:15]
	v_cmp_ge_i32_e32 vcc_lo, v9, v28
	s_or_b32 s0, vcc_lo, s0
	s_waitcnt vmcnt(14)
	v_fma_f64 v[16:17], v[46:47], v[50:51], v[17:18]
	v_fma_f64 v[10:11], v[48:49], v[50:51], v[10:11]
	s_waitcnt vmcnt(13)
	v_fma_f64 v[18:19], v[54:55], v[50:51], v[19:20]
	v_fma_f64 v[20:21], v[56:57], v[50:51], v[21:22]
	s_waitcnt vmcnt(12)
	v_fma_f64 v[12:13], v[58:59], v[50:51], v[12:13]
	v_fma_f64 v[14:15], v[60:61], v[50:51], v[14:15]
	v_fma_f64 v[16:17], -v[48:49], v[52:53], v[16:17]
	v_fma_f64 v[10:11], v[46:47], v[52:53], v[10:11]
	v_fma_f64 v[18:19], -v[56:57], v[52:53], v[18:19]
	v_fma_f64 v[20:21], v[54:55], v[52:53], v[20:21]
	;; [unrolled: 2-line block ×3, first 2 shown]
	s_waitcnt vmcnt(10)
	v_fma_f64 v[16:17], v[62:63], v[66:67], v[16:17]
	v_fma_f64 v[10:11], v[64:65], v[66:67], v[10:11]
	s_waitcnt vmcnt(9)
	v_fma_f64 v[18:19], v[70:71], v[66:67], v[18:19]
	v_fma_f64 v[20:21], v[72:73], v[66:67], v[20:21]
	;; [unrolled: 3-line block ×3, first 2 shown]
	v_fma_f64 v[16:17], -v[64:65], v[68:69], v[16:17]
	v_fma_f64 v[10:11], v[62:63], v[68:69], v[10:11]
	v_fma_f64 v[18:19], -v[72:73], v[68:69], v[18:19]
	v_fma_f64 v[20:21], v[70:71], v[68:69], v[20:21]
	;; [unrolled: 2-line block ×3, first 2 shown]
	s_waitcnt vmcnt(5)
	v_fma_f64 v[16:17], v[82:83], v[86:87], v[16:17]
	v_fma_f64 v[10:11], v[84:85], v[86:87], v[10:11]
	s_waitcnt vmcnt(4)
	v_fma_f64 v[18:19], v[90:91], v[86:87], v[18:19]
	v_fma_f64 v[20:21], v[92:93], v[86:87], v[20:21]
	s_delay_alu instid0(VALU_DEP_4) | instskip(NEXT) | instid1(VALU_DEP_4)
	v_fma_f64 v[16:17], -v[84:85], v[88:89], v[16:17]
	v_fma_f64 v[10:11], v[82:83], v[88:89], v[10:11]
	s_delay_alu instid0(VALU_DEP_4) | instskip(NEXT) | instid1(VALU_DEP_4)
	v_fma_f64 v[18:19], -v[92:93], v[88:89], v[18:19]
	v_fma_f64 v[20:21], v[90:91], v[88:89], v[20:21]
	s_waitcnt vmcnt(2)
	v_fma_f64 v[12:13], v[94:95], v[86:87], v[12:13]
	v_fma_f64 v[14:15], v[96:97], v[86:87], v[14:15]
	s_waitcnt vmcnt(1)
	v_fma_f64 v[16:17], v[29:30], v[34:35], v[16:17]
	;; [unrolled: 3-line block ×3, first 2 shown]
	v_fma_f64 v[21:22], v[100:101], v[34:35], v[20:21]
	v_fma_f64 v[12:13], -v[96:97], v[88:89], v[12:13]
	v_fma_f64 v[14:15], v[94:95], v[88:89], v[14:15]
	v_fma_f64 v[17:18], -v[31:32], v[36:37], v[16:17]
	v_fma_f64 v[19:20], -v[100:101], v[36:37], v[24:25]
	v_fma_f64 v[21:22], v[98:99], v[36:37], v[21:22]
	v_fma_f64 v[38:39], v[78:79], v[34:35], v[12:13]
	;; [unrolled: 1-line block ×4, first 2 shown]
	s_delay_alu instid0(VALU_DEP_3) | instskip(NEXT) | instid1(VALU_DEP_3)
	v_fma_f64 v[13:14], -v[80:81], v[36:37], v[38:39]
	v_fma_f64 v[15:16], v[78:79], v[36:37], v[34:35]
	s_and_not1_b32 exec_lo, exec_lo, s0
	s_cbranch_execnz .LBB127_17
; %bb.18:
	s_or_b32 exec_lo, exec_lo, s0
.LBB127_19:
	s_delay_alu instid0(SALU_CYCLE_1)
	s_or_b32 exec_lo, exec_lo, s1
.LBB127_20:
	v_mbcnt_lo_u32_b32 v34, -1, 0
	s_delay_alu instid0(VALU_DEP_1) | instskip(NEXT) | instid1(VALU_DEP_1)
	v_xor_b32_e32 v9, 4, v34
	v_cmp_gt_i32_e32 vcc_lo, 32, v9
	v_cndmask_b32_e32 v9, v34, v9, vcc_lo
	s_delay_alu instid0(VALU_DEP_1)
	v_lshlrev_b32_e32 v32, 2, v9
	ds_bpermute_b32 v9, v32, v17
	ds_bpermute_b32 v10, v32, v18
	;; [unrolled: 1-line block ×4, first 2 shown]
	s_waitcnt lgkmcnt(2)
	v_add_f64 v[9:10], v[17:18], v[9:10]
	s_waitcnt lgkmcnt(0)
	v_add_f64 v[17:18], v[19:20], v[25:26]
	v_xor_b32_e32 v19, 2, v34
	s_delay_alu instid0(VALU_DEP_1)
	v_cmp_gt_i32_e32 vcc_lo, 32, v19
	v_cndmask_b32_e32 v19, v34, v19, vcc_lo
	ds_bpermute_b32 v23, v32, v11
	ds_bpermute_b32 v24, v32, v12
	;; [unrolled: 1-line block ×8, first 2 shown]
	s_waitcnt lgkmcnt(6)
	v_add_f64 v[11:12], v[11:12], v[23:24]
	s_waitcnt lgkmcnt(4)
	v_add_f64 v[21:22], v[21:22], v[27:28]
	;; [unrolled: 2-line block ×4, first 2 shown]
	v_lshlrev_b32_e32 v32, 2, v19
	ds_bpermute_b32 v19, v32, v9
	ds_bpermute_b32 v20, v32, v10
	ds_bpermute_b32 v25, v32, v17
	ds_bpermute_b32 v26, v32, v18
	s_waitcnt lgkmcnt(2)
	v_add_f64 v[9:10], v[9:10], v[19:20]
	ds_bpermute_b32 v23, v32, v11
	ds_bpermute_b32 v24, v32, v12
	;; [unrolled: 1-line block ×8, first 2 shown]
	s_waitcnt lgkmcnt(6)
	v_add_f64 v[19:20], v[11:12], v[23:24]
	v_add_f64 v[11:12], v[17:18], v[25:26]
	s_waitcnt lgkmcnt(4)
	v_add_f64 v[17:18], v[21:22], v[27:28]
	v_xor_b32_e32 v21, 1, v34
	s_waitcnt lgkmcnt(2)
	v_add_f64 v[13:14], v[13:14], v[29:30]
	s_waitcnt lgkmcnt(0)
	v_add_f64 v[15:16], v[15:16], v[31:32]
	v_cmp_gt_i32_e32 vcc_lo, 32, v21
	v_cndmask_b32_e32 v21, v34, v21, vcc_lo
	v_cmp_eq_u32_e32 vcc_lo, 7, v33
	s_delay_alu instid0(VALU_DEP_2)
	v_lshlrev_b32_e32 v24, 2, v21
	ds_bpermute_b32 v31, v24, v9
	ds_bpermute_b32 v32, v24, v10
	;; [unrolled: 1-line block ×12, first 2 shown]
	s_and_b32 exec_lo, exec_lo, vcc_lo
	s_cbranch_execz .LBB127_25
; %bb.21:
	v_cmp_eq_f64_e32 vcc_lo, 0, v[4:5]
	v_cmp_eq_f64_e64 s0, 0, v[6:7]
	s_waitcnt lgkmcnt(10)
	v_add_f64 v[9:10], v[9:10], v[31:32]
	s_waitcnt lgkmcnt(8)
	v_add_f64 v[19:20], v[19:20], v[29:30]
	;; [unrolled: 2-line block ×6, first 2 shown]
	s_load_b64 s[2:3], s[2:3], 0x48
	s_and_b32 s0, vcc_lo, s0
	s_delay_alu instid0(SALU_CYCLE_1) | instskip(NEXT) | instid1(SALU_CYCLE_1)
	s_and_saveexec_b32 s1, s0
	s_xor_b32 s0, exec_lo, s1
	s_cbranch_execz .LBB127_23
; %bb.22:
	v_mul_f64 v[4:5], v[19:20], -v[2:3]
	v_mul_f64 v[6:7], v[0:1], v[19:20]
	v_mul_f64 v[19:20], v[17:18], -v[2:3]
	v_mul_f64 v[17:18], v[0:1], v[17:18]
	;; [unrolled: 2-line block ×3, first 2 shown]
	v_fma_f64 v[4:5], v[0:1], v[9:10], v[4:5]
	v_fma_f64 v[6:7], v[2:3], v[9:10], v[6:7]
	;; [unrolled: 1-line block ×6, first 2 shown]
	v_lshl_add_u32 v13, v8, 1, v8
                                        ; implicit-def: $vgpr8
                                        ; implicit-def: $vgpr19_vgpr20
                                        ; implicit-def: $vgpr17_vgpr18
                                        ; implicit-def: $vgpr15_vgpr16
	s_delay_alu instid0(VALU_DEP_1) | instskip(NEXT) | instid1(VALU_DEP_1)
	v_ashrrev_i32_e32 v14, 31, v13
	v_lshlrev_b64 v[13:14], 4, v[13:14]
	s_waitcnt lgkmcnt(0)
	s_delay_alu instid0(VALU_DEP_1) | instskip(NEXT) | instid1(VALU_DEP_2)
	v_add_co_u32 v13, vcc_lo, s2, v13
	v_add_co_ci_u32_e32 v14, vcc_lo, s3, v14, vcc_lo
	s_clause 0x2
	global_store_b128 v[13:14], v[4:7], off
	global_store_b128 v[13:14], v[9:12], off offset:16
	global_store_b128 v[13:14], v[0:3], off offset:32
                                        ; implicit-def: $vgpr0_vgpr1
                                        ; implicit-def: $vgpr2_vgpr3
                                        ; implicit-def: $vgpr4_vgpr5
                                        ; implicit-def: $vgpr6_vgpr7
                                        ; implicit-def: $vgpr9_vgpr10
                                        ; implicit-def: $vgpr11_vgpr12
                                        ; implicit-def: $vgpr13_vgpr14
.LBB127_23:
	s_and_not1_saveexec_b32 s0, s0
	s_cbranch_execz .LBB127_25
; %bb.24:
	v_lshl_add_u32 v21, v8, 1, v8
	v_mul_f64 v[35:36], v[19:20], -v[2:3]
	v_mul_f64 v[19:20], v[0:1], v[19:20]
	v_mul_f64 v[37:38], v[17:18], -v[2:3]
	v_mul_f64 v[17:18], v[0:1], v[17:18]
	v_ashrrev_i32_e32 v22, 31, v21
	v_mul_f64 v[39:40], v[15:16], -v[2:3]
	v_mul_f64 v[15:16], v[0:1], v[15:16]
	s_delay_alu instid0(VALU_DEP_3) | instskip(SKIP_1) | instid1(VALU_DEP_1)
	v_lshlrev_b64 v[21:22], 4, v[21:22]
	s_waitcnt lgkmcnt(0)
	v_add_co_u32 v33, vcc_lo, s2, v21
	s_delay_alu instid0(VALU_DEP_2)
	v_add_co_ci_u32_e32 v34, vcc_lo, s3, v22, vcc_lo
	s_clause 0x2
	global_load_b128 v[21:24], v[33:34], off
	global_load_b128 v[25:28], v[33:34], off offset:16
	global_load_b128 v[29:32], v[33:34], off offset:32
	v_fma_f64 v[35:36], v[0:1], v[9:10], v[35:36]
	v_fma_f64 v[8:9], v[2:3], v[9:10], v[19:20]
	;; [unrolled: 1-line block ×6, first 2 shown]
	s_waitcnt vmcnt(2)
	v_fma_f64 v[12:13], v[4:5], v[21:22], v[35:36]
	v_fma_f64 v[8:9], v[6:7], v[21:22], v[8:9]
	s_waitcnt vmcnt(1)
	v_fma_f64 v[14:15], v[4:5], v[25:26], v[19:20]
	v_fma_f64 v[10:11], v[6:7], v[25:26], v[10:11]
	;; [unrolled: 3-line block ×3, first 2 shown]
	v_fma_f64 v[0:1], -v[6:7], v[23:24], v[12:13]
	v_fma_f64 v[2:3], v[4:5], v[23:24], v[8:9]
	v_fma_f64 v[8:9], -v[6:7], v[27:28], v[14:15]
	v_fma_f64 v[10:11], v[4:5], v[27:28], v[10:11]
	;; [unrolled: 2-line block ×3, first 2 shown]
	s_clause 0x2
	global_store_b128 v[33:34], v[0:3], off
	global_store_b128 v[33:34], v[8:11], off offset:16
	global_store_b128 v[33:34], v[12:15], off offset:32
.LBB127_25:
	s_nop 0
	s_sendmsg sendmsg(MSG_DEALLOC_VGPRS)
	s_endpgm
	.section	.rodata,"a",@progbits
	.p2align	6, 0x0
	.amdhsa_kernel _ZN9rocsparseL19gebsrmvn_3xn_kernelILj128ELj5ELj8E21rocsparse_complex_numIdEEEvi20rocsparse_direction_NS_24const_host_device_scalarIT2_EEPKiS8_PKS5_SA_S6_PS5_21rocsparse_index_base_b
		.amdhsa_group_segment_fixed_size 2048
		.amdhsa_private_segment_fixed_size 0
		.amdhsa_kernarg_size 88
		.amdhsa_user_sgpr_count 15
		.amdhsa_user_sgpr_dispatch_ptr 1
		.amdhsa_user_sgpr_queue_ptr 0
		.amdhsa_user_sgpr_kernarg_segment_ptr 1
		.amdhsa_user_sgpr_dispatch_id 0
		.amdhsa_user_sgpr_private_segment_size 0
		.amdhsa_wavefront_size32 1
		.amdhsa_uses_dynamic_stack 0
		.amdhsa_enable_private_segment 0
		.amdhsa_system_sgpr_workgroup_id_x 1
		.amdhsa_system_sgpr_workgroup_id_y 0
		.amdhsa_system_sgpr_workgroup_id_z 0
		.amdhsa_system_sgpr_workgroup_info 0
		.amdhsa_system_vgpr_workitem_id 2
		.amdhsa_next_free_vgpr 110
		.amdhsa_next_free_sgpr 18
		.amdhsa_reserve_vcc 1
		.amdhsa_float_round_mode_32 0
		.amdhsa_float_round_mode_16_64 0
		.amdhsa_float_denorm_mode_32 3
		.amdhsa_float_denorm_mode_16_64 3
		.amdhsa_dx10_clamp 1
		.amdhsa_ieee_mode 1
		.amdhsa_fp16_overflow 0
		.amdhsa_workgroup_processor_mode 1
		.amdhsa_memory_ordered 1
		.amdhsa_forward_progress 0
		.amdhsa_shared_vgpr_count 0
		.amdhsa_exception_fp_ieee_invalid_op 0
		.amdhsa_exception_fp_denorm_src 0
		.amdhsa_exception_fp_ieee_div_zero 0
		.amdhsa_exception_fp_ieee_overflow 0
		.amdhsa_exception_fp_ieee_underflow 0
		.amdhsa_exception_fp_ieee_inexact 0
		.amdhsa_exception_int_div_zero 0
	.end_amdhsa_kernel
	.section	.text._ZN9rocsparseL19gebsrmvn_3xn_kernelILj128ELj5ELj8E21rocsparse_complex_numIdEEEvi20rocsparse_direction_NS_24const_host_device_scalarIT2_EEPKiS8_PKS5_SA_S6_PS5_21rocsparse_index_base_b,"axG",@progbits,_ZN9rocsparseL19gebsrmvn_3xn_kernelILj128ELj5ELj8E21rocsparse_complex_numIdEEEvi20rocsparse_direction_NS_24const_host_device_scalarIT2_EEPKiS8_PKS5_SA_S6_PS5_21rocsparse_index_base_b,comdat
.Lfunc_end127:
	.size	_ZN9rocsparseL19gebsrmvn_3xn_kernelILj128ELj5ELj8E21rocsparse_complex_numIdEEEvi20rocsparse_direction_NS_24const_host_device_scalarIT2_EEPKiS8_PKS5_SA_S6_PS5_21rocsparse_index_base_b, .Lfunc_end127-_ZN9rocsparseL19gebsrmvn_3xn_kernelILj128ELj5ELj8E21rocsparse_complex_numIdEEEvi20rocsparse_direction_NS_24const_host_device_scalarIT2_EEPKiS8_PKS5_SA_S6_PS5_21rocsparse_index_base_b
                                        ; -- End function
	.section	.AMDGPU.csdata,"",@progbits
; Kernel info:
; codeLenInByte = 4560
; NumSgprs: 20
; NumVgprs: 110
; ScratchSize: 0
; MemoryBound: 0
; FloatMode: 240
; IeeeMode: 1
; LDSByteSize: 2048 bytes/workgroup (compile time only)
; SGPRBlocks: 2
; VGPRBlocks: 13
; NumSGPRsForWavesPerEU: 20
; NumVGPRsForWavesPerEU: 110
; Occupancy: 12
; WaveLimiterHint : 1
; COMPUTE_PGM_RSRC2:SCRATCH_EN: 0
; COMPUTE_PGM_RSRC2:USER_SGPR: 15
; COMPUTE_PGM_RSRC2:TRAP_HANDLER: 0
; COMPUTE_PGM_RSRC2:TGID_X_EN: 1
; COMPUTE_PGM_RSRC2:TGID_Y_EN: 0
; COMPUTE_PGM_RSRC2:TGID_Z_EN: 0
; COMPUTE_PGM_RSRC2:TIDIG_COMP_CNT: 2
	.section	.text._ZN9rocsparseL19gebsrmvn_3xn_kernelILj128ELj5ELj16E21rocsparse_complex_numIdEEEvi20rocsparse_direction_NS_24const_host_device_scalarIT2_EEPKiS8_PKS5_SA_S6_PS5_21rocsparse_index_base_b,"axG",@progbits,_ZN9rocsparseL19gebsrmvn_3xn_kernelILj128ELj5ELj16E21rocsparse_complex_numIdEEEvi20rocsparse_direction_NS_24const_host_device_scalarIT2_EEPKiS8_PKS5_SA_S6_PS5_21rocsparse_index_base_b,comdat
	.globl	_ZN9rocsparseL19gebsrmvn_3xn_kernelILj128ELj5ELj16E21rocsparse_complex_numIdEEEvi20rocsparse_direction_NS_24const_host_device_scalarIT2_EEPKiS8_PKS5_SA_S6_PS5_21rocsparse_index_base_b ; -- Begin function _ZN9rocsparseL19gebsrmvn_3xn_kernelILj128ELj5ELj16E21rocsparse_complex_numIdEEEvi20rocsparse_direction_NS_24const_host_device_scalarIT2_EEPKiS8_PKS5_SA_S6_PS5_21rocsparse_index_base_b
	.p2align	8
	.type	_ZN9rocsparseL19gebsrmvn_3xn_kernelILj128ELj5ELj16E21rocsparse_complex_numIdEEEvi20rocsparse_direction_NS_24const_host_device_scalarIT2_EEPKiS8_PKS5_SA_S6_PS5_21rocsparse_index_base_b,@function
_ZN9rocsparseL19gebsrmvn_3xn_kernelILj128ELj5ELj16E21rocsparse_complex_numIdEEEvi20rocsparse_direction_NS_24const_host_device_scalarIT2_EEPKiS8_PKS5_SA_S6_PS5_21rocsparse_index_base_b: ; @_ZN9rocsparseL19gebsrmvn_3xn_kernelILj128ELj5ELj16E21rocsparse_complex_numIdEEEvi20rocsparse_direction_NS_24const_host_device_scalarIT2_EEPKiS8_PKS5_SA_S6_PS5_21rocsparse_index_base_b
; %bb.0:
	s_load_b64 s[12:13], s[2:3], 0x50
	s_load_b64 s[16:17], s[0:1], 0x4
	s_load_b128 s[8:11], s[2:3], 0x8
	v_bfe_u32 v1, v0, 10, 10
	s_mov_b64 s[0:1], src_shared_base
	s_load_b128 s[4:7], s[2:3], 0x38
	v_and_b32_e32 v10, 0x3ff, v0
	v_bfe_u32 v0, v0, 20, 10
	s_waitcnt lgkmcnt(0)
	s_bitcmp1_b32 s13, 0
	v_mul_u32_u24_e32 v1, s17, v1
	s_cselect_b32 s0, -1, 0
	s_delay_alu instid0(SALU_CYCLE_1)
	s_and_b32 vcc_lo, s0, exec_lo
	s_cselect_b32 s13, s1, s9
	s_lshr_b32 s14, s16, 16
	v_dual_mov_b32 v2, s4 :: v_dual_mov_b32 v3, s5
	s_mul_i32 s14, s14, s17
	v_mov_b32_e32 v6, s13
	v_mad_u32_u24 v1, s14, v10, v1
	s_delay_alu instid0(VALU_DEP_1) | instskip(SKIP_1) | instid1(VALU_DEP_2)
	v_add_lshl_u32 v4, v1, v0, 3
	v_dual_mov_b32 v0, s8 :: v_dual_mov_b32 v1, s9
	v_add_nc_u32_e32 v5, 0x400, v4
	ds_store_2addr_stride64_b64 v4, v[2:3], v[0:1] offset1:2
	v_dual_mov_b32 v2, s10 :: v_dual_mov_b32 v3, s11
	v_cndmask_b32_e64 v5, s8, v5, s0
	s_xor_b32 s10, s0, -1
	flat_load_b64 v[0:1], v[5:6]
	s_cbranch_vccnz .LBB128_2
; %bb.1:
	v_dual_mov_b32 v2, s8 :: v_dual_mov_b32 v3, s9
	flat_load_b64 v[2:3], v[2:3] offset:8
.LBB128_2:
	s_and_b32 s8, s0, exec_lo
	s_cselect_b32 s1, s1, s5
	v_cndmask_b32_e64 v4, s4, v4, s0
	v_dual_mov_b32 v5, s1 :: v_dual_mov_b32 v6, s6
	v_mov_b32_e32 v7, s7
	s_and_not1_b32 vcc_lo, exec_lo, s10
	flat_load_b64 v[4:5], v[4:5]
	s_cbranch_vccnz .LBB128_4
; %bb.3:
	v_dual_mov_b32 v7, s5 :: v_dual_mov_b32 v6, s4
	flat_load_b64 v[6:7], v[6:7] offset:8
.LBB128_4:
	s_waitcnt vmcnt(1) lgkmcnt(1)
	v_cmp_eq_f64_e32 vcc_lo, 0, v[0:1]
	v_cmp_eq_f64_e64 s0, 0, v[2:3]
	s_delay_alu instid0(VALU_DEP_1)
	s_and_b32 s4, vcc_lo, s0
	s_mov_b32 s0, -1
	s_and_saveexec_b32 s1, s4
	s_cbranch_execz .LBB128_6
; %bb.5:
	s_waitcnt vmcnt(0) lgkmcnt(0)
	v_cmp_neq_f64_e32 vcc_lo, 1.0, v[4:5]
	v_cmp_neq_f64_e64 s0, 0, v[6:7]
	s_delay_alu instid0(VALU_DEP_1) | instskip(NEXT) | instid1(SALU_CYCLE_1)
	s_or_b32 s0, vcc_lo, s0
	s_or_not1_b32 s0, s0, exec_lo
.LBB128_6:
	s_or_b32 exec_lo, exec_lo, s1
	s_and_saveexec_b32 s1, s0
	s_cbranch_execz .LBB128_25
; %bb.7:
	s_load_b64 s[0:1], s[2:3], 0x0
	v_lshrrev_b32_e32 v8, 4, v10
	s_delay_alu instid0(VALU_DEP_1) | instskip(SKIP_1) | instid1(VALU_DEP_1)
	v_lshl_or_b32 v8, s15, 3, v8
	s_waitcnt lgkmcnt(0)
	v_cmp_gt_i32_e32 vcc_lo, s0, v8
	s_and_b32 exec_lo, exec_lo, vcc_lo
	s_cbranch_execz .LBB128_25
; %bb.8:
	s_load_b256 s[4:11], s[2:3], 0x18
	v_ashrrev_i32_e32 v9, 31, v8
	v_and_b32_e32 v33, 15, v10
	s_cmp_lg_u32 s1, 0
	s_delay_alu instid0(VALU_DEP_2) | instskip(SKIP_1) | instid1(VALU_DEP_1)
	v_lshlrev_b64 v[11:12], 2, v[8:9]
	s_waitcnt lgkmcnt(0)
	v_add_co_u32 v11, vcc_lo, s4, v11
	s_delay_alu instid0(VALU_DEP_2) | instskip(SKIP_4) | instid1(VALU_DEP_2)
	v_add_co_ci_u32_e32 v12, vcc_lo, s5, v12, vcc_lo
	global_load_b64 v[11:12], v[11:12], off
	s_waitcnt vmcnt(0)
	v_subrev_nc_u32_e32 v9, s12, v11
	v_subrev_nc_u32_e32 v28, s12, v12
	v_add_nc_u32_e32 v9, v9, v33
	s_delay_alu instid0(VALU_DEP_1)
	v_cmp_lt_i32_e64 s0, v9, v28
	s_cbranch_scc0 .LBB128_14
; %bb.9:
	v_mov_b32_e32 v11, 0
	v_mov_b32_e32 v12, 0
	s_delay_alu instid0(VALU_DEP_1)
	v_dual_mov_b32 v18, v12 :: v_dual_mov_b32 v17, v11
	v_dual_mov_b32 v14, v12 :: v_dual_mov_b32 v13, v11
	;; [unrolled: 1-line block ×5, first 2 shown]
	s_and_saveexec_b32 s1, s0
	s_cbranch_execz .LBB128_13
; %bb.10:
	v_dual_mov_b32 v11, 0 :: v_dual_mov_b32 v26, v9
	v_dual_mov_b32 v12, 0 :: v_dual_mov_b32 v25, 0
	v_mad_u64_u32 v[23:24], null, v9, 15, 14
	s_mov_b32 s4, 0
	s_delay_alu instid0(VALU_DEP_2)
	v_dual_mov_b32 v18, v12 :: v_dual_mov_b32 v17, v11
	v_dual_mov_b32 v14, v12 :: v_dual_mov_b32 v13, v11
	;; [unrolled: 1-line block ×5, first 2 shown]
.LBB128_11:                             ; =>This Inner Loop Header: Depth=1
	v_ashrrev_i32_e32 v27, 31, v26
	v_dual_mov_b32 v99, v25 :: v_dual_add_nc_u32 v24, -14, v23
	s_delay_alu instid0(VALU_DEP_2) | instskip(SKIP_1) | instid1(VALU_DEP_2)
	v_lshlrev_b64 v[29:30], 2, v[26:27]
	v_add_nc_u32_e32 v26, 16, v26
	v_add_co_u32 v29, vcc_lo, s6, v29
	s_delay_alu instid0(VALU_DEP_3) | instskip(SKIP_3) | instid1(VALU_DEP_1)
	v_add_co_ci_u32_e32 v30, vcc_lo, s7, v30, vcc_lo
	global_load_b32 v10, v[29:30], off
	v_lshlrev_b64 v[29:30], 4, v[24:25]
	v_add_nc_u32_e32 v24, -13, v23
	v_lshlrev_b64 v[34:35], 4, v[24:25]
	v_add_nc_u32_e32 v24, -12, v23
	s_delay_alu instid0(VALU_DEP_4) | instskip(SKIP_1) | instid1(VALU_DEP_3)
	v_add_co_u32 v29, vcc_lo, s8, v29
	v_add_co_ci_u32_e32 v30, vcc_lo, s9, v30, vcc_lo
	v_lshlrev_b64 v[36:37], 4, v[24:25]
	v_add_co_u32 v34, vcc_lo, s8, v34
	v_add_co_ci_u32_e32 v35, vcc_lo, s9, v35, vcc_lo
	global_load_b128 v[29:32], v[29:30], off
	v_add_co_u32 v38, vcc_lo, s8, v36
	v_add_co_ci_u32_e32 v39, vcc_lo, s9, v37, vcc_lo
	s_clause 0x1
	global_load_b128 v[34:37], v[34:35], off
	global_load_b128 v[38:41], v[38:39], off
	v_add_nc_u32_e32 v24, -11, v23
	s_delay_alu instid0(VALU_DEP_1) | instskip(SKIP_2) | instid1(VALU_DEP_1)
	v_lshlrev_b64 v[46:47], 4, v[24:25]
	s_waitcnt vmcnt(3)
	v_subrev_nc_u32_e32 v10, s12, v10
	v_lshl_add_u32 v98, v10, 2, v10
	s_delay_alu instid0(VALU_DEP_1) | instskip(SKIP_1) | instid1(VALU_DEP_1)
	v_lshlrev_b64 v[42:43], 4, v[98:99]
	v_add_nc_u32_e32 v24, 1, v98
	v_lshlrev_b64 v[50:51], 4, v[24:25]
	s_delay_alu instid0(VALU_DEP_3) | instskip(NEXT) | instid1(VALU_DEP_4)
	v_add_co_u32 v42, vcc_lo, s10, v42
	v_add_co_ci_u32_e32 v43, vcc_lo, s11, v43, vcc_lo
	v_add_nc_u32_e32 v24, -10, v23
	v_add_co_u32 v46, vcc_lo, s8, v46
	global_load_b128 v[42:45], v[42:43], off
	v_add_co_ci_u32_e32 v47, vcc_lo, s9, v47, vcc_lo
	v_lshlrev_b64 v[52:53], 4, v[24:25]
	v_add_nc_u32_e32 v24, -9, v23
	v_add_co_u32 v50, vcc_lo, s10, v50
	v_add_co_ci_u32_e32 v51, vcc_lo, s11, v51, vcc_lo
	s_delay_alu instid0(VALU_DEP_3)
	v_lshlrev_b64 v[54:55], 4, v[24:25]
	v_add_co_u32 v56, vcc_lo, s8, v52
	v_add_co_ci_u32_e32 v57, vcc_lo, s9, v53, vcc_lo
	global_load_b128 v[46:49], v[46:47], off
	v_add_co_u32 v58, vcc_lo, s8, v54
	v_add_co_ci_u32_e32 v59, vcc_lo, s9, v55, vcc_lo
	global_load_b128 v[50:53], v[50:51], off
	s_clause 0x1
	global_load_b128 v[54:57], v[56:57], off
	global_load_b128 v[58:61], v[58:59], off
	v_add_nc_u32_e32 v24, -8, v23
	s_delay_alu instid0(VALU_DEP_1) | instskip(SKIP_1) | instid1(VALU_DEP_1)
	v_lshlrev_b64 v[62:63], 4, v[24:25]
	v_add_nc_u32_e32 v24, 2, v98
	v_lshlrev_b64 v[66:67], 4, v[24:25]
	v_add_nc_u32_e32 v24, -7, v23
	s_delay_alu instid0(VALU_DEP_4) | instskip(SKIP_1) | instid1(VALU_DEP_3)
	v_add_co_u32 v62, vcc_lo, s8, v62
	v_add_co_ci_u32_e32 v63, vcc_lo, s9, v63, vcc_lo
	v_lshlrev_b64 v[68:69], 4, v[24:25]
	v_add_nc_u32_e32 v24, -6, v23
	v_add_co_u32 v66, vcc_lo, s10, v66
	v_add_co_ci_u32_e32 v67, vcc_lo, s11, v67, vcc_lo
	s_delay_alu instid0(VALU_DEP_3)
	v_lshlrev_b64 v[70:71], 4, v[24:25]
	v_add_co_u32 v72, vcc_lo, s8, v68
	v_add_co_ci_u32_e32 v73, vcc_lo, s9, v69, vcc_lo
	global_load_b128 v[62:65], v[62:63], off
	v_add_co_u32 v74, vcc_lo, s8, v70
	v_add_co_ci_u32_e32 v75, vcc_lo, s9, v71, vcc_lo
	global_load_b128 v[66:69], v[66:67], off
	s_clause 0x1
	global_load_b128 v[70:73], v[72:73], off
	global_load_b128 v[74:77], v[74:75], off
	v_add_nc_u32_e32 v24, -5, v23
	s_delay_alu instid0(VALU_DEP_1) | instskip(SKIP_1) | instid1(VALU_DEP_1)
	v_lshlrev_b64 v[78:79], 4, v[24:25]
	v_add_nc_u32_e32 v24, 3, v98
	v_lshlrev_b64 v[82:83], 4, v[24:25]
	v_add_nc_u32_e32 v24, -4, v23
	s_delay_alu instid0(VALU_DEP_4) | instskip(SKIP_1) | instid1(VALU_DEP_3)
	v_add_co_u32 v78, vcc_lo, s8, v78
	v_add_co_ci_u32_e32 v79, vcc_lo, s9, v79, vcc_lo
	v_lshlrev_b64 v[84:85], 4, v[24:25]
	v_add_nc_u32_e32 v24, -3, v23
	v_add_co_u32 v82, vcc_lo, s10, v82
	v_add_co_ci_u32_e32 v83, vcc_lo, s11, v83, vcc_lo
	s_delay_alu instid0(VALU_DEP_3)
	v_lshlrev_b64 v[86:87], 4, v[24:25]
	v_add_co_u32 v88, vcc_lo, s8, v84
	v_add_co_ci_u32_e32 v89, vcc_lo, s9, v85, vcc_lo
	global_load_b128 v[78:81], v[78:79], off
	v_add_co_u32 v90, vcc_lo, s8, v86
	v_add_co_ci_u32_e32 v91, vcc_lo, s9, v87, vcc_lo
	global_load_b128 v[82:85], v[82:83], off
	s_clause 0x1
	global_load_b128 v[86:89], v[88:89], off
	global_load_b128 v[90:93], v[90:91], off
	v_mov_b32_e32 v24, v25
	s_delay_alu instid0(VALU_DEP_1) | instskip(SKIP_1) | instid1(VALU_DEP_1)
	v_lshlrev_b64 v[94:95], 4, v[23:24]
	v_add_nc_u32_e32 v24, -2, v23
	v_lshlrev_b64 v[99:100], 4, v[24:25]
	v_add_nc_u32_e32 v24, 4, v98
	s_delay_alu instid0(VALU_DEP_4) | instskip(SKIP_1) | instid1(VALU_DEP_3)
	v_add_co_u32 v94, vcc_lo, s8, v94
	v_add_co_ci_u32_e32 v95, vcc_lo, s9, v95, vcc_lo
	v_lshlrev_b64 v[102:103], 4, v[24:25]
	v_add_nc_u32_e32 v24, -1, v23
	v_add_nc_u32_e32 v23, 0xf0, v23
	v_add_co_u32 v98, vcc_lo, s8, v99
	v_add_co_ci_u32_e32 v99, vcc_lo, s9, v100, vcc_lo
	s_delay_alu instid0(VALU_DEP_4)
	v_lshlrev_b64 v[104:105], 4, v[24:25]
	v_add_co_u32 v102, vcc_lo, s10, v102
	v_add_co_ci_u32_e32 v103, vcc_lo, s11, v103, vcc_lo
	s_clause 0x1
	global_load_b128 v[94:97], v[94:95], off
	global_load_b128 v[98:101], v[98:99], off
	v_add_co_u32 v106, vcc_lo, s8, v104
	v_add_co_ci_u32_e32 v107, vcc_lo, s9, v105, vcc_lo
	global_load_b128 v[102:105], v[102:103], off
	global_load_b128 v[106:109], v[106:107], off
	v_cmp_ge_i32_e32 vcc_lo, v26, v28
	s_or_b32 s4, vcc_lo, s4
	s_waitcnt vmcnt(16)
	v_fma_f64 v[17:18], v[29:30], v[42:43], v[17:18]
	v_fma_f64 v[10:11], v[31:32], v[42:43], v[11:12]
	;; [unrolled: 1-line block ×6, first 2 shown]
	v_fma_f64 v[16:17], -v[31:32], v[44:45], v[17:18]
	v_fma_f64 v[10:11], v[29:30], v[44:45], v[10:11]
	v_fma_f64 v[18:19], -v[36:37], v[44:45], v[19:20]
	v_fma_f64 v[20:21], v[34:35], v[44:45], v[21:22]
	v_fma_f64 v[12:13], -v[40:41], v[44:45], v[12:13]
	v_fma_f64 v[14:15], v[38:39], v[44:45], v[14:15]
	s_waitcnt vmcnt(14)
	v_fma_f64 v[16:17], v[46:47], v[50:51], v[16:17]
	v_fma_f64 v[10:11], v[48:49], v[50:51], v[10:11]
	s_waitcnt vmcnt(13)
	v_fma_f64 v[18:19], v[54:55], v[50:51], v[18:19]
	v_fma_f64 v[20:21], v[56:57], v[50:51], v[20:21]
	s_waitcnt vmcnt(12)
	v_fma_f64 v[12:13], v[58:59], v[50:51], v[12:13]
	v_fma_f64 v[14:15], v[60:61], v[50:51], v[14:15]
	v_fma_f64 v[16:17], -v[48:49], v[52:53], v[16:17]
	v_fma_f64 v[10:11], v[46:47], v[52:53], v[10:11]
	v_fma_f64 v[18:19], -v[56:57], v[52:53], v[18:19]
	v_fma_f64 v[20:21], v[54:55], v[52:53], v[20:21]
	v_fma_f64 v[12:13], -v[60:61], v[52:53], v[12:13]
	v_fma_f64 v[14:15], v[58:59], v[52:53], v[14:15]
	s_waitcnt vmcnt(10)
	v_fma_f64 v[16:17], v[62:63], v[66:67], v[16:17]
	v_fma_f64 v[10:11], v[64:65], v[66:67], v[10:11]
	s_waitcnt vmcnt(9)
	v_fma_f64 v[18:19], v[70:71], v[66:67], v[18:19]
	v_fma_f64 v[20:21], v[72:73], v[66:67], v[20:21]
	s_waitcnt vmcnt(8)
	v_fma_f64 v[12:13], v[74:75], v[66:67], v[12:13]
	v_fma_f64 v[14:15], v[76:77], v[66:67], v[14:15]
	;; [unrolled: 15-line block ×3, first 2 shown]
	v_fma_f64 v[16:17], -v[80:81], v[84:85], v[16:17]
	v_fma_f64 v[10:11], v[78:79], v[84:85], v[10:11]
	v_fma_f64 v[18:19], -v[88:89], v[84:85], v[18:19]
	v_fma_f64 v[20:21], v[86:87], v[84:85], v[20:21]
	;; [unrolled: 2-line block ×3, first 2 shown]
	s_waitcnt vmcnt(1)
	v_fma_f64 v[16:17], v[98:99], v[102:103], v[16:17]
	v_fma_f64 v[10:11], v[100:101], v[102:103], v[10:11]
	s_waitcnt vmcnt(0)
	v_fma_f64 v[29:30], v[106:107], v[102:103], v[18:19]
	v_fma_f64 v[21:22], v[108:109], v[102:103], v[20:21]
	;; [unrolled: 1-line block ×4, first 2 shown]
	v_fma_f64 v[17:18], -v[100:101], v[104:105], v[16:17]
	v_fma_f64 v[11:12], v[98:99], v[104:105], v[10:11]
	v_fma_f64 v[19:20], -v[108:109], v[104:105], v[29:30]
	v_fma_f64 v[21:22], v[106:107], v[104:105], v[21:22]
	;; [unrolled: 2-line block ×3, first 2 shown]
	s_and_not1_b32 exec_lo, exec_lo, s4
	s_cbranch_execnz .LBB128_11
; %bb.12:
	s_or_b32 exec_lo, exec_lo, s4
.LBB128_13:
	s_delay_alu instid0(SALU_CYCLE_1)
	s_or_b32 exec_lo, exec_lo, s1
	s_cbranch_execz .LBB128_15
	s_branch .LBB128_20
.LBB128_14:
                                        ; implicit-def: $vgpr11_vgpr12
                                        ; implicit-def: $vgpr17_vgpr18
                                        ; implicit-def: $vgpr13_vgpr14
                                        ; implicit-def: $vgpr15_vgpr16
                                        ; implicit-def: $vgpr19_vgpr20
                                        ; implicit-def: $vgpr21_vgpr22
.LBB128_15:
	v_mov_b32_e32 v11, 0
	v_mov_b32_e32 v12, 0
	s_delay_alu instid0(VALU_DEP_1)
	v_dual_mov_b32 v18, v12 :: v_dual_mov_b32 v17, v11
	v_dual_mov_b32 v14, v12 :: v_dual_mov_b32 v13, v11
	;; [unrolled: 1-line block ×5, first 2 shown]
	s_and_saveexec_b32 s1, s0
	s_cbranch_execz .LBB128_19
; %bb.16:
	v_dual_mov_b32 v11, 0 :: v_dual_mov_b32 v26, 0
	v_mov_b32_e32 v12, 0
	v_mad_u64_u32 v[23:24], null, v9, 15, 14
	s_mov_b32 s0, 0
	s_delay_alu instid0(VALU_DEP_2)
	v_dual_mov_b32 v18, v12 :: v_dual_mov_b32 v17, v11
	v_dual_mov_b32 v14, v12 :: v_dual_mov_b32 v13, v11
	;; [unrolled: 1-line block ×5, first 2 shown]
.LBB128_17:                             ; =>This Inner Loop Header: Depth=1
	v_ashrrev_i32_e32 v10, 31, v9
	v_dual_mov_b32 v32, v26 :: v_dual_add_nc_u32 v29, -9, v23
	v_add_nc_u32_e32 v31, -4, v23
	v_mov_b32_e32 v91, v26
	s_delay_alu instid0(VALU_DEP_4) | instskip(SKIP_1) | instid1(VALU_DEP_4)
	v_lshlrev_b64 v[24:25], 2, v[9:10]
	v_dual_mov_b32 v30, v26 :: v_dual_add_nc_u32 v9, 16, v9
	v_lshlrev_b64 v[31:32], 4, v[31:32]
	s_delay_alu instid0(VALU_DEP_3) | instskip(NEXT) | instid1(VALU_DEP_4)
	v_add_co_u32 v24, vcc_lo, s6, v24
	v_add_co_ci_u32_e32 v25, vcc_lo, s7, v25, vcc_lo
	s_delay_alu instid0(VALU_DEP_4) | instskip(SKIP_2) | instid1(VALU_DEP_1)
	v_lshlrev_b64 v[29:30], 4, v[29:30]
	global_load_b32 v10, v[24:25], off
	v_add_nc_u32_e32 v25, -14, v23
	v_lshlrev_b64 v[24:25], 4, v[25:26]
	s_delay_alu instid0(VALU_DEP_1) | instskip(NEXT) | instid1(VALU_DEP_2)
	v_add_co_u32 v24, vcc_lo, s8, v24
	v_add_co_ci_u32_e32 v25, vcc_lo, s9, v25, vcc_lo
	v_add_co_u32 v34, vcc_lo, s8, v29
	v_add_co_ci_u32_e32 v35, vcc_lo, s9, v30, vcc_lo
	;; [unrolled: 2-line block ×3, first 2 shown]
	s_clause 0x2
	global_load_b128 v[29:32], v[24:25], off
	global_load_b128 v[34:37], v[34:35], off
	;; [unrolled: 1-line block ×3, first 2 shown]
	s_waitcnt vmcnt(3)
	v_subrev_nc_u32_e32 v10, s12, v10
	s_delay_alu instid0(VALU_DEP_1) | instskip(NEXT) | instid1(VALU_DEP_1)
	v_lshl_add_u32 v90, v10, 2, v10
	v_lshlrev_b64 v[24:25], 4, v[90:91]
	s_delay_alu instid0(VALU_DEP_1) | instskip(NEXT) | instid1(VALU_DEP_2)
	v_add_co_u32 v24, vcc_lo, s10, v24
	v_add_co_ci_u32_e32 v25, vcc_lo, s11, v25, vcc_lo
	global_load_b128 v[42:45], v[24:25], off
	v_add_nc_u32_e32 v25, -13, v23
	s_delay_alu instid0(VALU_DEP_1) | instskip(NEXT) | instid1(VALU_DEP_1)
	v_lshlrev_b64 v[24:25], 4, v[25:26]
	v_add_co_u32 v24, vcc_lo, s8, v24
	s_delay_alu instid0(VALU_DEP_2) | instskip(SKIP_2) | instid1(VALU_DEP_1)
	v_add_co_ci_u32_e32 v25, vcc_lo, s9, v25, vcc_lo
	global_load_b128 v[46:49], v[24:25], off
	v_add_nc_u32_e32 v25, 1, v90
	v_lshlrev_b64 v[50:51], 4, v[25:26]
	v_add_nc_u32_e32 v25, -8, v23
	s_delay_alu instid0(VALU_DEP_1) | instskip(SKIP_1) | instid1(VALU_DEP_4)
	v_lshlrev_b64 v[52:53], 4, v[25:26]
	v_add_nc_u32_e32 v25, -3, v23
	v_add_co_u32 v50, vcc_lo, s10, v50
	v_add_co_ci_u32_e32 v51, vcc_lo, s11, v51, vcc_lo
	s_delay_alu instid0(VALU_DEP_3) | instskip(SKIP_2) | instid1(VALU_DEP_3)
	v_lshlrev_b64 v[24:25], 4, v[25:26]
	v_add_co_u32 v54, vcc_lo, s8, v52
	v_add_co_ci_u32_e32 v55, vcc_lo, s9, v53, vcc_lo
	v_add_co_u32 v24, vcc_lo, s8, v24
	s_delay_alu instid0(VALU_DEP_4)
	v_add_co_ci_u32_e32 v25, vcc_lo, s9, v25, vcc_lo
	global_load_b128 v[50:53], v[50:51], off
	s_clause 0x1
	global_load_b128 v[54:57], v[54:55], off
	global_load_b128 v[58:61], v[24:25], off
	v_dual_mov_b32 v24, v26 :: v_dual_add_nc_u32 v25, -12, v23
	s_delay_alu instid0(VALU_DEP_1) | instskip(SKIP_1) | instid1(VALU_DEP_1)
	v_lshlrev_b64 v[62:63], 4, v[25:26]
	v_add_nc_u32_e32 v25, 2, v90
	v_lshlrev_b64 v[64:65], 4, v[25:26]
	v_add_nc_u32_e32 v25, -7, v23
	s_delay_alu instid0(VALU_DEP_4) | instskip(SKIP_1) | instid1(VALU_DEP_3)
	v_add_co_u32 v62, vcc_lo, s8, v62
	v_add_co_ci_u32_e32 v63, vcc_lo, s9, v63, vcc_lo
	v_lshlrev_b64 v[70:71], 4, v[25:26]
	v_add_nc_u32_e32 v25, -2, v23
	v_add_co_u32 v66, vcc_lo, s10, v64
	v_add_co_ci_u32_e32 v67, vcc_lo, s11, v65, vcc_lo
	s_delay_alu instid0(VALU_DEP_3)
	v_lshlrev_b64 v[72:73], 4, v[25:26]
	v_add_co_u32 v70, vcc_lo, s8, v70
	v_add_co_ci_u32_e32 v71, vcc_lo, s9, v71, vcc_lo
	global_load_b128 v[62:65], v[62:63], off
	v_add_co_u32 v74, vcc_lo, s8, v72
	v_add_co_ci_u32_e32 v75, vcc_lo, s9, v73, vcc_lo
	global_load_b128 v[66:69], v[66:67], off
	s_clause 0x1
	global_load_b128 v[70:73], v[70:71], off
	global_load_b128 v[74:77], v[74:75], off
	v_lshlrev_b64 v[24:25], 4, v[23:24]
	s_delay_alu instid0(VALU_DEP_1) | instskip(NEXT) | instid1(VALU_DEP_2)
	v_add_co_u32 v24, vcc_lo, s8, v24
	v_add_co_ci_u32_e32 v25, vcc_lo, s9, v25, vcc_lo
	global_load_b128 v[78:81], v[24:25], off
	v_add_nc_u32_e32 v25, -11, v23
	s_delay_alu instid0(VALU_DEP_1) | instskip(SKIP_1) | instid1(VALU_DEP_1)
	v_lshlrev_b64 v[82:83], 4, v[25:26]
	v_add_nc_u32_e32 v25, 3, v90
	v_lshlrev_b64 v[84:85], 4, v[25:26]
	v_add_nc_u32_e32 v25, -6, v23
	s_delay_alu instid0(VALU_DEP_4) | instskip(SKIP_1) | instid1(VALU_DEP_3)
	v_add_co_u32 v82, vcc_lo, s8, v82
	v_add_co_ci_u32_e32 v83, vcc_lo, s9, v83, vcc_lo
	v_lshlrev_b64 v[86:87], 4, v[25:26]
	v_add_nc_u32_e32 v25, -1, v23
	v_add_co_u32 v88, vcc_lo, s10, v84
	v_add_co_ci_u32_e32 v89, vcc_lo, s11, v85, vcc_lo
	s_delay_alu instid0(VALU_DEP_3) | instskip(SKIP_3) | instid1(VALU_DEP_3)
	v_lshlrev_b64 v[91:92], 4, v[25:26]
	v_add_nc_u32_e32 v25, -10, v23
	v_add_co_u32 v93, vcc_lo, s8, v86
	v_add_co_ci_u32_e32 v94, vcc_lo, s9, v87, vcc_lo
	v_lshlrev_b64 v[95:96], 4, v[25:26]
	v_add_co_u32 v97, vcc_lo, s8, v91
	v_add_co_ci_u32_e32 v98, vcc_lo, s9, v92, vcc_lo
	global_load_b128 v[82:85], v[82:83], off
	v_add_co_u32 v101, vcc_lo, s8, v95
	v_add_co_ci_u32_e32 v102, vcc_lo, s9, v96, vcc_lo
	global_load_b128 v[86:89], v[88:89], off
	v_add_nc_u32_e32 v25, 4, v90
	global_load_b128 v[90:93], v[93:94], off
	v_lshlrev_b64 v[99:100], 4, v[25:26]
	v_add_nc_u32_e32 v25, -5, v23
	v_add_nc_u32_e32 v23, 0xf0, v23
	s_delay_alu instid0(VALU_DEP_2)
	v_lshlrev_b64 v[24:25], 4, v[25:26]
	s_waitcnt vmcnt(12)
	v_fma_f64 v[17:18], v[29:30], v[42:43], v[17:18]
	v_fma_f64 v[10:11], v[31:32], v[42:43], v[11:12]
	;; [unrolled: 1-line block ×6, first 2 shown]
	v_fma_f64 v[17:18], -v[31:32], v[44:45], v[17:18]
	v_fma_f64 v[10:11], v[29:30], v[44:45], v[10:11]
	s_clause 0x1
	global_load_b128 v[29:32], v[101:102], off
	global_load_b128 v[94:97], v[97:98], off
	v_add_co_u32 v98, vcc_lo, s10, v99
	v_add_co_ci_u32_e32 v99, vcc_lo, s11, v100, vcc_lo
	v_add_co_u32 v24, vcc_lo, s8, v24
	v_add_co_ci_u32_e32 v25, vcc_lo, s9, v25, vcc_lo
	v_fma_f64 v[19:20], -v[36:37], v[44:45], v[19:20]
	v_fma_f64 v[21:22], v[34:35], v[44:45], v[21:22]
	global_load_b128 v[34:37], v[98:99], off
	global_load_b128 v[98:101], v[24:25], off
	v_fma_f64 v[12:13], -v[40:41], v[44:45], v[12:13]
	v_fma_f64 v[14:15], v[38:39], v[44:45], v[14:15]
	v_cmp_ge_i32_e32 vcc_lo, v9, v28
	s_or_b32 s0, vcc_lo, s0
	s_waitcnt vmcnt(14)
	v_fma_f64 v[16:17], v[46:47], v[50:51], v[17:18]
	v_fma_f64 v[10:11], v[48:49], v[50:51], v[10:11]
	s_waitcnt vmcnt(13)
	v_fma_f64 v[18:19], v[54:55], v[50:51], v[19:20]
	v_fma_f64 v[20:21], v[56:57], v[50:51], v[21:22]
	;; [unrolled: 3-line block ×3, first 2 shown]
	v_fma_f64 v[16:17], -v[48:49], v[52:53], v[16:17]
	v_fma_f64 v[10:11], v[46:47], v[52:53], v[10:11]
	v_fma_f64 v[18:19], -v[56:57], v[52:53], v[18:19]
	v_fma_f64 v[20:21], v[54:55], v[52:53], v[20:21]
	;; [unrolled: 2-line block ×3, first 2 shown]
	s_waitcnt vmcnt(10)
	v_fma_f64 v[16:17], v[62:63], v[66:67], v[16:17]
	v_fma_f64 v[10:11], v[64:65], v[66:67], v[10:11]
	s_waitcnt vmcnt(9)
	v_fma_f64 v[18:19], v[70:71], v[66:67], v[18:19]
	v_fma_f64 v[20:21], v[72:73], v[66:67], v[20:21]
	;; [unrolled: 3-line block ×3, first 2 shown]
	v_fma_f64 v[16:17], -v[64:65], v[68:69], v[16:17]
	v_fma_f64 v[10:11], v[62:63], v[68:69], v[10:11]
	v_fma_f64 v[18:19], -v[72:73], v[68:69], v[18:19]
	v_fma_f64 v[20:21], v[70:71], v[68:69], v[20:21]
	v_fma_f64 v[12:13], -v[76:77], v[68:69], v[12:13]
	v_fma_f64 v[14:15], v[74:75], v[68:69], v[14:15]
	s_waitcnt vmcnt(5)
	v_fma_f64 v[16:17], v[82:83], v[86:87], v[16:17]
	v_fma_f64 v[10:11], v[84:85], v[86:87], v[10:11]
	s_waitcnt vmcnt(4)
	v_fma_f64 v[18:19], v[90:91], v[86:87], v[18:19]
	v_fma_f64 v[20:21], v[92:93], v[86:87], v[20:21]
	s_delay_alu instid0(VALU_DEP_4) | instskip(NEXT) | instid1(VALU_DEP_4)
	v_fma_f64 v[16:17], -v[84:85], v[88:89], v[16:17]
	v_fma_f64 v[10:11], v[82:83], v[88:89], v[10:11]
	s_delay_alu instid0(VALU_DEP_4) | instskip(NEXT) | instid1(VALU_DEP_4)
	v_fma_f64 v[18:19], -v[92:93], v[88:89], v[18:19]
	v_fma_f64 v[20:21], v[90:91], v[88:89], v[20:21]
	s_waitcnt vmcnt(2)
	v_fma_f64 v[12:13], v[94:95], v[86:87], v[12:13]
	v_fma_f64 v[14:15], v[96:97], v[86:87], v[14:15]
	s_waitcnt vmcnt(1)
	v_fma_f64 v[16:17], v[29:30], v[34:35], v[16:17]
	v_fma_f64 v[10:11], v[31:32], v[34:35], v[10:11]
	s_waitcnt vmcnt(0)
	v_fma_f64 v[24:25], v[98:99], v[34:35], v[18:19]
	v_fma_f64 v[21:22], v[100:101], v[34:35], v[20:21]
	v_fma_f64 v[12:13], -v[96:97], v[88:89], v[12:13]
	v_fma_f64 v[14:15], v[94:95], v[88:89], v[14:15]
	v_fma_f64 v[17:18], -v[31:32], v[36:37], v[16:17]
	v_fma_f64 v[19:20], -v[100:101], v[36:37], v[24:25]
	v_fma_f64 v[21:22], v[98:99], v[36:37], v[21:22]
	v_fma_f64 v[38:39], v[78:79], v[34:35], v[12:13]
	;; [unrolled: 1-line block ×4, first 2 shown]
	s_delay_alu instid0(VALU_DEP_3) | instskip(NEXT) | instid1(VALU_DEP_3)
	v_fma_f64 v[13:14], -v[80:81], v[36:37], v[38:39]
	v_fma_f64 v[15:16], v[78:79], v[36:37], v[34:35]
	s_and_not1_b32 exec_lo, exec_lo, s0
	s_cbranch_execnz .LBB128_17
; %bb.18:
	s_or_b32 exec_lo, exec_lo, s0
.LBB128_19:
	s_delay_alu instid0(SALU_CYCLE_1)
	s_or_b32 exec_lo, exec_lo, s1
.LBB128_20:
	v_mbcnt_lo_u32_b32 v34, -1, 0
	s_delay_alu instid0(VALU_DEP_1) | instskip(NEXT) | instid1(VALU_DEP_1)
	v_xor_b32_e32 v9, 8, v34
	v_cmp_gt_i32_e32 vcc_lo, 32, v9
	v_cndmask_b32_e32 v9, v34, v9, vcc_lo
	s_delay_alu instid0(VALU_DEP_1)
	v_lshlrev_b32_e32 v32, 2, v9
	ds_bpermute_b32 v9, v32, v17
	ds_bpermute_b32 v10, v32, v18
	ds_bpermute_b32 v23, v32, v11
	ds_bpermute_b32 v24, v32, v12
	ds_bpermute_b32 v25, v32, v19
	ds_bpermute_b32 v26, v32, v20
	ds_bpermute_b32 v27, v32, v21
	ds_bpermute_b32 v28, v32, v22
	ds_bpermute_b32 v29, v32, v13
	ds_bpermute_b32 v30, v32, v14
	ds_bpermute_b32 v31, v32, v15
	ds_bpermute_b32 v32, v32, v16
	s_waitcnt lgkmcnt(10)
	v_add_f64 v[9:10], v[17:18], v[9:10]
	s_waitcnt lgkmcnt(8)
	v_add_f64 v[11:12], v[11:12], v[23:24]
	s_waitcnt lgkmcnt(6)
	v_add_f64 v[17:18], v[19:20], v[25:26]
	s_waitcnt lgkmcnt(4)
	v_add_f64 v[19:20], v[21:22], v[27:28]
	v_xor_b32_e32 v21, 4, v34
	s_waitcnt lgkmcnt(2)
	v_add_f64 v[13:14], v[13:14], v[29:30]
	s_waitcnt lgkmcnt(0)
	v_add_f64 v[15:16], v[15:16], v[31:32]
	v_cmp_gt_i32_e32 vcc_lo, 32, v21
	v_cndmask_b32_e32 v21, v34, v21, vcc_lo
	s_delay_alu instid0(VALU_DEP_1)
	v_lshlrev_b32_e32 v32, 2, v21
	ds_bpermute_b32 v21, v32, v9
	ds_bpermute_b32 v22, v32, v10
	ds_bpermute_b32 v23, v32, v11
	ds_bpermute_b32 v24, v32, v12
	ds_bpermute_b32 v25, v32, v17
	ds_bpermute_b32 v26, v32, v18
	ds_bpermute_b32 v27, v32, v19
	ds_bpermute_b32 v28, v32, v20
	ds_bpermute_b32 v29, v32, v13
	ds_bpermute_b32 v30, v32, v14
	ds_bpermute_b32 v31, v32, v15
	ds_bpermute_b32 v32, v32, v16
	s_waitcnt lgkmcnt(10)
	v_add_f64 v[9:10], v[9:10], v[21:22]
	s_waitcnt lgkmcnt(8)
	v_add_f64 v[11:12], v[11:12], v[23:24]
	s_waitcnt lgkmcnt(6)
	v_add_f64 v[17:18], v[17:18], v[25:26]
	s_waitcnt lgkmcnt(4)
	v_add_f64 v[21:22], v[19:20], v[27:28]
	v_xor_b32_e32 v19, 2, v34
	s_waitcnt lgkmcnt(2)
	v_add_f64 v[13:14], v[13:14], v[29:30]
	s_waitcnt lgkmcnt(0)
	v_add_f64 v[15:16], v[15:16], v[31:32]
	;; [unrolled: 29-line block ×3, first 2 shown]
	v_cmp_gt_i32_e32 vcc_lo, 32, v21
	v_cndmask_b32_e32 v21, v34, v21, vcc_lo
	v_cmp_eq_u32_e32 vcc_lo, 15, v33
	s_delay_alu instid0(VALU_DEP_2)
	v_lshlrev_b32_e32 v24, 2, v21
	ds_bpermute_b32 v31, v24, v9
	ds_bpermute_b32 v32, v24, v10
	;; [unrolled: 1-line block ×12, first 2 shown]
	s_and_b32 exec_lo, exec_lo, vcc_lo
	s_cbranch_execz .LBB128_25
; %bb.21:
	v_cmp_eq_f64_e32 vcc_lo, 0, v[4:5]
	v_cmp_eq_f64_e64 s0, 0, v[6:7]
	s_waitcnt lgkmcnt(10)
	v_add_f64 v[9:10], v[9:10], v[31:32]
	s_waitcnt lgkmcnt(8)
	v_add_f64 v[19:20], v[19:20], v[29:30]
	;; [unrolled: 2-line block ×6, first 2 shown]
	s_load_b64 s[2:3], s[2:3], 0x48
	s_and_b32 s0, vcc_lo, s0
	s_delay_alu instid0(SALU_CYCLE_1) | instskip(NEXT) | instid1(SALU_CYCLE_1)
	s_and_saveexec_b32 s1, s0
	s_xor_b32 s0, exec_lo, s1
	s_cbranch_execz .LBB128_23
; %bb.22:
	v_mul_f64 v[4:5], v[19:20], -v[2:3]
	v_mul_f64 v[6:7], v[0:1], v[19:20]
	v_mul_f64 v[19:20], v[17:18], -v[2:3]
	v_mul_f64 v[17:18], v[0:1], v[17:18]
	;; [unrolled: 2-line block ×3, first 2 shown]
	v_fma_f64 v[4:5], v[0:1], v[9:10], v[4:5]
	v_fma_f64 v[6:7], v[2:3], v[9:10], v[6:7]
	;; [unrolled: 1-line block ×6, first 2 shown]
	v_lshl_add_u32 v13, v8, 1, v8
                                        ; implicit-def: $vgpr8
                                        ; implicit-def: $vgpr19_vgpr20
                                        ; implicit-def: $vgpr17_vgpr18
                                        ; implicit-def: $vgpr15_vgpr16
	s_delay_alu instid0(VALU_DEP_1) | instskip(NEXT) | instid1(VALU_DEP_1)
	v_ashrrev_i32_e32 v14, 31, v13
	v_lshlrev_b64 v[13:14], 4, v[13:14]
	s_waitcnt lgkmcnt(0)
	s_delay_alu instid0(VALU_DEP_1) | instskip(NEXT) | instid1(VALU_DEP_2)
	v_add_co_u32 v13, vcc_lo, s2, v13
	v_add_co_ci_u32_e32 v14, vcc_lo, s3, v14, vcc_lo
	s_clause 0x2
	global_store_b128 v[13:14], v[4:7], off
	global_store_b128 v[13:14], v[9:12], off offset:16
	global_store_b128 v[13:14], v[0:3], off offset:32
                                        ; implicit-def: $vgpr0_vgpr1
                                        ; implicit-def: $vgpr2_vgpr3
                                        ; implicit-def: $vgpr4_vgpr5
                                        ; implicit-def: $vgpr6_vgpr7
                                        ; implicit-def: $vgpr9_vgpr10
                                        ; implicit-def: $vgpr11_vgpr12
                                        ; implicit-def: $vgpr13_vgpr14
.LBB128_23:
	s_and_not1_saveexec_b32 s0, s0
	s_cbranch_execz .LBB128_25
; %bb.24:
	v_lshl_add_u32 v21, v8, 1, v8
	v_mul_f64 v[35:36], v[19:20], -v[2:3]
	v_mul_f64 v[19:20], v[0:1], v[19:20]
	v_mul_f64 v[37:38], v[17:18], -v[2:3]
	v_mul_f64 v[17:18], v[0:1], v[17:18]
	v_ashrrev_i32_e32 v22, 31, v21
	v_mul_f64 v[39:40], v[15:16], -v[2:3]
	v_mul_f64 v[15:16], v[0:1], v[15:16]
	s_delay_alu instid0(VALU_DEP_3) | instskip(SKIP_1) | instid1(VALU_DEP_1)
	v_lshlrev_b64 v[21:22], 4, v[21:22]
	s_waitcnt lgkmcnt(0)
	v_add_co_u32 v33, vcc_lo, s2, v21
	s_delay_alu instid0(VALU_DEP_2)
	v_add_co_ci_u32_e32 v34, vcc_lo, s3, v22, vcc_lo
	s_clause 0x2
	global_load_b128 v[21:24], v[33:34], off
	global_load_b128 v[25:28], v[33:34], off offset:16
	global_load_b128 v[29:32], v[33:34], off offset:32
	v_fma_f64 v[35:36], v[0:1], v[9:10], v[35:36]
	v_fma_f64 v[8:9], v[2:3], v[9:10], v[19:20]
	;; [unrolled: 1-line block ×6, first 2 shown]
	s_waitcnt vmcnt(2)
	v_fma_f64 v[12:13], v[4:5], v[21:22], v[35:36]
	v_fma_f64 v[8:9], v[6:7], v[21:22], v[8:9]
	s_waitcnt vmcnt(1)
	v_fma_f64 v[14:15], v[4:5], v[25:26], v[19:20]
	v_fma_f64 v[10:11], v[6:7], v[25:26], v[10:11]
	;; [unrolled: 3-line block ×3, first 2 shown]
	v_fma_f64 v[0:1], -v[6:7], v[23:24], v[12:13]
	v_fma_f64 v[2:3], v[4:5], v[23:24], v[8:9]
	v_fma_f64 v[8:9], -v[6:7], v[27:28], v[14:15]
	v_fma_f64 v[10:11], v[4:5], v[27:28], v[10:11]
	;; [unrolled: 2-line block ×3, first 2 shown]
	s_clause 0x2
	global_store_b128 v[33:34], v[0:3], off
	global_store_b128 v[33:34], v[8:11], off offset:16
	global_store_b128 v[33:34], v[12:15], off offset:32
.LBB128_25:
	s_nop 0
	s_sendmsg sendmsg(MSG_DEALLOC_VGPRS)
	s_endpgm
	.section	.rodata,"a",@progbits
	.p2align	6, 0x0
	.amdhsa_kernel _ZN9rocsparseL19gebsrmvn_3xn_kernelILj128ELj5ELj16E21rocsparse_complex_numIdEEEvi20rocsparse_direction_NS_24const_host_device_scalarIT2_EEPKiS8_PKS5_SA_S6_PS5_21rocsparse_index_base_b
		.amdhsa_group_segment_fixed_size 2048
		.amdhsa_private_segment_fixed_size 0
		.amdhsa_kernarg_size 88
		.amdhsa_user_sgpr_count 15
		.amdhsa_user_sgpr_dispatch_ptr 1
		.amdhsa_user_sgpr_queue_ptr 0
		.amdhsa_user_sgpr_kernarg_segment_ptr 1
		.amdhsa_user_sgpr_dispatch_id 0
		.amdhsa_user_sgpr_private_segment_size 0
		.amdhsa_wavefront_size32 1
		.amdhsa_uses_dynamic_stack 0
		.amdhsa_enable_private_segment 0
		.amdhsa_system_sgpr_workgroup_id_x 1
		.amdhsa_system_sgpr_workgroup_id_y 0
		.amdhsa_system_sgpr_workgroup_id_z 0
		.amdhsa_system_sgpr_workgroup_info 0
		.amdhsa_system_vgpr_workitem_id 2
		.amdhsa_next_free_vgpr 110
		.amdhsa_next_free_sgpr 18
		.amdhsa_reserve_vcc 1
		.amdhsa_float_round_mode_32 0
		.amdhsa_float_round_mode_16_64 0
		.amdhsa_float_denorm_mode_32 3
		.amdhsa_float_denorm_mode_16_64 3
		.amdhsa_dx10_clamp 1
		.amdhsa_ieee_mode 1
		.amdhsa_fp16_overflow 0
		.amdhsa_workgroup_processor_mode 1
		.amdhsa_memory_ordered 1
		.amdhsa_forward_progress 0
		.amdhsa_shared_vgpr_count 0
		.amdhsa_exception_fp_ieee_invalid_op 0
		.amdhsa_exception_fp_denorm_src 0
		.amdhsa_exception_fp_ieee_div_zero 0
		.amdhsa_exception_fp_ieee_overflow 0
		.amdhsa_exception_fp_ieee_underflow 0
		.amdhsa_exception_fp_ieee_inexact 0
		.amdhsa_exception_int_div_zero 0
	.end_amdhsa_kernel
	.section	.text._ZN9rocsparseL19gebsrmvn_3xn_kernelILj128ELj5ELj16E21rocsparse_complex_numIdEEEvi20rocsparse_direction_NS_24const_host_device_scalarIT2_EEPKiS8_PKS5_SA_S6_PS5_21rocsparse_index_base_b,"axG",@progbits,_ZN9rocsparseL19gebsrmvn_3xn_kernelILj128ELj5ELj16E21rocsparse_complex_numIdEEEvi20rocsparse_direction_NS_24const_host_device_scalarIT2_EEPKiS8_PKS5_SA_S6_PS5_21rocsparse_index_base_b,comdat
.Lfunc_end128:
	.size	_ZN9rocsparseL19gebsrmvn_3xn_kernelILj128ELj5ELj16E21rocsparse_complex_numIdEEEvi20rocsparse_direction_NS_24const_host_device_scalarIT2_EEPKiS8_PKS5_SA_S6_PS5_21rocsparse_index_base_b, .Lfunc_end128-_ZN9rocsparseL19gebsrmvn_3xn_kernelILj128ELj5ELj16E21rocsparse_complex_numIdEEEvi20rocsparse_direction_NS_24const_host_device_scalarIT2_EEPKiS8_PKS5_SA_S6_PS5_21rocsparse_index_base_b
                                        ; -- End function
	.section	.AMDGPU.csdata,"",@progbits
; Kernel info:
; codeLenInByte = 4752
; NumSgprs: 20
; NumVgprs: 110
; ScratchSize: 0
; MemoryBound: 0
; FloatMode: 240
; IeeeMode: 1
; LDSByteSize: 2048 bytes/workgroup (compile time only)
; SGPRBlocks: 2
; VGPRBlocks: 13
; NumSGPRsForWavesPerEU: 20
; NumVGPRsForWavesPerEU: 110
; Occupancy: 12
; WaveLimiterHint : 1
; COMPUTE_PGM_RSRC2:SCRATCH_EN: 0
; COMPUTE_PGM_RSRC2:USER_SGPR: 15
; COMPUTE_PGM_RSRC2:TRAP_HANDLER: 0
; COMPUTE_PGM_RSRC2:TGID_X_EN: 1
; COMPUTE_PGM_RSRC2:TGID_Y_EN: 0
; COMPUTE_PGM_RSRC2:TGID_Z_EN: 0
; COMPUTE_PGM_RSRC2:TIDIG_COMP_CNT: 2
	.section	.text._ZN9rocsparseL19gebsrmvn_3xn_kernelILj128ELj5ELj32E21rocsparse_complex_numIdEEEvi20rocsparse_direction_NS_24const_host_device_scalarIT2_EEPKiS8_PKS5_SA_S6_PS5_21rocsparse_index_base_b,"axG",@progbits,_ZN9rocsparseL19gebsrmvn_3xn_kernelILj128ELj5ELj32E21rocsparse_complex_numIdEEEvi20rocsparse_direction_NS_24const_host_device_scalarIT2_EEPKiS8_PKS5_SA_S6_PS5_21rocsparse_index_base_b,comdat
	.globl	_ZN9rocsparseL19gebsrmvn_3xn_kernelILj128ELj5ELj32E21rocsparse_complex_numIdEEEvi20rocsparse_direction_NS_24const_host_device_scalarIT2_EEPKiS8_PKS5_SA_S6_PS5_21rocsparse_index_base_b ; -- Begin function _ZN9rocsparseL19gebsrmvn_3xn_kernelILj128ELj5ELj32E21rocsparse_complex_numIdEEEvi20rocsparse_direction_NS_24const_host_device_scalarIT2_EEPKiS8_PKS5_SA_S6_PS5_21rocsparse_index_base_b
	.p2align	8
	.type	_ZN9rocsparseL19gebsrmvn_3xn_kernelILj128ELj5ELj32E21rocsparse_complex_numIdEEEvi20rocsparse_direction_NS_24const_host_device_scalarIT2_EEPKiS8_PKS5_SA_S6_PS5_21rocsparse_index_base_b,@function
_ZN9rocsparseL19gebsrmvn_3xn_kernelILj128ELj5ELj32E21rocsparse_complex_numIdEEEvi20rocsparse_direction_NS_24const_host_device_scalarIT2_EEPKiS8_PKS5_SA_S6_PS5_21rocsparse_index_base_b: ; @_ZN9rocsparseL19gebsrmvn_3xn_kernelILj128ELj5ELj32E21rocsparse_complex_numIdEEEvi20rocsparse_direction_NS_24const_host_device_scalarIT2_EEPKiS8_PKS5_SA_S6_PS5_21rocsparse_index_base_b
; %bb.0:
	s_load_b64 s[12:13], s[2:3], 0x50
	s_load_b64 s[16:17], s[0:1], 0x4
	s_load_b128 s[8:11], s[2:3], 0x8
	v_bfe_u32 v1, v0, 10, 10
	s_mov_b64 s[0:1], src_shared_base
	s_load_b128 s[4:7], s[2:3], 0x38
	v_and_b32_e32 v10, 0x3ff, v0
	v_bfe_u32 v0, v0, 20, 10
	s_waitcnt lgkmcnt(0)
	s_bitcmp1_b32 s13, 0
	v_mul_u32_u24_e32 v1, s17, v1
	s_cselect_b32 s0, -1, 0
	s_delay_alu instid0(SALU_CYCLE_1)
	s_and_b32 vcc_lo, s0, exec_lo
	s_cselect_b32 s13, s1, s9
	s_lshr_b32 s14, s16, 16
	v_dual_mov_b32 v2, s4 :: v_dual_mov_b32 v3, s5
	s_mul_i32 s14, s14, s17
	v_mov_b32_e32 v6, s13
	v_mad_u32_u24 v1, s14, v10, v1
	s_delay_alu instid0(VALU_DEP_1) | instskip(SKIP_1) | instid1(VALU_DEP_2)
	v_add_lshl_u32 v4, v1, v0, 3
	v_dual_mov_b32 v0, s8 :: v_dual_mov_b32 v1, s9
	v_add_nc_u32_e32 v5, 0x400, v4
	ds_store_2addr_stride64_b64 v4, v[2:3], v[0:1] offset1:2
	v_dual_mov_b32 v2, s10 :: v_dual_mov_b32 v3, s11
	v_cndmask_b32_e64 v5, s8, v5, s0
	s_xor_b32 s10, s0, -1
	flat_load_b64 v[0:1], v[5:6]
	s_cbranch_vccnz .LBB129_2
; %bb.1:
	v_dual_mov_b32 v2, s8 :: v_dual_mov_b32 v3, s9
	flat_load_b64 v[2:3], v[2:3] offset:8
.LBB129_2:
	s_and_b32 s8, s0, exec_lo
	s_cselect_b32 s1, s1, s5
	v_cndmask_b32_e64 v4, s4, v4, s0
	v_dual_mov_b32 v5, s1 :: v_dual_mov_b32 v6, s6
	v_mov_b32_e32 v7, s7
	s_and_not1_b32 vcc_lo, exec_lo, s10
	flat_load_b64 v[4:5], v[4:5]
	s_cbranch_vccnz .LBB129_4
; %bb.3:
	v_dual_mov_b32 v7, s5 :: v_dual_mov_b32 v6, s4
	flat_load_b64 v[6:7], v[6:7] offset:8
.LBB129_4:
	s_waitcnt vmcnt(1) lgkmcnt(1)
	v_cmp_eq_f64_e32 vcc_lo, 0, v[0:1]
	v_cmp_eq_f64_e64 s0, 0, v[2:3]
	s_delay_alu instid0(VALU_DEP_1)
	s_and_b32 s4, vcc_lo, s0
	s_mov_b32 s0, -1
	s_and_saveexec_b32 s1, s4
	s_cbranch_execz .LBB129_6
; %bb.5:
	s_waitcnt vmcnt(0) lgkmcnt(0)
	v_cmp_neq_f64_e32 vcc_lo, 1.0, v[4:5]
	v_cmp_neq_f64_e64 s0, 0, v[6:7]
	s_delay_alu instid0(VALU_DEP_1) | instskip(NEXT) | instid1(SALU_CYCLE_1)
	s_or_b32 s0, vcc_lo, s0
	s_or_not1_b32 s0, s0, exec_lo
.LBB129_6:
	s_or_b32 exec_lo, exec_lo, s1
	s_and_saveexec_b32 s1, s0
	s_cbranch_execz .LBB129_25
; %bb.7:
	s_load_b64 s[0:1], s[2:3], 0x0
	v_lshrrev_b32_e32 v8, 5, v10
	s_delay_alu instid0(VALU_DEP_1) | instskip(SKIP_1) | instid1(VALU_DEP_1)
	v_lshl_or_b32 v8, s15, 2, v8
	s_waitcnt lgkmcnt(0)
	v_cmp_gt_i32_e32 vcc_lo, s0, v8
	s_and_b32 exec_lo, exec_lo, vcc_lo
	s_cbranch_execz .LBB129_25
; %bb.8:
	s_load_b256 s[4:11], s[2:3], 0x18
	v_ashrrev_i32_e32 v9, 31, v8
	v_and_b32_e32 v33, 31, v10
	s_cmp_lg_u32 s1, 0
	s_delay_alu instid0(VALU_DEP_2) | instskip(SKIP_1) | instid1(VALU_DEP_1)
	v_lshlrev_b64 v[11:12], 2, v[8:9]
	s_waitcnt lgkmcnt(0)
	v_add_co_u32 v11, vcc_lo, s4, v11
	s_delay_alu instid0(VALU_DEP_2) | instskip(SKIP_4) | instid1(VALU_DEP_2)
	v_add_co_ci_u32_e32 v12, vcc_lo, s5, v12, vcc_lo
	global_load_b64 v[11:12], v[11:12], off
	s_waitcnt vmcnt(0)
	v_subrev_nc_u32_e32 v9, s12, v11
	v_subrev_nc_u32_e32 v28, s12, v12
	v_add_nc_u32_e32 v15, v9, v33
	s_delay_alu instid0(VALU_DEP_1)
	v_cmp_lt_i32_e64 s0, v15, v28
	s_cbranch_scc0 .LBB129_14
; %bb.9:
	v_mov_b32_e32 v9, 0
	v_mov_b32_e32 v10, 0
	s_delay_alu instid0(VALU_DEP_1)
	v_dual_mov_b32 v18, v10 :: v_dual_mov_b32 v17, v9
	v_dual_mov_b32 v12, v10 :: v_dual_mov_b32 v11, v9
	;; [unrolled: 1-line block ×5, first 2 shown]
	s_and_saveexec_b32 s1, s0
	s_cbranch_execz .LBB129_13
; %bb.10:
	v_dual_mov_b32 v9, 0 :: v_dual_mov_b32 v26, v15
	v_dual_mov_b32 v10, 0 :: v_dual_mov_b32 v25, 0
	v_mad_u64_u32 v[23:24], null, v15, 15, 14
	s_mov_b32 s4, 0
	s_delay_alu instid0(VALU_DEP_2)
	v_dual_mov_b32 v18, v10 :: v_dual_mov_b32 v17, v9
	v_dual_mov_b32 v12, v10 :: v_dual_mov_b32 v11, v9
	v_dual_mov_b32 v14, v10 :: v_dual_mov_b32 v13, v9
	v_dual_mov_b32 v20, v10 :: v_dual_mov_b32 v19, v9
	v_dual_mov_b32 v22, v10 :: v_dual_mov_b32 v21, v9
.LBB129_11:                             ; =>This Inner Loop Header: Depth=1
	v_ashrrev_i32_e32 v27, 31, v26
	v_dual_mov_b32 v99, v25 :: v_dual_add_nc_u32 v24, -14, v23
	s_delay_alu instid0(VALU_DEP_2) | instskip(SKIP_1) | instid1(VALU_DEP_2)
	v_lshlrev_b64 v[29:30], 2, v[26:27]
	v_add_nc_u32_e32 v26, 32, v26
	v_add_co_u32 v29, vcc_lo, s6, v29
	s_delay_alu instid0(VALU_DEP_3) | instskip(SKIP_3) | instid1(VALU_DEP_1)
	v_add_co_ci_u32_e32 v30, vcc_lo, s7, v30, vcc_lo
	global_load_b32 v16, v[29:30], off
	v_lshlrev_b64 v[29:30], 4, v[24:25]
	v_add_nc_u32_e32 v24, -13, v23
	v_lshlrev_b64 v[34:35], 4, v[24:25]
	v_add_nc_u32_e32 v24, -12, v23
	s_delay_alu instid0(VALU_DEP_4) | instskip(SKIP_1) | instid1(VALU_DEP_3)
	v_add_co_u32 v29, vcc_lo, s8, v29
	v_add_co_ci_u32_e32 v30, vcc_lo, s9, v30, vcc_lo
	v_lshlrev_b64 v[36:37], 4, v[24:25]
	v_add_co_u32 v34, vcc_lo, s8, v34
	v_add_co_ci_u32_e32 v35, vcc_lo, s9, v35, vcc_lo
	global_load_b128 v[29:32], v[29:30], off
	v_add_co_u32 v38, vcc_lo, s8, v36
	v_add_co_ci_u32_e32 v39, vcc_lo, s9, v37, vcc_lo
	s_clause 0x1
	global_load_b128 v[34:37], v[34:35], off
	global_load_b128 v[38:41], v[38:39], off
	v_add_nc_u32_e32 v24, -11, v23
	s_delay_alu instid0(VALU_DEP_1) | instskip(SKIP_2) | instid1(VALU_DEP_1)
	v_lshlrev_b64 v[46:47], 4, v[24:25]
	s_waitcnt vmcnt(3)
	v_subrev_nc_u32_e32 v16, s12, v16
	v_lshl_add_u32 v98, v16, 2, v16
	s_delay_alu instid0(VALU_DEP_1) | instskip(SKIP_1) | instid1(VALU_DEP_1)
	v_lshlrev_b64 v[42:43], 4, v[98:99]
	v_add_nc_u32_e32 v24, 1, v98
	v_lshlrev_b64 v[50:51], 4, v[24:25]
	s_delay_alu instid0(VALU_DEP_3) | instskip(NEXT) | instid1(VALU_DEP_4)
	v_add_co_u32 v42, vcc_lo, s10, v42
	v_add_co_ci_u32_e32 v43, vcc_lo, s11, v43, vcc_lo
	v_add_nc_u32_e32 v24, -10, v23
	v_add_co_u32 v46, vcc_lo, s8, v46
	global_load_b128 v[42:45], v[42:43], off
	v_add_co_ci_u32_e32 v47, vcc_lo, s9, v47, vcc_lo
	v_lshlrev_b64 v[52:53], 4, v[24:25]
	v_add_nc_u32_e32 v24, -9, v23
	v_add_co_u32 v50, vcc_lo, s10, v50
	v_add_co_ci_u32_e32 v51, vcc_lo, s11, v51, vcc_lo
	s_delay_alu instid0(VALU_DEP_3)
	v_lshlrev_b64 v[54:55], 4, v[24:25]
	v_add_co_u32 v56, vcc_lo, s8, v52
	v_add_co_ci_u32_e32 v57, vcc_lo, s9, v53, vcc_lo
	global_load_b128 v[46:49], v[46:47], off
	v_add_co_u32 v58, vcc_lo, s8, v54
	v_add_co_ci_u32_e32 v59, vcc_lo, s9, v55, vcc_lo
	global_load_b128 v[50:53], v[50:51], off
	s_clause 0x1
	global_load_b128 v[54:57], v[56:57], off
	global_load_b128 v[58:61], v[58:59], off
	v_add_nc_u32_e32 v24, -8, v23
	s_delay_alu instid0(VALU_DEP_1) | instskip(SKIP_1) | instid1(VALU_DEP_1)
	v_lshlrev_b64 v[62:63], 4, v[24:25]
	v_add_nc_u32_e32 v24, 2, v98
	v_lshlrev_b64 v[66:67], 4, v[24:25]
	v_add_nc_u32_e32 v24, -7, v23
	s_delay_alu instid0(VALU_DEP_4) | instskip(SKIP_1) | instid1(VALU_DEP_3)
	v_add_co_u32 v62, vcc_lo, s8, v62
	v_add_co_ci_u32_e32 v63, vcc_lo, s9, v63, vcc_lo
	v_lshlrev_b64 v[68:69], 4, v[24:25]
	v_add_nc_u32_e32 v24, -6, v23
	v_add_co_u32 v66, vcc_lo, s10, v66
	v_add_co_ci_u32_e32 v67, vcc_lo, s11, v67, vcc_lo
	s_delay_alu instid0(VALU_DEP_3)
	v_lshlrev_b64 v[70:71], 4, v[24:25]
	v_add_co_u32 v72, vcc_lo, s8, v68
	v_add_co_ci_u32_e32 v73, vcc_lo, s9, v69, vcc_lo
	global_load_b128 v[62:65], v[62:63], off
	v_add_co_u32 v74, vcc_lo, s8, v70
	v_add_co_ci_u32_e32 v75, vcc_lo, s9, v71, vcc_lo
	global_load_b128 v[66:69], v[66:67], off
	s_clause 0x1
	global_load_b128 v[70:73], v[72:73], off
	global_load_b128 v[74:77], v[74:75], off
	v_add_nc_u32_e32 v24, -5, v23
	s_delay_alu instid0(VALU_DEP_1) | instskip(SKIP_1) | instid1(VALU_DEP_1)
	v_lshlrev_b64 v[78:79], 4, v[24:25]
	v_add_nc_u32_e32 v24, 3, v98
	v_lshlrev_b64 v[82:83], 4, v[24:25]
	v_add_nc_u32_e32 v24, -4, v23
	s_delay_alu instid0(VALU_DEP_4) | instskip(SKIP_1) | instid1(VALU_DEP_3)
	v_add_co_u32 v78, vcc_lo, s8, v78
	v_add_co_ci_u32_e32 v79, vcc_lo, s9, v79, vcc_lo
	v_lshlrev_b64 v[84:85], 4, v[24:25]
	v_add_nc_u32_e32 v24, -3, v23
	v_add_co_u32 v82, vcc_lo, s10, v82
	v_add_co_ci_u32_e32 v83, vcc_lo, s11, v83, vcc_lo
	s_delay_alu instid0(VALU_DEP_3)
	v_lshlrev_b64 v[86:87], 4, v[24:25]
	v_add_co_u32 v88, vcc_lo, s8, v84
	v_add_co_ci_u32_e32 v89, vcc_lo, s9, v85, vcc_lo
	global_load_b128 v[78:81], v[78:79], off
	v_add_co_u32 v90, vcc_lo, s8, v86
	v_add_co_ci_u32_e32 v91, vcc_lo, s9, v87, vcc_lo
	global_load_b128 v[82:85], v[82:83], off
	s_clause 0x1
	global_load_b128 v[86:89], v[88:89], off
	global_load_b128 v[90:93], v[90:91], off
	v_mov_b32_e32 v24, v25
	s_delay_alu instid0(VALU_DEP_1) | instskip(SKIP_1) | instid1(VALU_DEP_1)
	v_lshlrev_b64 v[94:95], 4, v[23:24]
	v_add_nc_u32_e32 v24, -2, v23
	v_lshlrev_b64 v[99:100], 4, v[24:25]
	v_add_nc_u32_e32 v24, 4, v98
	s_delay_alu instid0(VALU_DEP_4) | instskip(SKIP_1) | instid1(VALU_DEP_3)
	v_add_co_u32 v94, vcc_lo, s8, v94
	v_add_co_ci_u32_e32 v95, vcc_lo, s9, v95, vcc_lo
	v_lshlrev_b64 v[102:103], 4, v[24:25]
	v_add_nc_u32_e32 v24, -1, v23
	v_add_nc_u32_e32 v23, 0x1e0, v23
	v_add_co_u32 v98, vcc_lo, s8, v99
	v_add_co_ci_u32_e32 v99, vcc_lo, s9, v100, vcc_lo
	s_delay_alu instid0(VALU_DEP_4)
	v_lshlrev_b64 v[104:105], 4, v[24:25]
	v_add_co_u32 v102, vcc_lo, s10, v102
	v_add_co_ci_u32_e32 v103, vcc_lo, s11, v103, vcc_lo
	s_clause 0x1
	global_load_b128 v[94:97], v[94:95], off
	global_load_b128 v[98:101], v[98:99], off
	v_add_co_u32 v106, vcc_lo, s8, v104
	v_add_co_ci_u32_e32 v107, vcc_lo, s9, v105, vcc_lo
	global_load_b128 v[102:105], v[102:103], off
	global_load_b128 v[106:109], v[106:107], off
	v_cmp_ge_i32_e32 vcc_lo, v26, v28
	s_or_b32 s4, vcc_lo, s4
	s_waitcnt vmcnt(16)
	v_fma_f64 v[16:17], v[29:30], v[42:43], v[17:18]
	v_fma_f64 v[9:10], v[31:32], v[42:43], v[9:10]
	;; [unrolled: 1-line block ×6, first 2 shown]
	v_fma_f64 v[16:17], -v[31:32], v[44:45], v[16:17]
	v_fma_f64 v[9:10], v[29:30], v[44:45], v[9:10]
	v_fma_f64 v[18:19], -v[36:37], v[44:45], v[18:19]
	v_fma_f64 v[20:21], v[34:35], v[44:45], v[20:21]
	v_fma_f64 v[11:12], -v[40:41], v[44:45], v[11:12]
	v_fma_f64 v[13:14], v[38:39], v[44:45], v[13:14]
	s_waitcnt vmcnt(14)
	v_fma_f64 v[16:17], v[46:47], v[50:51], v[16:17]
	v_fma_f64 v[9:10], v[48:49], v[50:51], v[9:10]
	s_waitcnt vmcnt(13)
	v_fma_f64 v[18:19], v[54:55], v[50:51], v[18:19]
	v_fma_f64 v[20:21], v[56:57], v[50:51], v[20:21]
	s_waitcnt vmcnt(12)
	v_fma_f64 v[11:12], v[58:59], v[50:51], v[11:12]
	v_fma_f64 v[13:14], v[60:61], v[50:51], v[13:14]
	v_fma_f64 v[16:17], -v[48:49], v[52:53], v[16:17]
	v_fma_f64 v[9:10], v[46:47], v[52:53], v[9:10]
	v_fma_f64 v[18:19], -v[56:57], v[52:53], v[18:19]
	v_fma_f64 v[20:21], v[54:55], v[52:53], v[20:21]
	v_fma_f64 v[11:12], -v[60:61], v[52:53], v[11:12]
	v_fma_f64 v[13:14], v[58:59], v[52:53], v[13:14]
	s_waitcnt vmcnt(10)
	v_fma_f64 v[16:17], v[62:63], v[66:67], v[16:17]
	v_fma_f64 v[9:10], v[64:65], v[66:67], v[9:10]
	s_waitcnt vmcnt(9)
	v_fma_f64 v[18:19], v[70:71], v[66:67], v[18:19]
	v_fma_f64 v[20:21], v[72:73], v[66:67], v[20:21]
	s_waitcnt vmcnt(8)
	v_fma_f64 v[11:12], v[74:75], v[66:67], v[11:12]
	v_fma_f64 v[13:14], v[76:77], v[66:67], v[13:14]
	;; [unrolled: 15-line block ×3, first 2 shown]
	v_fma_f64 v[16:17], -v[80:81], v[84:85], v[16:17]
	v_fma_f64 v[9:10], v[78:79], v[84:85], v[9:10]
	v_fma_f64 v[18:19], -v[88:89], v[84:85], v[18:19]
	v_fma_f64 v[20:21], v[86:87], v[84:85], v[20:21]
	;; [unrolled: 2-line block ×3, first 2 shown]
	s_waitcnt vmcnt(1)
	v_fma_f64 v[16:17], v[98:99], v[102:103], v[16:17]
	v_fma_f64 v[9:10], v[100:101], v[102:103], v[9:10]
	s_waitcnt vmcnt(0)
	v_fma_f64 v[29:30], v[106:107], v[102:103], v[18:19]
	v_fma_f64 v[21:22], v[108:109], v[102:103], v[20:21]
	v_fma_f64 v[11:12], v[94:95], v[102:103], v[11:12]
	v_fma_f64 v[13:14], v[96:97], v[102:103], v[13:14]
	v_fma_f64 v[17:18], -v[100:101], v[104:105], v[16:17]
	v_fma_f64 v[9:10], v[98:99], v[104:105], v[9:10]
	v_fma_f64 v[19:20], -v[108:109], v[104:105], v[29:30]
	v_fma_f64 v[21:22], v[106:107], v[104:105], v[21:22]
	;; [unrolled: 2-line block ×3, first 2 shown]
	s_and_not1_b32 exec_lo, exec_lo, s4
	s_cbranch_execnz .LBB129_11
; %bb.12:
	s_or_b32 exec_lo, exec_lo, s4
.LBB129_13:
	s_delay_alu instid0(SALU_CYCLE_1)
	s_or_b32 exec_lo, exec_lo, s1
	s_cbranch_execz .LBB129_15
	s_branch .LBB129_20
.LBB129_14:
                                        ; implicit-def: $vgpr9_vgpr10
                                        ; implicit-def: $vgpr17_vgpr18
                                        ; implicit-def: $vgpr11_vgpr12
                                        ; implicit-def: $vgpr13_vgpr14
                                        ; implicit-def: $vgpr19_vgpr20
                                        ; implicit-def: $vgpr21_vgpr22
.LBB129_15:
	v_mov_b32_e32 v9, 0
	v_mov_b32_e32 v10, 0
	s_delay_alu instid0(VALU_DEP_1)
	v_dual_mov_b32 v18, v10 :: v_dual_mov_b32 v17, v9
	v_dual_mov_b32 v12, v10 :: v_dual_mov_b32 v11, v9
	;; [unrolled: 1-line block ×5, first 2 shown]
	s_and_saveexec_b32 s1, s0
	s_cbranch_execz .LBB129_19
; %bb.16:
	v_dual_mov_b32 v9, 0 :: v_dual_mov_b32 v26, 0
	v_mov_b32_e32 v10, 0
	v_mad_u64_u32 v[23:24], null, v15, 15, 14
	s_mov_b32 s0, 0
	s_delay_alu instid0(VALU_DEP_2)
	v_dual_mov_b32 v18, v10 :: v_dual_mov_b32 v17, v9
	v_dual_mov_b32 v12, v10 :: v_dual_mov_b32 v11, v9
	;; [unrolled: 1-line block ×5, first 2 shown]
.LBB129_17:                             ; =>This Inner Loop Header: Depth=1
	v_ashrrev_i32_e32 v16, 31, v15
	v_dual_mov_b32 v32, v26 :: v_dual_add_nc_u32 v29, -9, v23
	v_add_nc_u32_e32 v31, -4, v23
	v_mov_b32_e32 v91, v26
	s_delay_alu instid0(VALU_DEP_4) | instskip(SKIP_1) | instid1(VALU_DEP_4)
	v_lshlrev_b64 v[24:25], 2, v[15:16]
	v_dual_mov_b32 v30, v26 :: v_dual_add_nc_u32 v15, 32, v15
	v_lshlrev_b64 v[31:32], 4, v[31:32]
	s_delay_alu instid0(VALU_DEP_3) | instskip(NEXT) | instid1(VALU_DEP_4)
	v_add_co_u32 v24, vcc_lo, s6, v24
	v_add_co_ci_u32_e32 v25, vcc_lo, s7, v25, vcc_lo
	s_delay_alu instid0(VALU_DEP_4) | instskip(SKIP_2) | instid1(VALU_DEP_1)
	v_lshlrev_b64 v[29:30], 4, v[29:30]
	global_load_b32 v16, v[24:25], off
	v_add_nc_u32_e32 v25, -14, v23
	v_lshlrev_b64 v[24:25], 4, v[25:26]
	s_delay_alu instid0(VALU_DEP_1) | instskip(NEXT) | instid1(VALU_DEP_2)
	v_add_co_u32 v24, vcc_lo, s8, v24
	v_add_co_ci_u32_e32 v25, vcc_lo, s9, v25, vcc_lo
	v_add_co_u32 v34, vcc_lo, s8, v29
	v_add_co_ci_u32_e32 v35, vcc_lo, s9, v30, vcc_lo
	;; [unrolled: 2-line block ×3, first 2 shown]
	s_clause 0x2
	global_load_b128 v[29:32], v[24:25], off
	global_load_b128 v[34:37], v[34:35], off
	;; [unrolled: 1-line block ×3, first 2 shown]
	s_waitcnt vmcnt(3)
	v_subrev_nc_u32_e32 v16, s12, v16
	s_delay_alu instid0(VALU_DEP_1) | instskip(NEXT) | instid1(VALU_DEP_1)
	v_lshl_add_u32 v90, v16, 2, v16
	v_lshlrev_b64 v[24:25], 4, v[90:91]
	s_delay_alu instid0(VALU_DEP_1) | instskip(NEXT) | instid1(VALU_DEP_2)
	v_add_co_u32 v24, vcc_lo, s10, v24
	v_add_co_ci_u32_e32 v25, vcc_lo, s11, v25, vcc_lo
	global_load_b128 v[42:45], v[24:25], off
	v_add_nc_u32_e32 v25, -13, v23
	s_delay_alu instid0(VALU_DEP_1) | instskip(NEXT) | instid1(VALU_DEP_1)
	v_lshlrev_b64 v[24:25], 4, v[25:26]
	v_add_co_u32 v24, vcc_lo, s8, v24
	s_delay_alu instid0(VALU_DEP_2) | instskip(SKIP_2) | instid1(VALU_DEP_1)
	v_add_co_ci_u32_e32 v25, vcc_lo, s9, v25, vcc_lo
	global_load_b128 v[46:49], v[24:25], off
	v_add_nc_u32_e32 v25, 1, v90
	v_lshlrev_b64 v[50:51], 4, v[25:26]
	v_add_nc_u32_e32 v25, -8, v23
	s_delay_alu instid0(VALU_DEP_1) | instskip(SKIP_1) | instid1(VALU_DEP_4)
	v_lshlrev_b64 v[52:53], 4, v[25:26]
	v_add_nc_u32_e32 v25, -3, v23
	v_add_co_u32 v50, vcc_lo, s10, v50
	v_add_co_ci_u32_e32 v51, vcc_lo, s11, v51, vcc_lo
	s_delay_alu instid0(VALU_DEP_3) | instskip(SKIP_2) | instid1(VALU_DEP_3)
	v_lshlrev_b64 v[24:25], 4, v[25:26]
	v_add_co_u32 v54, vcc_lo, s8, v52
	v_add_co_ci_u32_e32 v55, vcc_lo, s9, v53, vcc_lo
	v_add_co_u32 v24, vcc_lo, s8, v24
	s_delay_alu instid0(VALU_DEP_4)
	v_add_co_ci_u32_e32 v25, vcc_lo, s9, v25, vcc_lo
	global_load_b128 v[50:53], v[50:51], off
	s_clause 0x1
	global_load_b128 v[54:57], v[54:55], off
	global_load_b128 v[58:61], v[24:25], off
	v_dual_mov_b32 v24, v26 :: v_dual_add_nc_u32 v25, -12, v23
	s_delay_alu instid0(VALU_DEP_1) | instskip(SKIP_1) | instid1(VALU_DEP_1)
	v_lshlrev_b64 v[62:63], 4, v[25:26]
	v_add_nc_u32_e32 v25, 2, v90
	v_lshlrev_b64 v[64:65], 4, v[25:26]
	v_add_nc_u32_e32 v25, -7, v23
	s_delay_alu instid0(VALU_DEP_4) | instskip(SKIP_1) | instid1(VALU_DEP_3)
	v_add_co_u32 v62, vcc_lo, s8, v62
	v_add_co_ci_u32_e32 v63, vcc_lo, s9, v63, vcc_lo
	v_lshlrev_b64 v[70:71], 4, v[25:26]
	v_add_nc_u32_e32 v25, -2, v23
	v_add_co_u32 v66, vcc_lo, s10, v64
	v_add_co_ci_u32_e32 v67, vcc_lo, s11, v65, vcc_lo
	s_delay_alu instid0(VALU_DEP_3)
	v_lshlrev_b64 v[72:73], 4, v[25:26]
	v_add_co_u32 v70, vcc_lo, s8, v70
	v_add_co_ci_u32_e32 v71, vcc_lo, s9, v71, vcc_lo
	global_load_b128 v[62:65], v[62:63], off
	v_add_co_u32 v74, vcc_lo, s8, v72
	v_add_co_ci_u32_e32 v75, vcc_lo, s9, v73, vcc_lo
	global_load_b128 v[66:69], v[66:67], off
	s_clause 0x1
	global_load_b128 v[70:73], v[70:71], off
	global_load_b128 v[74:77], v[74:75], off
	v_lshlrev_b64 v[24:25], 4, v[23:24]
	s_delay_alu instid0(VALU_DEP_1) | instskip(NEXT) | instid1(VALU_DEP_2)
	v_add_co_u32 v24, vcc_lo, s8, v24
	v_add_co_ci_u32_e32 v25, vcc_lo, s9, v25, vcc_lo
	global_load_b128 v[78:81], v[24:25], off
	v_add_nc_u32_e32 v25, -11, v23
	s_delay_alu instid0(VALU_DEP_1) | instskip(SKIP_1) | instid1(VALU_DEP_1)
	v_lshlrev_b64 v[82:83], 4, v[25:26]
	v_add_nc_u32_e32 v25, 3, v90
	v_lshlrev_b64 v[84:85], 4, v[25:26]
	v_add_nc_u32_e32 v25, -6, v23
	s_delay_alu instid0(VALU_DEP_4) | instskip(SKIP_1) | instid1(VALU_DEP_3)
	v_add_co_u32 v82, vcc_lo, s8, v82
	v_add_co_ci_u32_e32 v83, vcc_lo, s9, v83, vcc_lo
	v_lshlrev_b64 v[86:87], 4, v[25:26]
	v_add_nc_u32_e32 v25, -1, v23
	v_add_co_u32 v88, vcc_lo, s10, v84
	v_add_co_ci_u32_e32 v89, vcc_lo, s11, v85, vcc_lo
	s_delay_alu instid0(VALU_DEP_3) | instskip(SKIP_3) | instid1(VALU_DEP_3)
	v_lshlrev_b64 v[91:92], 4, v[25:26]
	v_add_nc_u32_e32 v25, -10, v23
	v_add_co_u32 v93, vcc_lo, s8, v86
	v_add_co_ci_u32_e32 v94, vcc_lo, s9, v87, vcc_lo
	v_lshlrev_b64 v[95:96], 4, v[25:26]
	v_add_co_u32 v97, vcc_lo, s8, v91
	v_add_co_ci_u32_e32 v98, vcc_lo, s9, v92, vcc_lo
	global_load_b128 v[82:85], v[82:83], off
	v_add_co_u32 v101, vcc_lo, s8, v95
	v_add_co_ci_u32_e32 v102, vcc_lo, s9, v96, vcc_lo
	global_load_b128 v[86:89], v[88:89], off
	v_add_nc_u32_e32 v25, 4, v90
	global_load_b128 v[90:93], v[93:94], off
	v_lshlrev_b64 v[99:100], 4, v[25:26]
	v_add_nc_u32_e32 v25, -5, v23
	v_add_nc_u32_e32 v23, 0x1e0, v23
	s_delay_alu instid0(VALU_DEP_2)
	v_lshlrev_b64 v[24:25], 4, v[25:26]
	s_waitcnt vmcnt(12)
	v_fma_f64 v[16:17], v[29:30], v[42:43], v[17:18]
	v_fma_f64 v[9:10], v[31:32], v[42:43], v[9:10]
	;; [unrolled: 1-line block ×6, first 2 shown]
	v_fma_f64 v[16:17], -v[31:32], v[44:45], v[16:17]
	v_fma_f64 v[9:10], v[29:30], v[44:45], v[9:10]
	s_clause 0x1
	global_load_b128 v[29:32], v[101:102], off
	global_load_b128 v[94:97], v[97:98], off
	v_add_co_u32 v98, vcc_lo, s10, v99
	v_add_co_ci_u32_e32 v99, vcc_lo, s11, v100, vcc_lo
	v_add_co_u32 v24, vcc_lo, s8, v24
	v_add_co_ci_u32_e32 v25, vcc_lo, s9, v25, vcc_lo
	v_fma_f64 v[18:19], -v[36:37], v[44:45], v[18:19]
	v_fma_f64 v[20:21], v[34:35], v[44:45], v[20:21]
	global_load_b128 v[34:37], v[98:99], off
	global_load_b128 v[98:101], v[24:25], off
	v_fma_f64 v[11:12], -v[40:41], v[44:45], v[11:12]
	v_fma_f64 v[13:14], v[38:39], v[44:45], v[13:14]
	v_cmp_ge_i32_e32 vcc_lo, v15, v28
	s_or_b32 s0, vcc_lo, s0
	s_waitcnt vmcnt(14)
	v_fma_f64 v[16:17], v[46:47], v[50:51], v[16:17]
	v_fma_f64 v[9:10], v[48:49], v[50:51], v[9:10]
	s_waitcnt vmcnt(13)
	v_fma_f64 v[18:19], v[54:55], v[50:51], v[18:19]
	v_fma_f64 v[20:21], v[56:57], v[50:51], v[20:21]
	;; [unrolled: 3-line block ×3, first 2 shown]
	v_fma_f64 v[16:17], -v[48:49], v[52:53], v[16:17]
	v_fma_f64 v[9:10], v[46:47], v[52:53], v[9:10]
	v_fma_f64 v[18:19], -v[56:57], v[52:53], v[18:19]
	v_fma_f64 v[20:21], v[54:55], v[52:53], v[20:21]
	;; [unrolled: 2-line block ×3, first 2 shown]
	s_waitcnt vmcnt(10)
	v_fma_f64 v[16:17], v[62:63], v[66:67], v[16:17]
	v_fma_f64 v[9:10], v[64:65], v[66:67], v[9:10]
	s_waitcnt vmcnt(9)
	v_fma_f64 v[18:19], v[70:71], v[66:67], v[18:19]
	v_fma_f64 v[20:21], v[72:73], v[66:67], v[20:21]
	;; [unrolled: 3-line block ×3, first 2 shown]
	v_fma_f64 v[16:17], -v[64:65], v[68:69], v[16:17]
	v_fma_f64 v[9:10], v[62:63], v[68:69], v[9:10]
	v_fma_f64 v[18:19], -v[72:73], v[68:69], v[18:19]
	v_fma_f64 v[20:21], v[70:71], v[68:69], v[20:21]
	;; [unrolled: 2-line block ×3, first 2 shown]
	s_waitcnt vmcnt(5)
	v_fma_f64 v[16:17], v[82:83], v[86:87], v[16:17]
	v_fma_f64 v[9:10], v[84:85], v[86:87], v[9:10]
	s_waitcnt vmcnt(4)
	v_fma_f64 v[18:19], v[90:91], v[86:87], v[18:19]
	v_fma_f64 v[20:21], v[92:93], v[86:87], v[20:21]
	s_delay_alu instid0(VALU_DEP_4) | instskip(NEXT) | instid1(VALU_DEP_4)
	v_fma_f64 v[16:17], -v[84:85], v[88:89], v[16:17]
	v_fma_f64 v[9:10], v[82:83], v[88:89], v[9:10]
	s_delay_alu instid0(VALU_DEP_4) | instskip(NEXT) | instid1(VALU_DEP_4)
	v_fma_f64 v[18:19], -v[92:93], v[88:89], v[18:19]
	v_fma_f64 v[20:21], v[90:91], v[88:89], v[20:21]
	s_waitcnt vmcnt(2)
	v_fma_f64 v[11:12], v[94:95], v[86:87], v[11:12]
	v_fma_f64 v[13:14], v[96:97], v[86:87], v[13:14]
	s_waitcnt vmcnt(1)
	v_fma_f64 v[16:17], v[29:30], v[34:35], v[16:17]
	;; [unrolled: 3-line block ×3, first 2 shown]
	v_fma_f64 v[21:22], v[100:101], v[34:35], v[20:21]
	v_fma_f64 v[11:12], -v[96:97], v[88:89], v[11:12]
	v_fma_f64 v[13:14], v[94:95], v[88:89], v[13:14]
	v_fma_f64 v[17:18], -v[31:32], v[36:37], v[16:17]
	;; [unrolled: 2-line block ×3, first 2 shown]
	v_fma_f64 v[21:22], v[98:99], v[36:37], v[21:22]
	v_fma_f64 v[11:12], v[78:79], v[34:35], v[11:12]
	;; [unrolled: 1-line block ×3, first 2 shown]
	s_delay_alu instid0(VALU_DEP_2) | instskip(NEXT) | instid1(VALU_DEP_2)
	v_fma_f64 v[11:12], -v[80:81], v[36:37], v[11:12]
	v_fma_f64 v[13:14], v[78:79], v[36:37], v[13:14]
	s_and_not1_b32 exec_lo, exec_lo, s0
	s_cbranch_execnz .LBB129_17
; %bb.18:
	s_or_b32 exec_lo, exec_lo, s0
.LBB129_19:
	s_delay_alu instid0(SALU_CYCLE_1)
	s_or_b32 exec_lo, exec_lo, s1
.LBB129_20:
	v_mbcnt_lo_u32_b32 v36, -1, 0
	s_delay_alu instid0(VALU_DEP_1) | instskip(NEXT) | instid1(VALU_DEP_1)
	v_xor_b32_e32 v15, 16, v36
	v_cmp_gt_i32_e32 vcc_lo, 32, v15
	v_cndmask_b32_e32 v15, v36, v15, vcc_lo
	s_delay_alu instid0(VALU_DEP_1)
	v_lshlrev_b32_e32 v32, 2, v15
	ds_bpermute_b32 v15, v32, v17
	ds_bpermute_b32 v16, v32, v18
	ds_bpermute_b32 v25, v32, v19
	ds_bpermute_b32 v26, v32, v20
	ds_bpermute_b32 v27, v32, v21
	ds_bpermute_b32 v28, v32, v22
	s_waitcnt lgkmcnt(4)
	v_add_f64 v[15:16], v[17:18], v[15:16]
	s_waitcnt lgkmcnt(2)
	v_add_f64 v[17:18], v[19:20], v[25:26]
	;; [unrolled: 2-line block ×3, first 2 shown]
	v_xor_b32_e32 v21, 8, v36
	s_delay_alu instid0(VALU_DEP_1)
	v_cmp_gt_i32_e32 vcc_lo, 32, v21
	v_cndmask_b32_e32 v21, v36, v21, vcc_lo
	ds_bpermute_b32 v23, v32, v9
	ds_bpermute_b32 v24, v32, v10
	ds_bpermute_b32 v29, v32, v11
	ds_bpermute_b32 v30, v32, v12
	ds_bpermute_b32 v31, v32, v13
	ds_bpermute_b32 v32, v32, v14
	s_waitcnt lgkmcnt(4)
	v_add_f64 v[9:10], v[9:10], v[23:24]
	s_waitcnt lgkmcnt(2)
	v_add_f64 v[11:12], v[11:12], v[29:30]
	;; [unrolled: 2-line block ×3, first 2 shown]
	v_lshlrev_b32_e32 v32, 2, v21
	ds_bpermute_b32 v21, v32, v15
	ds_bpermute_b32 v22, v32, v16
	;; [unrolled: 1-line block ×6, first 2 shown]
	s_waitcnt lgkmcnt(4)
	v_add_f64 v[15:16], v[15:16], v[21:22]
	v_xor_b32_e32 v21, 4, v36
	s_waitcnt lgkmcnt(2)
	v_add_f64 v[17:18], v[17:18], v[25:26]
	s_waitcnt lgkmcnt(0)
	v_add_f64 v[19:20], v[19:20], v[27:28]
	v_cmp_gt_i32_e32 vcc_lo, 32, v21
	ds_bpermute_b32 v23, v32, v9
	ds_bpermute_b32 v24, v32, v10
	;; [unrolled: 1-line block ×6, first 2 shown]
	v_cndmask_b32_e32 v21, v36, v21, vcc_lo
	s_waitcnt lgkmcnt(4)
	v_add_f64 v[9:10], v[9:10], v[23:24]
	s_waitcnt lgkmcnt(2)
	v_add_f64 v[11:12], v[11:12], v[29:30]
	;; [unrolled: 2-line block ×3, first 2 shown]
	v_lshlrev_b32_e32 v32, 2, v21
	ds_bpermute_b32 v21, v32, v15
	ds_bpermute_b32 v22, v32, v16
	ds_bpermute_b32 v25, v32, v17
	ds_bpermute_b32 v26, v32, v18
	ds_bpermute_b32 v27, v32, v19
	ds_bpermute_b32 v28, v32, v20
	s_waitcnt lgkmcnt(4)
	v_add_f64 v[15:16], v[15:16], v[21:22]
	s_waitcnt lgkmcnt(2)
	v_add_f64 v[17:18], v[17:18], v[25:26]
	ds_bpermute_b32 v23, v32, v9
	ds_bpermute_b32 v24, v32, v10
	;; [unrolled: 1-line block ×6, first 2 shown]
	s_waitcnt lgkmcnt(4)
	v_add_f64 v[21:22], v[9:10], v[23:24]
	v_add_f64 v[23:24], v[19:20], v[27:28]
	s_waitcnt lgkmcnt(2)
	v_add_f64 v[25:26], v[11:12], v[29:30]
	v_xor_b32_e32 v9, 2, v36
	s_waitcnt lgkmcnt(0)
	v_add_f64 v[27:28], v[13:14], v[31:32]
	s_delay_alu instid0(VALU_DEP_2) | instskip(SKIP_1) | instid1(VALU_DEP_1)
	v_cmp_gt_i32_e32 vcc_lo, 32, v9
	v_cndmask_b32_e32 v9, v36, v9, vcc_lo
	v_lshlrev_b32_e32 v19, 2, v9
	ds_bpermute_b32 v9, v19, v15
	ds_bpermute_b32 v10, v19, v16
	;; [unrolled: 1-line block ×12, first 2 shown]
	s_waitcnt lgkmcnt(10)
	v_add_f64 v[9:10], v[15:16], v[9:10]
	s_waitcnt lgkmcnt(6)
	v_add_f64 v[19:20], v[21:22], v[11:12]
	v_add_f64 v[11:12], v[17:18], v[13:14]
	s_waitcnt lgkmcnt(4)
	v_add_f64 v[17:18], v[23:24], v[29:30]
	v_xor_b32_e32 v21, 1, v36
	s_waitcnt lgkmcnt(2)
	v_add_f64 v[13:14], v[25:26], v[31:32]
	s_waitcnt lgkmcnt(0)
	v_add_f64 v[15:16], v[27:28], v[34:35]
	v_cmp_gt_i32_e32 vcc_lo, 32, v21
	v_cndmask_b32_e32 v21, v36, v21, vcc_lo
	v_cmp_eq_u32_e32 vcc_lo, 31, v33
	s_delay_alu instid0(VALU_DEP_2)
	v_lshlrev_b32_e32 v24, 2, v21
	ds_bpermute_b32 v31, v24, v9
	ds_bpermute_b32 v32, v24, v10
	;; [unrolled: 1-line block ×12, first 2 shown]
	s_and_b32 exec_lo, exec_lo, vcc_lo
	s_cbranch_execz .LBB129_25
; %bb.21:
	v_cmp_eq_f64_e32 vcc_lo, 0, v[4:5]
	v_cmp_eq_f64_e64 s0, 0, v[6:7]
	s_waitcnt lgkmcnt(10)
	v_add_f64 v[9:10], v[9:10], v[31:32]
	s_waitcnt lgkmcnt(8)
	v_add_f64 v[19:20], v[19:20], v[29:30]
	;; [unrolled: 2-line block ×6, first 2 shown]
	s_load_b64 s[2:3], s[2:3], 0x48
	s_and_b32 s0, vcc_lo, s0
	s_delay_alu instid0(SALU_CYCLE_1) | instskip(NEXT) | instid1(SALU_CYCLE_1)
	s_and_saveexec_b32 s1, s0
	s_xor_b32 s0, exec_lo, s1
	s_cbranch_execz .LBB129_23
; %bb.22:
	v_mul_f64 v[4:5], v[19:20], -v[2:3]
	v_mul_f64 v[6:7], v[0:1], v[19:20]
	v_mul_f64 v[19:20], v[17:18], -v[2:3]
	v_mul_f64 v[17:18], v[0:1], v[17:18]
	;; [unrolled: 2-line block ×3, first 2 shown]
	v_fma_f64 v[4:5], v[0:1], v[9:10], v[4:5]
	v_fma_f64 v[6:7], v[2:3], v[9:10], v[6:7]
	;; [unrolled: 1-line block ×6, first 2 shown]
	v_lshl_add_u32 v13, v8, 1, v8
                                        ; implicit-def: $vgpr8
                                        ; implicit-def: $vgpr19_vgpr20
                                        ; implicit-def: $vgpr17_vgpr18
                                        ; implicit-def: $vgpr15_vgpr16
	s_delay_alu instid0(VALU_DEP_1) | instskip(NEXT) | instid1(VALU_DEP_1)
	v_ashrrev_i32_e32 v14, 31, v13
	v_lshlrev_b64 v[13:14], 4, v[13:14]
	s_waitcnt lgkmcnt(0)
	s_delay_alu instid0(VALU_DEP_1) | instskip(NEXT) | instid1(VALU_DEP_2)
	v_add_co_u32 v13, vcc_lo, s2, v13
	v_add_co_ci_u32_e32 v14, vcc_lo, s3, v14, vcc_lo
	s_clause 0x2
	global_store_b128 v[13:14], v[4:7], off
	global_store_b128 v[13:14], v[9:12], off offset:16
	global_store_b128 v[13:14], v[0:3], off offset:32
                                        ; implicit-def: $vgpr0_vgpr1
                                        ; implicit-def: $vgpr2_vgpr3
                                        ; implicit-def: $vgpr4_vgpr5
                                        ; implicit-def: $vgpr6_vgpr7
                                        ; implicit-def: $vgpr9_vgpr10
                                        ; implicit-def: $vgpr11_vgpr12
                                        ; implicit-def: $vgpr13_vgpr14
.LBB129_23:
	s_and_not1_saveexec_b32 s0, s0
	s_cbranch_execz .LBB129_25
; %bb.24:
	v_lshl_add_u32 v21, v8, 1, v8
	v_mul_f64 v[35:36], v[19:20], -v[2:3]
	v_mul_f64 v[19:20], v[0:1], v[19:20]
	v_mul_f64 v[37:38], v[17:18], -v[2:3]
	v_mul_f64 v[17:18], v[0:1], v[17:18]
	v_ashrrev_i32_e32 v22, 31, v21
	v_mul_f64 v[39:40], v[15:16], -v[2:3]
	v_mul_f64 v[15:16], v[0:1], v[15:16]
	s_delay_alu instid0(VALU_DEP_3) | instskip(SKIP_1) | instid1(VALU_DEP_1)
	v_lshlrev_b64 v[21:22], 4, v[21:22]
	s_waitcnt lgkmcnt(0)
	v_add_co_u32 v33, vcc_lo, s2, v21
	s_delay_alu instid0(VALU_DEP_2)
	v_add_co_ci_u32_e32 v34, vcc_lo, s3, v22, vcc_lo
	s_clause 0x2
	global_load_b128 v[21:24], v[33:34], off
	global_load_b128 v[25:28], v[33:34], off offset:16
	global_load_b128 v[29:32], v[33:34], off offset:32
	v_fma_f64 v[35:36], v[0:1], v[9:10], v[35:36]
	v_fma_f64 v[8:9], v[2:3], v[9:10], v[19:20]
	;; [unrolled: 1-line block ×6, first 2 shown]
	s_waitcnt vmcnt(2)
	v_fma_f64 v[12:13], v[4:5], v[21:22], v[35:36]
	v_fma_f64 v[8:9], v[6:7], v[21:22], v[8:9]
	s_waitcnt vmcnt(1)
	v_fma_f64 v[14:15], v[4:5], v[25:26], v[19:20]
	v_fma_f64 v[10:11], v[6:7], v[25:26], v[10:11]
	;; [unrolled: 3-line block ×3, first 2 shown]
	v_fma_f64 v[0:1], -v[6:7], v[23:24], v[12:13]
	v_fma_f64 v[2:3], v[4:5], v[23:24], v[8:9]
	v_fma_f64 v[8:9], -v[6:7], v[27:28], v[14:15]
	v_fma_f64 v[10:11], v[4:5], v[27:28], v[10:11]
	;; [unrolled: 2-line block ×3, first 2 shown]
	s_clause 0x2
	global_store_b128 v[33:34], v[0:3], off
	global_store_b128 v[33:34], v[8:11], off offset:16
	global_store_b128 v[33:34], v[12:15], off offset:32
.LBB129_25:
	s_nop 0
	s_sendmsg sendmsg(MSG_DEALLOC_VGPRS)
	s_endpgm
	.section	.rodata,"a",@progbits
	.p2align	6, 0x0
	.amdhsa_kernel _ZN9rocsparseL19gebsrmvn_3xn_kernelILj128ELj5ELj32E21rocsparse_complex_numIdEEEvi20rocsparse_direction_NS_24const_host_device_scalarIT2_EEPKiS8_PKS5_SA_S6_PS5_21rocsparse_index_base_b
		.amdhsa_group_segment_fixed_size 2048
		.amdhsa_private_segment_fixed_size 0
		.amdhsa_kernarg_size 88
		.amdhsa_user_sgpr_count 15
		.amdhsa_user_sgpr_dispatch_ptr 1
		.amdhsa_user_sgpr_queue_ptr 0
		.amdhsa_user_sgpr_kernarg_segment_ptr 1
		.amdhsa_user_sgpr_dispatch_id 0
		.amdhsa_user_sgpr_private_segment_size 0
		.amdhsa_wavefront_size32 1
		.amdhsa_uses_dynamic_stack 0
		.amdhsa_enable_private_segment 0
		.amdhsa_system_sgpr_workgroup_id_x 1
		.amdhsa_system_sgpr_workgroup_id_y 0
		.amdhsa_system_sgpr_workgroup_id_z 0
		.amdhsa_system_sgpr_workgroup_info 0
		.amdhsa_system_vgpr_workitem_id 2
		.amdhsa_next_free_vgpr 110
		.amdhsa_next_free_sgpr 18
		.amdhsa_reserve_vcc 1
		.amdhsa_float_round_mode_32 0
		.amdhsa_float_round_mode_16_64 0
		.amdhsa_float_denorm_mode_32 3
		.amdhsa_float_denorm_mode_16_64 3
		.amdhsa_dx10_clamp 1
		.amdhsa_ieee_mode 1
		.amdhsa_fp16_overflow 0
		.amdhsa_workgroup_processor_mode 1
		.amdhsa_memory_ordered 1
		.amdhsa_forward_progress 0
		.amdhsa_shared_vgpr_count 0
		.amdhsa_exception_fp_ieee_invalid_op 0
		.amdhsa_exception_fp_denorm_src 0
		.amdhsa_exception_fp_ieee_div_zero 0
		.amdhsa_exception_fp_ieee_overflow 0
		.amdhsa_exception_fp_ieee_underflow 0
		.amdhsa_exception_fp_ieee_inexact 0
		.amdhsa_exception_int_div_zero 0
	.end_amdhsa_kernel
	.section	.text._ZN9rocsparseL19gebsrmvn_3xn_kernelILj128ELj5ELj32E21rocsparse_complex_numIdEEEvi20rocsparse_direction_NS_24const_host_device_scalarIT2_EEPKiS8_PKS5_SA_S6_PS5_21rocsparse_index_base_b,"axG",@progbits,_ZN9rocsparseL19gebsrmvn_3xn_kernelILj128ELj5ELj32E21rocsparse_complex_numIdEEEvi20rocsparse_direction_NS_24const_host_device_scalarIT2_EEPKiS8_PKS5_SA_S6_PS5_21rocsparse_index_base_b,comdat
.Lfunc_end129:
	.size	_ZN9rocsparseL19gebsrmvn_3xn_kernelILj128ELj5ELj32E21rocsparse_complex_numIdEEEvi20rocsparse_direction_NS_24const_host_device_scalarIT2_EEPKiS8_PKS5_SA_S6_PS5_21rocsparse_index_base_b, .Lfunc_end129-_ZN9rocsparseL19gebsrmvn_3xn_kernelILj128ELj5ELj32E21rocsparse_complex_numIdEEEvi20rocsparse_direction_NS_24const_host_device_scalarIT2_EEPKiS8_PKS5_SA_S6_PS5_21rocsparse_index_base_b
                                        ; -- End function
	.section	.AMDGPU.csdata,"",@progbits
; Kernel info:
; codeLenInByte = 4928
; NumSgprs: 20
; NumVgprs: 110
; ScratchSize: 0
; MemoryBound: 0
; FloatMode: 240
; IeeeMode: 1
; LDSByteSize: 2048 bytes/workgroup (compile time only)
; SGPRBlocks: 2
; VGPRBlocks: 13
; NumSGPRsForWavesPerEU: 20
; NumVGPRsForWavesPerEU: 110
; Occupancy: 12
; WaveLimiterHint : 1
; COMPUTE_PGM_RSRC2:SCRATCH_EN: 0
; COMPUTE_PGM_RSRC2:USER_SGPR: 15
; COMPUTE_PGM_RSRC2:TRAP_HANDLER: 0
; COMPUTE_PGM_RSRC2:TGID_X_EN: 1
; COMPUTE_PGM_RSRC2:TGID_Y_EN: 0
; COMPUTE_PGM_RSRC2:TGID_Z_EN: 0
; COMPUTE_PGM_RSRC2:TIDIG_COMP_CNT: 2
	.section	.text._ZN9rocsparseL19gebsrmvn_3xn_kernelILj128ELj5ELj64E21rocsparse_complex_numIdEEEvi20rocsparse_direction_NS_24const_host_device_scalarIT2_EEPKiS8_PKS5_SA_S6_PS5_21rocsparse_index_base_b,"axG",@progbits,_ZN9rocsparseL19gebsrmvn_3xn_kernelILj128ELj5ELj64E21rocsparse_complex_numIdEEEvi20rocsparse_direction_NS_24const_host_device_scalarIT2_EEPKiS8_PKS5_SA_S6_PS5_21rocsparse_index_base_b,comdat
	.globl	_ZN9rocsparseL19gebsrmvn_3xn_kernelILj128ELj5ELj64E21rocsparse_complex_numIdEEEvi20rocsparse_direction_NS_24const_host_device_scalarIT2_EEPKiS8_PKS5_SA_S6_PS5_21rocsparse_index_base_b ; -- Begin function _ZN9rocsparseL19gebsrmvn_3xn_kernelILj128ELj5ELj64E21rocsparse_complex_numIdEEEvi20rocsparse_direction_NS_24const_host_device_scalarIT2_EEPKiS8_PKS5_SA_S6_PS5_21rocsparse_index_base_b
	.p2align	8
	.type	_ZN9rocsparseL19gebsrmvn_3xn_kernelILj128ELj5ELj64E21rocsparse_complex_numIdEEEvi20rocsparse_direction_NS_24const_host_device_scalarIT2_EEPKiS8_PKS5_SA_S6_PS5_21rocsparse_index_base_b,@function
_ZN9rocsparseL19gebsrmvn_3xn_kernelILj128ELj5ELj64E21rocsparse_complex_numIdEEEvi20rocsparse_direction_NS_24const_host_device_scalarIT2_EEPKiS8_PKS5_SA_S6_PS5_21rocsparse_index_base_b: ; @_ZN9rocsparseL19gebsrmvn_3xn_kernelILj128ELj5ELj64E21rocsparse_complex_numIdEEEvi20rocsparse_direction_NS_24const_host_device_scalarIT2_EEPKiS8_PKS5_SA_S6_PS5_21rocsparse_index_base_b
; %bb.0:
	s_load_b64 s[12:13], s[2:3], 0x50
	s_load_b64 s[16:17], s[0:1], 0x4
	s_load_b128 s[8:11], s[2:3], 0x8
	v_bfe_u32 v1, v0, 10, 10
	s_mov_b64 s[0:1], src_shared_base
	s_load_b128 s[4:7], s[2:3], 0x38
	v_and_b32_e32 v10, 0x3ff, v0
	v_bfe_u32 v0, v0, 20, 10
	s_waitcnt lgkmcnt(0)
	s_bitcmp1_b32 s13, 0
	v_mul_u32_u24_e32 v1, s17, v1
	s_cselect_b32 s0, -1, 0
	s_delay_alu instid0(SALU_CYCLE_1)
	s_and_b32 vcc_lo, s0, exec_lo
	s_cselect_b32 s13, s1, s9
	s_lshr_b32 s14, s16, 16
	v_dual_mov_b32 v2, s4 :: v_dual_mov_b32 v3, s5
	s_mul_i32 s14, s14, s17
	v_mov_b32_e32 v6, s13
	v_mad_u32_u24 v1, s14, v10, v1
	s_delay_alu instid0(VALU_DEP_1) | instskip(SKIP_1) | instid1(VALU_DEP_2)
	v_add_lshl_u32 v4, v1, v0, 3
	v_dual_mov_b32 v0, s8 :: v_dual_mov_b32 v1, s9
	v_add_nc_u32_e32 v5, 0x400, v4
	ds_store_2addr_stride64_b64 v4, v[2:3], v[0:1] offset1:2
	v_dual_mov_b32 v2, s10 :: v_dual_mov_b32 v3, s11
	v_cndmask_b32_e64 v5, s8, v5, s0
	s_xor_b32 s10, s0, -1
	flat_load_b64 v[0:1], v[5:6]
	s_cbranch_vccnz .LBB130_2
; %bb.1:
	v_dual_mov_b32 v2, s8 :: v_dual_mov_b32 v3, s9
	flat_load_b64 v[2:3], v[2:3] offset:8
.LBB130_2:
	s_and_b32 s8, s0, exec_lo
	s_cselect_b32 s1, s1, s5
	v_cndmask_b32_e64 v4, s4, v4, s0
	v_dual_mov_b32 v5, s1 :: v_dual_mov_b32 v6, s6
	v_mov_b32_e32 v7, s7
	s_and_not1_b32 vcc_lo, exec_lo, s10
	flat_load_b64 v[4:5], v[4:5]
	s_cbranch_vccnz .LBB130_4
; %bb.3:
	v_dual_mov_b32 v7, s5 :: v_dual_mov_b32 v6, s4
	flat_load_b64 v[6:7], v[6:7] offset:8
.LBB130_4:
	s_waitcnt vmcnt(1) lgkmcnt(1)
	v_cmp_eq_f64_e32 vcc_lo, 0, v[0:1]
	v_cmp_eq_f64_e64 s0, 0, v[2:3]
	s_delay_alu instid0(VALU_DEP_1)
	s_and_b32 s4, vcc_lo, s0
	s_mov_b32 s0, -1
	s_and_saveexec_b32 s1, s4
	s_cbranch_execz .LBB130_6
; %bb.5:
	s_waitcnt vmcnt(0) lgkmcnt(0)
	v_cmp_neq_f64_e32 vcc_lo, 1.0, v[4:5]
	v_cmp_neq_f64_e64 s0, 0, v[6:7]
	s_delay_alu instid0(VALU_DEP_1) | instskip(NEXT) | instid1(SALU_CYCLE_1)
	s_or_b32 s0, vcc_lo, s0
	s_or_not1_b32 s0, s0, exec_lo
.LBB130_6:
	s_or_b32 exec_lo, exec_lo, s1
	s_and_saveexec_b32 s1, s0
	s_cbranch_execz .LBB130_25
; %bb.7:
	s_load_b64 s[0:1], s[2:3], 0x0
	v_lshrrev_b32_e32 v8, 6, v10
	s_delay_alu instid0(VALU_DEP_1) | instskip(SKIP_1) | instid1(VALU_DEP_1)
	v_lshl_or_b32 v8, s15, 1, v8
	s_waitcnt lgkmcnt(0)
	v_cmp_gt_i32_e32 vcc_lo, s0, v8
	s_and_b32 exec_lo, exec_lo, vcc_lo
	s_cbranch_execz .LBB130_25
; %bb.8:
	s_load_b256 s[4:11], s[2:3], 0x18
	v_ashrrev_i32_e32 v9, 31, v8
	v_and_b32_e32 v33, 63, v10
	s_cmp_lg_u32 s1, 0
	s_delay_alu instid0(VALU_DEP_2) | instskip(SKIP_1) | instid1(VALU_DEP_1)
	v_lshlrev_b64 v[11:12], 2, v[8:9]
	s_waitcnt lgkmcnt(0)
	v_add_co_u32 v11, vcc_lo, s4, v11
	s_delay_alu instid0(VALU_DEP_2) | instskip(SKIP_4) | instid1(VALU_DEP_2)
	v_add_co_ci_u32_e32 v12, vcc_lo, s5, v12, vcc_lo
	global_load_b64 v[11:12], v[11:12], off
	s_waitcnt vmcnt(0)
	v_subrev_nc_u32_e32 v9, s12, v11
	v_subrev_nc_u32_e32 v27, s12, v12
	v_add_nc_u32_e32 v21, v9, v33
	s_delay_alu instid0(VALU_DEP_1)
	v_cmp_lt_i32_e64 s0, v21, v27
	s_cbranch_scc0 .LBB130_14
; %bb.9:
	v_mov_b32_e32 v9, 0
	v_mov_b32_e32 v10, 0
	s_delay_alu instid0(VALU_DEP_1)
	v_dual_mov_b32 v16, v10 :: v_dual_mov_b32 v15, v9
	v_dual_mov_b32 v12, v10 :: v_dual_mov_b32 v11, v9
	;; [unrolled: 1-line block ×5, first 2 shown]
	s_and_saveexec_b32 s1, s0
	s_cbranch_execz .LBB130_13
; %bb.10:
	v_dual_mov_b32 v9, 0 :: v_dual_mov_b32 v24, 0
	v_dual_mov_b32 v10, 0 :: v_dual_mov_b32 v25, v21
	v_mad_u64_u32 v[22:23], null, v21, 15, 14
	s_mov_b32 s4, 0
	s_delay_alu instid0(VALU_DEP_2)
	v_dual_mov_b32 v16, v10 :: v_dual_mov_b32 v15, v9
	v_dual_mov_b32 v12, v10 :: v_dual_mov_b32 v11, v9
	;; [unrolled: 1-line block ×5, first 2 shown]
.LBB130_11:                             ; =>This Inner Loop Header: Depth=1
	v_ashrrev_i32_e32 v26, 31, v25
	v_add_nc_u32_e32 v23, -14, v22
	v_mov_b32_e32 v99, v24
	s_delay_alu instid0(VALU_DEP_3) | instskip(SKIP_1) | instid1(VALU_DEP_2)
	v_lshlrev_b64 v[28:29], 2, v[25:26]
	v_add_nc_u32_e32 v25, 64, v25
	v_add_co_u32 v28, vcc_lo, s6, v28
	s_delay_alu instid0(VALU_DEP_3) | instskip(SKIP_3) | instid1(VALU_DEP_1)
	v_add_co_ci_u32_e32 v29, vcc_lo, s7, v29, vcc_lo
	global_load_b32 v26, v[28:29], off
	v_lshlrev_b64 v[28:29], 4, v[23:24]
	v_add_nc_u32_e32 v23, -13, v22
	v_lshlrev_b64 v[34:35], 4, v[23:24]
	v_add_nc_u32_e32 v23, -12, v22
	s_delay_alu instid0(VALU_DEP_4) | instskip(SKIP_1) | instid1(VALU_DEP_3)
	v_add_co_u32 v28, vcc_lo, s8, v28
	v_add_co_ci_u32_e32 v29, vcc_lo, s9, v29, vcc_lo
	v_lshlrev_b64 v[36:37], 4, v[23:24]
	v_add_co_u32 v34, vcc_lo, s8, v34
	v_add_co_ci_u32_e32 v35, vcc_lo, s9, v35, vcc_lo
	global_load_b128 v[28:31], v[28:29], off
	v_add_co_u32 v38, vcc_lo, s8, v36
	v_add_co_ci_u32_e32 v39, vcc_lo, s9, v37, vcc_lo
	s_clause 0x1
	global_load_b128 v[34:37], v[34:35], off
	global_load_b128 v[38:41], v[38:39], off
	s_waitcnt vmcnt(3)
	v_subrev_nc_u32_e32 v23, s12, v26
	s_delay_alu instid0(VALU_DEP_1) | instskip(SKIP_1) | instid1(VALU_DEP_2)
	v_lshl_add_u32 v98, v23, 2, v23
	v_add_nc_u32_e32 v23, -11, v22
	v_lshlrev_b64 v[42:43], 4, v[98:99]
	s_delay_alu instid0(VALU_DEP_2) | instskip(SKIP_1) | instid1(VALU_DEP_3)
	v_lshlrev_b64 v[46:47], 4, v[23:24]
	v_add_nc_u32_e32 v23, 1, v98
	v_add_co_u32 v42, vcc_lo, s10, v42
	s_delay_alu instid0(VALU_DEP_4) | instskip(NEXT) | instid1(VALU_DEP_3)
	v_add_co_ci_u32_e32 v43, vcc_lo, s11, v43, vcc_lo
	v_lshlrev_b64 v[50:51], 4, v[23:24]
	v_add_nc_u32_e32 v23, -10, v22
	v_add_co_u32 v46, vcc_lo, s8, v46
	global_load_b128 v[42:45], v[42:43], off
	v_add_co_ci_u32_e32 v47, vcc_lo, s9, v47, vcc_lo
	v_lshlrev_b64 v[52:53], 4, v[23:24]
	v_add_nc_u32_e32 v23, -9, v22
	v_add_co_u32 v50, vcc_lo, s10, v50
	v_add_co_ci_u32_e32 v51, vcc_lo, s11, v51, vcc_lo
	s_delay_alu instid0(VALU_DEP_3)
	v_lshlrev_b64 v[54:55], 4, v[23:24]
	v_add_co_u32 v56, vcc_lo, s8, v52
	v_add_co_ci_u32_e32 v57, vcc_lo, s9, v53, vcc_lo
	global_load_b128 v[46:49], v[46:47], off
	v_add_co_u32 v58, vcc_lo, s8, v54
	v_add_co_ci_u32_e32 v59, vcc_lo, s9, v55, vcc_lo
	global_load_b128 v[50:53], v[50:51], off
	s_clause 0x1
	global_load_b128 v[54:57], v[56:57], off
	global_load_b128 v[58:61], v[58:59], off
	v_add_nc_u32_e32 v23, -8, v22
	s_delay_alu instid0(VALU_DEP_1) | instskip(SKIP_1) | instid1(VALU_DEP_1)
	v_lshlrev_b64 v[62:63], 4, v[23:24]
	v_add_nc_u32_e32 v23, 2, v98
	v_lshlrev_b64 v[66:67], 4, v[23:24]
	v_add_nc_u32_e32 v23, -7, v22
	s_delay_alu instid0(VALU_DEP_4) | instskip(SKIP_1) | instid1(VALU_DEP_3)
	v_add_co_u32 v62, vcc_lo, s8, v62
	v_add_co_ci_u32_e32 v63, vcc_lo, s9, v63, vcc_lo
	v_lshlrev_b64 v[68:69], 4, v[23:24]
	v_add_nc_u32_e32 v23, -6, v22
	v_add_co_u32 v66, vcc_lo, s10, v66
	v_add_co_ci_u32_e32 v67, vcc_lo, s11, v67, vcc_lo
	s_delay_alu instid0(VALU_DEP_3)
	v_lshlrev_b64 v[70:71], 4, v[23:24]
	v_add_co_u32 v72, vcc_lo, s8, v68
	v_add_co_ci_u32_e32 v73, vcc_lo, s9, v69, vcc_lo
	global_load_b128 v[62:65], v[62:63], off
	v_add_co_u32 v74, vcc_lo, s8, v70
	v_add_co_ci_u32_e32 v75, vcc_lo, s9, v71, vcc_lo
	global_load_b128 v[66:69], v[66:67], off
	s_clause 0x1
	global_load_b128 v[70:73], v[72:73], off
	global_load_b128 v[74:77], v[74:75], off
	v_add_nc_u32_e32 v23, -5, v22
	s_delay_alu instid0(VALU_DEP_1) | instskip(SKIP_1) | instid1(VALU_DEP_1)
	v_lshlrev_b64 v[78:79], 4, v[23:24]
	v_add_nc_u32_e32 v23, 3, v98
	v_lshlrev_b64 v[82:83], 4, v[23:24]
	v_add_nc_u32_e32 v23, -4, v22
	s_delay_alu instid0(VALU_DEP_4) | instskip(SKIP_1) | instid1(VALU_DEP_3)
	v_add_co_u32 v78, vcc_lo, s8, v78
	v_add_co_ci_u32_e32 v79, vcc_lo, s9, v79, vcc_lo
	v_lshlrev_b64 v[84:85], 4, v[23:24]
	v_add_nc_u32_e32 v23, -3, v22
	v_add_co_u32 v82, vcc_lo, s10, v82
	v_add_co_ci_u32_e32 v83, vcc_lo, s11, v83, vcc_lo
	s_delay_alu instid0(VALU_DEP_3)
	v_lshlrev_b64 v[86:87], 4, v[23:24]
	v_add_co_u32 v88, vcc_lo, s8, v84
	v_add_co_ci_u32_e32 v89, vcc_lo, s9, v85, vcc_lo
	global_load_b128 v[78:81], v[78:79], off
	v_add_co_u32 v90, vcc_lo, s8, v86
	v_add_co_ci_u32_e32 v91, vcc_lo, s9, v87, vcc_lo
	global_load_b128 v[82:85], v[82:83], off
	s_clause 0x1
	global_load_b128 v[86:89], v[88:89], off
	global_load_b128 v[90:93], v[90:91], off
	v_mov_b32_e32 v23, v24
	s_delay_alu instid0(VALU_DEP_1) | instskip(SKIP_1) | instid1(VALU_DEP_1)
	v_lshlrev_b64 v[94:95], 4, v[22:23]
	v_add_nc_u32_e32 v23, -2, v22
	v_lshlrev_b64 v[99:100], 4, v[23:24]
	v_add_nc_u32_e32 v23, 4, v98
	s_delay_alu instid0(VALU_DEP_4) | instskip(SKIP_1) | instid1(VALU_DEP_3)
	v_add_co_u32 v94, vcc_lo, s8, v94
	v_add_co_ci_u32_e32 v95, vcc_lo, s9, v95, vcc_lo
	v_lshlrev_b64 v[102:103], 4, v[23:24]
	v_add_nc_u32_e32 v23, -1, v22
	v_add_nc_u32_e32 v22, 0x3c0, v22
	v_add_co_u32 v98, vcc_lo, s8, v99
	v_add_co_ci_u32_e32 v99, vcc_lo, s9, v100, vcc_lo
	s_delay_alu instid0(VALU_DEP_4)
	v_lshlrev_b64 v[104:105], 4, v[23:24]
	v_add_co_u32 v102, vcc_lo, s10, v102
	v_add_co_ci_u32_e32 v103, vcc_lo, s11, v103, vcc_lo
	s_clause 0x1
	global_load_b128 v[94:97], v[94:95], off
	global_load_b128 v[98:101], v[98:99], off
	v_add_co_u32 v106, vcc_lo, s8, v104
	v_add_co_ci_u32_e32 v107, vcc_lo, s9, v105, vcc_lo
	global_load_b128 v[102:105], v[102:103], off
	global_load_b128 v[106:109], v[106:107], off
	v_cmp_ge_i32_e32 vcc_lo, v25, v27
	s_or_b32 s4, vcc_lo, s4
	s_waitcnt vmcnt(16)
	v_fma_f64 v[15:16], v[28:29], v[42:43], v[15:16]
	v_fma_f64 v[9:10], v[30:31], v[42:43], v[9:10]
	;; [unrolled: 1-line block ×6, first 2 shown]
	v_fma_f64 v[15:16], -v[30:31], v[44:45], v[15:16]
	v_fma_f64 v[9:10], v[28:29], v[44:45], v[9:10]
	v_fma_f64 v[17:18], -v[36:37], v[44:45], v[17:18]
	v_fma_f64 v[19:20], v[34:35], v[44:45], v[19:20]
	v_fma_f64 v[11:12], -v[40:41], v[44:45], v[11:12]
	v_fma_f64 v[13:14], v[38:39], v[44:45], v[13:14]
	s_waitcnt vmcnt(14)
	v_fma_f64 v[15:16], v[46:47], v[50:51], v[15:16]
	v_fma_f64 v[9:10], v[48:49], v[50:51], v[9:10]
	s_waitcnt vmcnt(13)
	v_fma_f64 v[17:18], v[54:55], v[50:51], v[17:18]
	v_fma_f64 v[19:20], v[56:57], v[50:51], v[19:20]
	s_waitcnt vmcnt(12)
	v_fma_f64 v[11:12], v[58:59], v[50:51], v[11:12]
	v_fma_f64 v[13:14], v[60:61], v[50:51], v[13:14]
	v_fma_f64 v[15:16], -v[48:49], v[52:53], v[15:16]
	v_fma_f64 v[9:10], v[46:47], v[52:53], v[9:10]
	v_fma_f64 v[17:18], -v[56:57], v[52:53], v[17:18]
	v_fma_f64 v[19:20], v[54:55], v[52:53], v[19:20]
	v_fma_f64 v[11:12], -v[60:61], v[52:53], v[11:12]
	v_fma_f64 v[13:14], v[58:59], v[52:53], v[13:14]
	s_waitcnt vmcnt(10)
	v_fma_f64 v[15:16], v[62:63], v[66:67], v[15:16]
	v_fma_f64 v[9:10], v[64:65], v[66:67], v[9:10]
	s_waitcnt vmcnt(9)
	v_fma_f64 v[17:18], v[70:71], v[66:67], v[17:18]
	v_fma_f64 v[19:20], v[72:73], v[66:67], v[19:20]
	s_waitcnt vmcnt(8)
	v_fma_f64 v[11:12], v[74:75], v[66:67], v[11:12]
	v_fma_f64 v[13:14], v[76:77], v[66:67], v[13:14]
	;; [unrolled: 15-line block ×3, first 2 shown]
	v_fma_f64 v[15:16], -v[80:81], v[84:85], v[15:16]
	v_fma_f64 v[9:10], v[78:79], v[84:85], v[9:10]
	v_fma_f64 v[17:18], -v[88:89], v[84:85], v[17:18]
	v_fma_f64 v[19:20], v[86:87], v[84:85], v[19:20]
	;; [unrolled: 2-line block ×3, first 2 shown]
	s_waitcnt vmcnt(1)
	v_fma_f64 v[15:16], v[98:99], v[102:103], v[15:16]
	v_fma_f64 v[9:10], v[100:101], v[102:103], v[9:10]
	s_waitcnt vmcnt(0)
	v_fma_f64 v[17:18], v[106:107], v[102:103], v[17:18]
	v_fma_f64 v[19:20], v[108:109], v[102:103], v[19:20]
	;; [unrolled: 1-line block ×4, first 2 shown]
	v_fma_f64 v[15:16], -v[100:101], v[104:105], v[15:16]
	v_fma_f64 v[9:10], v[98:99], v[104:105], v[9:10]
	v_fma_f64 v[17:18], -v[108:109], v[104:105], v[17:18]
	v_fma_f64 v[19:20], v[106:107], v[104:105], v[19:20]
	;; [unrolled: 2-line block ×3, first 2 shown]
	s_and_not1_b32 exec_lo, exec_lo, s4
	s_cbranch_execnz .LBB130_11
; %bb.12:
	s_or_b32 exec_lo, exec_lo, s4
.LBB130_13:
	s_delay_alu instid0(SALU_CYCLE_1)
	s_or_b32 exec_lo, exec_lo, s1
	s_cbranch_execz .LBB130_15
	s_branch .LBB130_20
.LBB130_14:
                                        ; implicit-def: $vgpr9_vgpr10
                                        ; implicit-def: $vgpr15_vgpr16
                                        ; implicit-def: $vgpr11_vgpr12
                                        ; implicit-def: $vgpr13_vgpr14
                                        ; implicit-def: $vgpr17_vgpr18
                                        ; implicit-def: $vgpr19_vgpr20
.LBB130_15:
	v_mov_b32_e32 v9, 0
	v_mov_b32_e32 v10, 0
	s_delay_alu instid0(VALU_DEP_1)
	v_dual_mov_b32 v16, v10 :: v_dual_mov_b32 v15, v9
	v_dual_mov_b32 v12, v10 :: v_dual_mov_b32 v11, v9
	v_dual_mov_b32 v14, v10 :: v_dual_mov_b32 v13, v9
	v_dual_mov_b32 v18, v10 :: v_dual_mov_b32 v17, v9
	v_dual_mov_b32 v20, v10 :: v_dual_mov_b32 v19, v9
	s_and_saveexec_b32 s1, s0
	s_cbranch_execz .LBB130_19
; %bb.16:
	v_dual_mov_b32 v9, 0 :: v_dual_mov_b32 v26, 0
	v_mov_b32_e32 v10, 0
	v_mad_u64_u32 v[23:24], null, v21, 15, 14
	s_mov_b32 s0, 0
	s_delay_alu instid0(VALU_DEP_2)
	v_dual_mov_b32 v16, v10 :: v_dual_mov_b32 v15, v9
	v_dual_mov_b32 v12, v10 :: v_dual_mov_b32 v11, v9
	;; [unrolled: 1-line block ×5, first 2 shown]
.LBB130_17:                             ; =>This Inner Loop Header: Depth=1
	v_ashrrev_i32_e32 v22, 31, v21
	v_dual_mov_b32 v29, v26 :: v_dual_add_nc_u32 v28, -9, v23
	v_dual_mov_b32 v91, v26 :: v_dual_add_nc_u32 v30, -4, v23
	s_delay_alu instid0(VALU_DEP_3) | instskip(SKIP_1) | instid1(VALU_DEP_4)
	v_lshlrev_b64 v[24:25], 2, v[21:22]
	v_mov_b32_e32 v31, v26
	v_lshlrev_b64 v[28:29], 4, v[28:29]
	v_add_nc_u32_e32 v21, 64, v21
	s_delay_alu instid0(VALU_DEP_3) | instskip(SKIP_4) | instid1(VALU_DEP_1)
	v_lshlrev_b64 v[30:31], 4, v[30:31]
	v_add_co_u32 v24, vcc_lo, s6, v24
	v_add_co_ci_u32_e32 v25, vcc_lo, s7, v25, vcc_lo
	global_load_b32 v22, v[24:25], off
	v_add_nc_u32_e32 v25, -14, v23
	v_lshlrev_b64 v[24:25], 4, v[25:26]
	s_delay_alu instid0(VALU_DEP_1) | instskip(NEXT) | instid1(VALU_DEP_2)
	v_add_co_u32 v24, vcc_lo, s8, v24
	v_add_co_ci_u32_e32 v25, vcc_lo, s9, v25, vcc_lo
	v_add_co_u32 v34, vcc_lo, s8, v28
	v_add_co_ci_u32_e32 v35, vcc_lo, s9, v29, vcc_lo
	;; [unrolled: 2-line block ×3, first 2 shown]
	s_clause 0x2
	global_load_b128 v[28:31], v[24:25], off
	global_load_b128 v[34:37], v[34:35], off
	;; [unrolled: 1-line block ×3, first 2 shown]
	s_waitcnt vmcnt(3)
	v_subrev_nc_u32_e32 v22, s12, v22
	s_delay_alu instid0(VALU_DEP_1) | instskip(NEXT) | instid1(VALU_DEP_1)
	v_lshl_add_u32 v90, v22, 2, v22
	v_lshlrev_b64 v[24:25], 4, v[90:91]
	s_delay_alu instid0(VALU_DEP_1) | instskip(NEXT) | instid1(VALU_DEP_2)
	v_add_co_u32 v24, vcc_lo, s10, v24
	v_add_co_ci_u32_e32 v25, vcc_lo, s11, v25, vcc_lo
	global_load_b128 v[42:45], v[24:25], off
	v_add_nc_u32_e32 v25, -13, v23
	s_delay_alu instid0(VALU_DEP_1) | instskip(NEXT) | instid1(VALU_DEP_1)
	v_lshlrev_b64 v[24:25], 4, v[25:26]
	v_add_co_u32 v24, vcc_lo, s8, v24
	s_delay_alu instid0(VALU_DEP_2) | instskip(SKIP_2) | instid1(VALU_DEP_1)
	v_add_co_ci_u32_e32 v25, vcc_lo, s9, v25, vcc_lo
	global_load_b128 v[46:49], v[24:25], off
	v_add_nc_u32_e32 v25, 1, v90
	v_lshlrev_b64 v[50:51], 4, v[25:26]
	v_add_nc_u32_e32 v25, -8, v23
	s_delay_alu instid0(VALU_DEP_1) | instskip(SKIP_1) | instid1(VALU_DEP_4)
	v_lshlrev_b64 v[52:53], 4, v[25:26]
	v_add_nc_u32_e32 v25, -3, v23
	v_add_co_u32 v50, vcc_lo, s10, v50
	v_add_co_ci_u32_e32 v51, vcc_lo, s11, v51, vcc_lo
	s_delay_alu instid0(VALU_DEP_3) | instskip(SKIP_2) | instid1(VALU_DEP_3)
	v_lshlrev_b64 v[24:25], 4, v[25:26]
	v_add_co_u32 v54, vcc_lo, s8, v52
	v_add_co_ci_u32_e32 v55, vcc_lo, s9, v53, vcc_lo
	v_add_co_u32 v24, vcc_lo, s8, v24
	s_delay_alu instid0(VALU_DEP_4)
	v_add_co_ci_u32_e32 v25, vcc_lo, s9, v25, vcc_lo
	global_load_b128 v[50:53], v[50:51], off
	s_clause 0x1
	global_load_b128 v[54:57], v[54:55], off
	global_load_b128 v[58:61], v[24:25], off
	v_dual_mov_b32 v24, v26 :: v_dual_add_nc_u32 v25, -12, v23
	s_delay_alu instid0(VALU_DEP_1) | instskip(SKIP_1) | instid1(VALU_DEP_1)
	v_lshlrev_b64 v[62:63], 4, v[25:26]
	v_add_nc_u32_e32 v25, 2, v90
	v_lshlrev_b64 v[64:65], 4, v[25:26]
	v_add_nc_u32_e32 v25, -7, v23
	s_delay_alu instid0(VALU_DEP_4) | instskip(SKIP_1) | instid1(VALU_DEP_3)
	v_add_co_u32 v62, vcc_lo, s8, v62
	v_add_co_ci_u32_e32 v63, vcc_lo, s9, v63, vcc_lo
	v_lshlrev_b64 v[70:71], 4, v[25:26]
	v_add_nc_u32_e32 v25, -2, v23
	v_add_co_u32 v66, vcc_lo, s10, v64
	v_add_co_ci_u32_e32 v67, vcc_lo, s11, v65, vcc_lo
	s_delay_alu instid0(VALU_DEP_3)
	v_lshlrev_b64 v[72:73], 4, v[25:26]
	v_add_co_u32 v70, vcc_lo, s8, v70
	v_add_co_ci_u32_e32 v71, vcc_lo, s9, v71, vcc_lo
	global_load_b128 v[62:65], v[62:63], off
	v_add_co_u32 v74, vcc_lo, s8, v72
	v_add_co_ci_u32_e32 v75, vcc_lo, s9, v73, vcc_lo
	global_load_b128 v[66:69], v[66:67], off
	s_clause 0x1
	global_load_b128 v[70:73], v[70:71], off
	global_load_b128 v[74:77], v[74:75], off
	v_lshlrev_b64 v[24:25], 4, v[23:24]
	s_delay_alu instid0(VALU_DEP_1) | instskip(NEXT) | instid1(VALU_DEP_2)
	v_add_co_u32 v24, vcc_lo, s8, v24
	v_add_co_ci_u32_e32 v25, vcc_lo, s9, v25, vcc_lo
	global_load_b128 v[78:81], v[24:25], off
	v_add_nc_u32_e32 v25, -11, v23
	s_delay_alu instid0(VALU_DEP_1) | instskip(SKIP_1) | instid1(VALU_DEP_1)
	v_lshlrev_b64 v[82:83], 4, v[25:26]
	v_add_nc_u32_e32 v25, 3, v90
	v_lshlrev_b64 v[84:85], 4, v[25:26]
	v_add_nc_u32_e32 v25, -6, v23
	s_delay_alu instid0(VALU_DEP_4) | instskip(SKIP_1) | instid1(VALU_DEP_3)
	v_add_co_u32 v82, vcc_lo, s8, v82
	v_add_co_ci_u32_e32 v83, vcc_lo, s9, v83, vcc_lo
	v_lshlrev_b64 v[86:87], 4, v[25:26]
	v_add_nc_u32_e32 v25, -1, v23
	v_add_co_u32 v88, vcc_lo, s10, v84
	v_add_co_ci_u32_e32 v89, vcc_lo, s11, v85, vcc_lo
	s_delay_alu instid0(VALU_DEP_3) | instskip(SKIP_3) | instid1(VALU_DEP_3)
	v_lshlrev_b64 v[91:92], 4, v[25:26]
	v_add_nc_u32_e32 v25, -10, v23
	v_add_co_u32 v93, vcc_lo, s8, v86
	v_add_co_ci_u32_e32 v94, vcc_lo, s9, v87, vcc_lo
	v_lshlrev_b64 v[95:96], 4, v[25:26]
	v_add_co_u32 v97, vcc_lo, s8, v91
	v_add_co_ci_u32_e32 v98, vcc_lo, s9, v92, vcc_lo
	global_load_b128 v[82:85], v[82:83], off
	v_add_co_u32 v101, vcc_lo, s8, v95
	v_add_co_ci_u32_e32 v102, vcc_lo, s9, v96, vcc_lo
	global_load_b128 v[86:89], v[88:89], off
	v_add_nc_u32_e32 v25, 4, v90
	global_load_b128 v[90:93], v[93:94], off
	v_lshlrev_b64 v[99:100], 4, v[25:26]
	v_add_nc_u32_e32 v25, -5, v23
	v_add_nc_u32_e32 v23, 0x3c0, v23
	s_delay_alu instid0(VALU_DEP_2)
	v_lshlrev_b64 v[24:25], 4, v[25:26]
	s_waitcnt vmcnt(12)
	v_fma_f64 v[15:16], v[28:29], v[42:43], v[15:16]
	v_fma_f64 v[9:10], v[30:31], v[42:43], v[9:10]
	;; [unrolled: 1-line block ×6, first 2 shown]
	v_fma_f64 v[15:16], -v[30:31], v[44:45], v[15:16]
	v_fma_f64 v[9:10], v[28:29], v[44:45], v[9:10]
	s_clause 0x1
	global_load_b128 v[28:31], v[101:102], off
	global_load_b128 v[94:97], v[97:98], off
	v_add_co_u32 v98, vcc_lo, s10, v99
	v_add_co_ci_u32_e32 v99, vcc_lo, s11, v100, vcc_lo
	v_add_co_u32 v24, vcc_lo, s8, v24
	v_add_co_ci_u32_e32 v25, vcc_lo, s9, v25, vcc_lo
	v_fma_f64 v[17:18], -v[36:37], v[44:45], v[17:18]
	v_fma_f64 v[19:20], v[34:35], v[44:45], v[19:20]
	global_load_b128 v[34:37], v[98:99], off
	global_load_b128 v[98:101], v[24:25], off
	v_fma_f64 v[11:12], -v[40:41], v[44:45], v[11:12]
	v_fma_f64 v[13:14], v[38:39], v[44:45], v[13:14]
	v_cmp_ge_i32_e32 vcc_lo, v21, v27
	s_or_b32 s0, vcc_lo, s0
	s_waitcnt vmcnt(14)
	v_fma_f64 v[15:16], v[46:47], v[50:51], v[15:16]
	v_fma_f64 v[9:10], v[48:49], v[50:51], v[9:10]
	s_waitcnt vmcnt(13)
	v_fma_f64 v[17:18], v[54:55], v[50:51], v[17:18]
	v_fma_f64 v[19:20], v[56:57], v[50:51], v[19:20]
	;; [unrolled: 3-line block ×3, first 2 shown]
	v_fma_f64 v[15:16], -v[48:49], v[52:53], v[15:16]
	v_fma_f64 v[9:10], v[46:47], v[52:53], v[9:10]
	v_fma_f64 v[17:18], -v[56:57], v[52:53], v[17:18]
	v_fma_f64 v[19:20], v[54:55], v[52:53], v[19:20]
	;; [unrolled: 2-line block ×3, first 2 shown]
	s_waitcnt vmcnt(10)
	v_fma_f64 v[15:16], v[62:63], v[66:67], v[15:16]
	v_fma_f64 v[9:10], v[64:65], v[66:67], v[9:10]
	s_waitcnt vmcnt(9)
	v_fma_f64 v[17:18], v[70:71], v[66:67], v[17:18]
	v_fma_f64 v[19:20], v[72:73], v[66:67], v[19:20]
	;; [unrolled: 3-line block ×3, first 2 shown]
	v_fma_f64 v[15:16], -v[64:65], v[68:69], v[15:16]
	v_fma_f64 v[9:10], v[62:63], v[68:69], v[9:10]
	v_fma_f64 v[17:18], -v[72:73], v[68:69], v[17:18]
	v_fma_f64 v[19:20], v[70:71], v[68:69], v[19:20]
	;; [unrolled: 2-line block ×3, first 2 shown]
	s_waitcnt vmcnt(5)
	v_fma_f64 v[15:16], v[82:83], v[86:87], v[15:16]
	v_fma_f64 v[9:10], v[84:85], v[86:87], v[9:10]
	s_waitcnt vmcnt(4)
	v_fma_f64 v[17:18], v[90:91], v[86:87], v[17:18]
	v_fma_f64 v[19:20], v[92:93], v[86:87], v[19:20]
	s_delay_alu instid0(VALU_DEP_4) | instskip(NEXT) | instid1(VALU_DEP_4)
	v_fma_f64 v[15:16], -v[84:85], v[88:89], v[15:16]
	v_fma_f64 v[9:10], v[82:83], v[88:89], v[9:10]
	s_delay_alu instid0(VALU_DEP_4) | instskip(NEXT) | instid1(VALU_DEP_4)
	v_fma_f64 v[17:18], -v[92:93], v[88:89], v[17:18]
	v_fma_f64 v[19:20], v[90:91], v[88:89], v[19:20]
	s_waitcnt vmcnt(2)
	v_fma_f64 v[11:12], v[94:95], v[86:87], v[11:12]
	v_fma_f64 v[13:14], v[96:97], v[86:87], v[13:14]
	s_waitcnt vmcnt(1)
	v_fma_f64 v[15:16], v[28:29], v[34:35], v[15:16]
	;; [unrolled: 3-line block ×3, first 2 shown]
	v_fma_f64 v[19:20], v[100:101], v[34:35], v[19:20]
	v_fma_f64 v[11:12], -v[96:97], v[88:89], v[11:12]
	v_fma_f64 v[13:14], v[94:95], v[88:89], v[13:14]
	v_fma_f64 v[15:16], -v[30:31], v[36:37], v[15:16]
	;; [unrolled: 2-line block ×3, first 2 shown]
	v_fma_f64 v[19:20], v[98:99], v[36:37], v[19:20]
	v_fma_f64 v[11:12], v[78:79], v[34:35], v[11:12]
	v_fma_f64 v[13:14], v[80:81], v[34:35], v[13:14]
	s_delay_alu instid0(VALU_DEP_2) | instskip(NEXT) | instid1(VALU_DEP_2)
	v_fma_f64 v[11:12], -v[80:81], v[36:37], v[11:12]
	v_fma_f64 v[13:14], v[78:79], v[36:37], v[13:14]
	s_and_not1_b32 exec_lo, exec_lo, s0
	s_cbranch_execnz .LBB130_17
; %bb.18:
	s_or_b32 exec_lo, exec_lo, s0
.LBB130_19:
	s_delay_alu instid0(SALU_CYCLE_1)
	s_or_b32 exec_lo, exec_lo, s1
.LBB130_20:
	v_mbcnt_lo_u32_b32 v36, -1, 0
	s_delay_alu instid0(VALU_DEP_1) | instskip(NEXT) | instid1(VALU_DEP_1)
	v_or_b32_e32 v21, 32, v36
	v_cmp_gt_i32_e32 vcc_lo, 32, v21
	v_cndmask_b32_e32 v21, v36, v21, vcc_lo
	s_delay_alu instid0(VALU_DEP_1)
	v_lshlrev_b32_e32 v32, 2, v21
	ds_bpermute_b32 v21, v32, v15
	ds_bpermute_b32 v22, v32, v16
	ds_bpermute_b32 v23, v32, v9
	ds_bpermute_b32 v24, v32, v10
	ds_bpermute_b32 v25, v32, v17
	ds_bpermute_b32 v26, v32, v18
	ds_bpermute_b32 v27, v32, v19
	ds_bpermute_b32 v28, v32, v20
	ds_bpermute_b32 v29, v32, v11
	ds_bpermute_b32 v30, v32, v12
	ds_bpermute_b32 v31, v32, v13
	ds_bpermute_b32 v32, v32, v14
	s_waitcnt lgkmcnt(10)
	v_add_f64 v[15:16], v[15:16], v[21:22]
	v_xor_b32_e32 v21, 16, v36
	s_waitcnt lgkmcnt(8)
	v_add_f64 v[9:10], v[9:10], v[23:24]
	s_waitcnt lgkmcnt(6)
	v_add_f64 v[17:18], v[17:18], v[25:26]
	s_waitcnt lgkmcnt(4)
	v_add_f64 v[19:20], v[19:20], v[27:28]
	v_cmp_gt_i32_e32 vcc_lo, 32, v21
	s_waitcnt lgkmcnt(2)
	v_add_f64 v[11:12], v[11:12], v[29:30]
	s_waitcnt lgkmcnt(0)
	v_add_f64 v[13:14], v[13:14], v[31:32]
	v_cndmask_b32_e32 v21, v36, v21, vcc_lo
	s_delay_alu instid0(VALU_DEP_1)
	v_lshlrev_b32_e32 v32, 2, v21
	ds_bpermute_b32 v21, v32, v15
	ds_bpermute_b32 v22, v32, v16
	ds_bpermute_b32 v23, v32, v9
	ds_bpermute_b32 v24, v32, v10
	ds_bpermute_b32 v25, v32, v17
	ds_bpermute_b32 v26, v32, v18
	ds_bpermute_b32 v27, v32, v19
	ds_bpermute_b32 v28, v32, v20
	ds_bpermute_b32 v29, v32, v11
	ds_bpermute_b32 v30, v32, v12
	ds_bpermute_b32 v31, v32, v13
	ds_bpermute_b32 v32, v32, v14
	s_waitcnt lgkmcnt(10)
	v_add_f64 v[15:16], v[15:16], v[21:22]
	v_xor_b32_e32 v21, 8, v36
	s_waitcnt lgkmcnt(8)
	v_add_f64 v[9:10], v[9:10], v[23:24]
	s_waitcnt lgkmcnt(6)
	v_add_f64 v[17:18], v[17:18], v[25:26]
	s_waitcnt lgkmcnt(4)
	v_add_f64 v[19:20], v[19:20], v[27:28]
	v_cmp_gt_i32_e32 vcc_lo, 32, v21
	s_waitcnt lgkmcnt(2)
	v_add_f64 v[11:12], v[11:12], v[29:30]
	s_waitcnt lgkmcnt(0)
	v_add_f64 v[13:14], v[13:14], v[31:32]
	;; [unrolled: 29-line block ×3, first 2 shown]
	v_cndmask_b32_e32 v21, v36, v21, vcc_lo
	s_delay_alu instid0(VALU_DEP_1)
	v_lshlrev_b32_e32 v32, 2, v21
	ds_bpermute_b32 v21, v32, v15
	ds_bpermute_b32 v22, v32, v16
	;; [unrolled: 1-line block ×12, first 2 shown]
	s_waitcnt lgkmcnt(10)
	v_add_f64 v[15:16], v[15:16], v[21:22]
	s_waitcnt lgkmcnt(8)
	v_add_f64 v[21:22], v[9:10], v[23:24]
	v_xor_b32_e32 v9, 2, v36
	s_waitcnt lgkmcnt(6)
	v_add_f64 v[17:18], v[17:18], v[25:26]
	s_waitcnt lgkmcnt(4)
	v_add_f64 v[23:24], v[19:20], v[27:28]
	;; [unrolled: 2-line block ×3, first 2 shown]
	v_cmp_gt_i32_e32 vcc_lo, 32, v9
	s_waitcnt lgkmcnt(0)
	v_add_f64 v[27:28], v[13:14], v[31:32]
	v_cndmask_b32_e32 v9, v36, v9, vcc_lo
	s_delay_alu instid0(VALU_DEP_1)
	v_lshlrev_b32_e32 v19, 2, v9
	ds_bpermute_b32 v9, v19, v15
	ds_bpermute_b32 v10, v19, v16
	;; [unrolled: 1-line block ×12, first 2 shown]
	s_waitcnt lgkmcnt(10)
	v_add_f64 v[9:10], v[15:16], v[9:10]
	s_waitcnt lgkmcnt(8)
	v_add_f64 v[19:20], v[21:22], v[11:12]
	v_xor_b32_e32 v21, 1, v36
	s_waitcnt lgkmcnt(6)
	v_add_f64 v[11:12], v[17:18], v[13:14]
	s_waitcnt lgkmcnt(4)
	v_add_f64 v[17:18], v[23:24], v[29:30]
	;; [unrolled: 2-line block ×3, first 2 shown]
	v_cmp_gt_i32_e32 vcc_lo, 32, v21
	s_waitcnt lgkmcnt(0)
	v_add_f64 v[15:16], v[27:28], v[34:35]
	v_cndmask_b32_e32 v21, v36, v21, vcc_lo
	v_cmp_eq_u32_e32 vcc_lo, 63, v33
	s_delay_alu instid0(VALU_DEP_2)
	v_lshlrev_b32_e32 v24, 2, v21
	ds_bpermute_b32 v31, v24, v9
	ds_bpermute_b32 v32, v24, v10
	ds_bpermute_b32 v29, v24, v19
	ds_bpermute_b32 v30, v24, v20
	ds_bpermute_b32 v27, v24, v11
	ds_bpermute_b32 v28, v24, v12
	ds_bpermute_b32 v25, v24, v17
	ds_bpermute_b32 v26, v24, v18
	ds_bpermute_b32 v21, v24, v13
	ds_bpermute_b32 v22, v24, v14
	ds_bpermute_b32 v23, v24, v15
	ds_bpermute_b32 v24, v24, v16
	s_and_b32 exec_lo, exec_lo, vcc_lo
	s_cbranch_execz .LBB130_25
; %bb.21:
	v_cmp_eq_f64_e32 vcc_lo, 0, v[4:5]
	v_cmp_eq_f64_e64 s0, 0, v[6:7]
	s_waitcnt lgkmcnt(10)
	v_add_f64 v[9:10], v[9:10], v[31:32]
	s_waitcnt lgkmcnt(8)
	v_add_f64 v[19:20], v[19:20], v[29:30]
	;; [unrolled: 2-line block ×6, first 2 shown]
	s_load_b64 s[2:3], s[2:3], 0x48
	s_and_b32 s0, vcc_lo, s0
	s_delay_alu instid0(SALU_CYCLE_1) | instskip(NEXT) | instid1(SALU_CYCLE_1)
	s_and_saveexec_b32 s1, s0
	s_xor_b32 s0, exec_lo, s1
	s_cbranch_execz .LBB130_23
; %bb.22:
	v_mul_f64 v[4:5], v[19:20], -v[2:3]
	v_mul_f64 v[6:7], v[0:1], v[19:20]
	v_mul_f64 v[19:20], v[17:18], -v[2:3]
	v_mul_f64 v[17:18], v[0:1], v[17:18]
	;; [unrolled: 2-line block ×3, first 2 shown]
	v_fma_f64 v[4:5], v[0:1], v[9:10], v[4:5]
	v_fma_f64 v[6:7], v[2:3], v[9:10], v[6:7]
	;; [unrolled: 1-line block ×6, first 2 shown]
	v_lshl_add_u32 v13, v8, 1, v8
                                        ; implicit-def: $vgpr8
                                        ; implicit-def: $vgpr19_vgpr20
                                        ; implicit-def: $vgpr17_vgpr18
                                        ; implicit-def: $vgpr15_vgpr16
	s_delay_alu instid0(VALU_DEP_1) | instskip(NEXT) | instid1(VALU_DEP_1)
	v_ashrrev_i32_e32 v14, 31, v13
	v_lshlrev_b64 v[13:14], 4, v[13:14]
	s_waitcnt lgkmcnt(0)
	s_delay_alu instid0(VALU_DEP_1) | instskip(NEXT) | instid1(VALU_DEP_2)
	v_add_co_u32 v13, vcc_lo, s2, v13
	v_add_co_ci_u32_e32 v14, vcc_lo, s3, v14, vcc_lo
	s_clause 0x2
	global_store_b128 v[13:14], v[4:7], off
	global_store_b128 v[13:14], v[9:12], off offset:16
	global_store_b128 v[13:14], v[0:3], off offset:32
                                        ; implicit-def: $vgpr0_vgpr1
                                        ; implicit-def: $vgpr2_vgpr3
                                        ; implicit-def: $vgpr4_vgpr5
                                        ; implicit-def: $vgpr6_vgpr7
                                        ; implicit-def: $vgpr9_vgpr10
                                        ; implicit-def: $vgpr11_vgpr12
                                        ; implicit-def: $vgpr13_vgpr14
.LBB130_23:
	s_and_not1_saveexec_b32 s0, s0
	s_cbranch_execz .LBB130_25
; %bb.24:
	v_lshl_add_u32 v21, v8, 1, v8
	v_mul_f64 v[35:36], v[19:20], -v[2:3]
	v_mul_f64 v[19:20], v[0:1], v[19:20]
	v_mul_f64 v[37:38], v[17:18], -v[2:3]
	v_mul_f64 v[17:18], v[0:1], v[17:18]
	v_ashrrev_i32_e32 v22, 31, v21
	v_mul_f64 v[39:40], v[15:16], -v[2:3]
	v_mul_f64 v[15:16], v[0:1], v[15:16]
	s_delay_alu instid0(VALU_DEP_3) | instskip(SKIP_1) | instid1(VALU_DEP_1)
	v_lshlrev_b64 v[21:22], 4, v[21:22]
	s_waitcnt lgkmcnt(0)
	v_add_co_u32 v33, vcc_lo, s2, v21
	s_delay_alu instid0(VALU_DEP_2)
	v_add_co_ci_u32_e32 v34, vcc_lo, s3, v22, vcc_lo
	s_clause 0x2
	global_load_b128 v[21:24], v[33:34], off
	global_load_b128 v[25:28], v[33:34], off offset:16
	global_load_b128 v[29:32], v[33:34], off offset:32
	v_fma_f64 v[35:36], v[0:1], v[9:10], v[35:36]
	v_fma_f64 v[8:9], v[2:3], v[9:10], v[19:20]
	;; [unrolled: 1-line block ×6, first 2 shown]
	s_waitcnt vmcnt(2)
	v_fma_f64 v[12:13], v[4:5], v[21:22], v[35:36]
	v_fma_f64 v[8:9], v[6:7], v[21:22], v[8:9]
	s_waitcnt vmcnt(1)
	v_fma_f64 v[14:15], v[4:5], v[25:26], v[19:20]
	v_fma_f64 v[10:11], v[6:7], v[25:26], v[10:11]
	;; [unrolled: 3-line block ×3, first 2 shown]
	v_fma_f64 v[0:1], -v[6:7], v[23:24], v[12:13]
	v_fma_f64 v[2:3], v[4:5], v[23:24], v[8:9]
	v_fma_f64 v[8:9], -v[6:7], v[27:28], v[14:15]
	v_fma_f64 v[10:11], v[4:5], v[27:28], v[10:11]
	;; [unrolled: 2-line block ×3, first 2 shown]
	s_clause 0x2
	global_store_b128 v[33:34], v[0:3], off
	global_store_b128 v[33:34], v[8:11], off offset:16
	global_store_b128 v[33:34], v[12:15], off offset:32
.LBB130_25:
	s_nop 0
	s_sendmsg sendmsg(MSG_DEALLOC_VGPRS)
	s_endpgm
	.section	.rodata,"a",@progbits
	.p2align	6, 0x0
	.amdhsa_kernel _ZN9rocsparseL19gebsrmvn_3xn_kernelILj128ELj5ELj64E21rocsparse_complex_numIdEEEvi20rocsparse_direction_NS_24const_host_device_scalarIT2_EEPKiS8_PKS5_SA_S6_PS5_21rocsparse_index_base_b
		.amdhsa_group_segment_fixed_size 2048
		.amdhsa_private_segment_fixed_size 0
		.amdhsa_kernarg_size 88
		.amdhsa_user_sgpr_count 15
		.amdhsa_user_sgpr_dispatch_ptr 1
		.amdhsa_user_sgpr_queue_ptr 0
		.amdhsa_user_sgpr_kernarg_segment_ptr 1
		.amdhsa_user_sgpr_dispatch_id 0
		.amdhsa_user_sgpr_private_segment_size 0
		.amdhsa_wavefront_size32 1
		.amdhsa_uses_dynamic_stack 0
		.amdhsa_enable_private_segment 0
		.amdhsa_system_sgpr_workgroup_id_x 1
		.amdhsa_system_sgpr_workgroup_id_y 0
		.amdhsa_system_sgpr_workgroup_id_z 0
		.amdhsa_system_sgpr_workgroup_info 0
		.amdhsa_system_vgpr_workitem_id 2
		.amdhsa_next_free_vgpr 110
		.amdhsa_next_free_sgpr 18
		.amdhsa_reserve_vcc 1
		.amdhsa_float_round_mode_32 0
		.amdhsa_float_round_mode_16_64 0
		.amdhsa_float_denorm_mode_32 3
		.amdhsa_float_denorm_mode_16_64 3
		.amdhsa_dx10_clamp 1
		.amdhsa_ieee_mode 1
		.amdhsa_fp16_overflow 0
		.amdhsa_workgroup_processor_mode 1
		.amdhsa_memory_ordered 1
		.amdhsa_forward_progress 0
		.amdhsa_shared_vgpr_count 0
		.amdhsa_exception_fp_ieee_invalid_op 0
		.amdhsa_exception_fp_denorm_src 0
		.amdhsa_exception_fp_ieee_div_zero 0
		.amdhsa_exception_fp_ieee_overflow 0
		.amdhsa_exception_fp_ieee_underflow 0
		.amdhsa_exception_fp_ieee_inexact 0
		.amdhsa_exception_int_div_zero 0
	.end_amdhsa_kernel
	.section	.text._ZN9rocsparseL19gebsrmvn_3xn_kernelILj128ELj5ELj64E21rocsparse_complex_numIdEEEvi20rocsparse_direction_NS_24const_host_device_scalarIT2_EEPKiS8_PKS5_SA_S6_PS5_21rocsparse_index_base_b,"axG",@progbits,_ZN9rocsparseL19gebsrmvn_3xn_kernelILj128ELj5ELj64E21rocsparse_complex_numIdEEEvi20rocsparse_direction_NS_24const_host_device_scalarIT2_EEPKiS8_PKS5_SA_S6_PS5_21rocsparse_index_base_b,comdat
.Lfunc_end130:
	.size	_ZN9rocsparseL19gebsrmvn_3xn_kernelILj128ELj5ELj64E21rocsparse_complex_numIdEEEvi20rocsparse_direction_NS_24const_host_device_scalarIT2_EEPKiS8_PKS5_SA_S6_PS5_21rocsparse_index_base_b, .Lfunc_end130-_ZN9rocsparseL19gebsrmvn_3xn_kernelILj128ELj5ELj64E21rocsparse_complex_numIdEEEvi20rocsparse_direction_NS_24const_host_device_scalarIT2_EEPKiS8_PKS5_SA_S6_PS5_21rocsparse_index_base_b
                                        ; -- End function
	.section	.AMDGPU.csdata,"",@progbits
; Kernel info:
; codeLenInByte = 5124
; NumSgprs: 20
; NumVgprs: 110
; ScratchSize: 0
; MemoryBound: 0
; FloatMode: 240
; IeeeMode: 1
; LDSByteSize: 2048 bytes/workgroup (compile time only)
; SGPRBlocks: 2
; VGPRBlocks: 13
; NumSGPRsForWavesPerEU: 20
; NumVGPRsForWavesPerEU: 110
; Occupancy: 12
; WaveLimiterHint : 1
; COMPUTE_PGM_RSRC2:SCRATCH_EN: 0
; COMPUTE_PGM_RSRC2:USER_SGPR: 15
; COMPUTE_PGM_RSRC2:TRAP_HANDLER: 0
; COMPUTE_PGM_RSRC2:TGID_X_EN: 1
; COMPUTE_PGM_RSRC2:TGID_Y_EN: 0
; COMPUTE_PGM_RSRC2:TGID_Z_EN: 0
; COMPUTE_PGM_RSRC2:TIDIG_COMP_CNT: 2
	.section	.text._ZN9rocsparseL19gebsrmvn_3xn_kernelILj128ELj6ELj4E21rocsparse_complex_numIdEEEvi20rocsparse_direction_NS_24const_host_device_scalarIT2_EEPKiS8_PKS5_SA_S6_PS5_21rocsparse_index_base_b,"axG",@progbits,_ZN9rocsparseL19gebsrmvn_3xn_kernelILj128ELj6ELj4E21rocsparse_complex_numIdEEEvi20rocsparse_direction_NS_24const_host_device_scalarIT2_EEPKiS8_PKS5_SA_S6_PS5_21rocsparse_index_base_b,comdat
	.globl	_ZN9rocsparseL19gebsrmvn_3xn_kernelILj128ELj6ELj4E21rocsparse_complex_numIdEEEvi20rocsparse_direction_NS_24const_host_device_scalarIT2_EEPKiS8_PKS5_SA_S6_PS5_21rocsparse_index_base_b ; -- Begin function _ZN9rocsparseL19gebsrmvn_3xn_kernelILj128ELj6ELj4E21rocsparse_complex_numIdEEEvi20rocsparse_direction_NS_24const_host_device_scalarIT2_EEPKiS8_PKS5_SA_S6_PS5_21rocsparse_index_base_b
	.p2align	8
	.type	_ZN9rocsparseL19gebsrmvn_3xn_kernelILj128ELj6ELj4E21rocsparse_complex_numIdEEEvi20rocsparse_direction_NS_24const_host_device_scalarIT2_EEPKiS8_PKS5_SA_S6_PS5_21rocsparse_index_base_b,@function
_ZN9rocsparseL19gebsrmvn_3xn_kernelILj128ELj6ELj4E21rocsparse_complex_numIdEEEvi20rocsparse_direction_NS_24const_host_device_scalarIT2_EEPKiS8_PKS5_SA_S6_PS5_21rocsparse_index_base_b: ; @_ZN9rocsparseL19gebsrmvn_3xn_kernelILj128ELj6ELj4E21rocsparse_complex_numIdEEEvi20rocsparse_direction_NS_24const_host_device_scalarIT2_EEPKiS8_PKS5_SA_S6_PS5_21rocsparse_index_base_b
; %bb.0:
	s_load_b64 s[12:13], s[2:3], 0x50
	s_load_b64 s[16:17], s[0:1], 0x4
	s_load_b128 s[8:11], s[2:3], 0x8
	v_bfe_u32 v1, v0, 10, 10
	s_mov_b64 s[0:1], src_shared_base
	s_load_b128 s[4:7], s[2:3], 0x38
	v_and_b32_e32 v10, 0x3ff, v0
	v_bfe_u32 v0, v0, 20, 10
	s_waitcnt lgkmcnt(0)
	s_bitcmp1_b32 s13, 0
	v_mul_u32_u24_e32 v1, s17, v1
	s_cselect_b32 s0, -1, 0
	s_delay_alu instid0(SALU_CYCLE_1)
	s_and_b32 vcc_lo, s0, exec_lo
	s_cselect_b32 s13, s1, s9
	s_lshr_b32 s14, s16, 16
	v_dual_mov_b32 v2, s4 :: v_dual_mov_b32 v3, s5
	s_mul_i32 s14, s14, s17
	v_mov_b32_e32 v6, s13
	v_mad_u32_u24 v1, s14, v10, v1
	s_delay_alu instid0(VALU_DEP_1) | instskip(SKIP_1) | instid1(VALU_DEP_2)
	v_add_lshl_u32 v4, v1, v0, 3
	v_dual_mov_b32 v0, s8 :: v_dual_mov_b32 v1, s9
	v_add_nc_u32_e32 v5, 0x400, v4
	ds_store_2addr_stride64_b64 v4, v[2:3], v[0:1] offset1:2
	v_dual_mov_b32 v2, s10 :: v_dual_mov_b32 v3, s11
	v_cndmask_b32_e64 v5, s8, v5, s0
	s_xor_b32 s10, s0, -1
	flat_load_b64 v[0:1], v[5:6]
	s_cbranch_vccnz .LBB131_2
; %bb.1:
	v_dual_mov_b32 v2, s8 :: v_dual_mov_b32 v3, s9
	flat_load_b64 v[2:3], v[2:3] offset:8
.LBB131_2:
	s_and_b32 s8, s0, exec_lo
	s_cselect_b32 s1, s1, s5
	v_cndmask_b32_e64 v4, s4, v4, s0
	v_dual_mov_b32 v5, s1 :: v_dual_mov_b32 v6, s6
	v_mov_b32_e32 v7, s7
	s_and_not1_b32 vcc_lo, exec_lo, s10
	flat_load_b64 v[4:5], v[4:5]
	s_cbranch_vccnz .LBB131_4
; %bb.3:
	v_dual_mov_b32 v7, s5 :: v_dual_mov_b32 v6, s4
	flat_load_b64 v[6:7], v[6:7] offset:8
.LBB131_4:
	s_waitcnt vmcnt(1) lgkmcnt(1)
	v_cmp_eq_f64_e32 vcc_lo, 0, v[0:1]
	v_cmp_eq_f64_e64 s0, 0, v[2:3]
	s_delay_alu instid0(VALU_DEP_1)
	s_and_b32 s4, vcc_lo, s0
	s_mov_b32 s0, -1
	s_and_saveexec_b32 s1, s4
	s_cbranch_execz .LBB131_6
; %bb.5:
	s_waitcnt vmcnt(0) lgkmcnt(0)
	v_cmp_neq_f64_e32 vcc_lo, 1.0, v[4:5]
	v_cmp_neq_f64_e64 s0, 0, v[6:7]
	s_delay_alu instid0(VALU_DEP_1) | instskip(NEXT) | instid1(SALU_CYCLE_1)
	s_or_b32 s0, vcc_lo, s0
	s_or_not1_b32 s0, s0, exec_lo
.LBB131_6:
	s_or_b32 exec_lo, exec_lo, s1
	s_and_saveexec_b32 s1, s0
	s_cbranch_execz .LBB131_25
; %bb.7:
	s_load_b64 s[0:1], s[2:3], 0x0
	v_lshrrev_b32_e32 v8, 2, v10
	s_delay_alu instid0(VALU_DEP_1) | instskip(SKIP_1) | instid1(VALU_DEP_1)
	v_lshl_or_b32 v8, s15, 5, v8
	s_waitcnt lgkmcnt(0)
	v_cmp_gt_i32_e32 vcc_lo, s0, v8
	s_and_b32 exec_lo, exec_lo, vcc_lo
	s_cbranch_execz .LBB131_25
; %bb.8:
	s_load_b256 s[4:11], s[2:3], 0x18
	v_ashrrev_i32_e32 v9, 31, v8
	v_and_b32_e32 v33, 3, v10
	s_cmp_lg_u32 s1, 0
	s_delay_alu instid0(VALU_DEP_2) | instskip(SKIP_1) | instid1(VALU_DEP_1)
	v_lshlrev_b64 v[11:12], 2, v[8:9]
	s_waitcnt lgkmcnt(0)
	v_add_co_u32 v11, vcc_lo, s4, v11
	s_delay_alu instid0(VALU_DEP_2) | instskip(SKIP_4) | instid1(VALU_DEP_2)
	v_add_co_ci_u32_e32 v12, vcc_lo, s5, v12, vcc_lo
	global_load_b64 v[11:12], v[11:12], off
	s_waitcnt vmcnt(0)
	v_subrev_nc_u32_e32 v9, s12, v11
	v_subrev_nc_u32_e32 v29, s12, v12
	v_add_nc_u32_e32 v9, v9, v33
	s_delay_alu instid0(VALU_DEP_1)
	v_cmp_lt_i32_e64 s0, v9, v29
	s_cbranch_scc0 .LBB131_14
; %bb.9:
	v_mov_b32_e32 v11, 0
	v_mov_b32_e32 v12, 0
	s_delay_alu instid0(VALU_DEP_1)
	v_dual_mov_b32 v18, v12 :: v_dual_mov_b32 v17, v11
	v_dual_mov_b32 v14, v12 :: v_dual_mov_b32 v13, v11
	;; [unrolled: 1-line block ×5, first 2 shown]
	s_and_saveexec_b32 s1, s0
	s_cbranch_execz .LBB131_13
; %bb.10:
	v_dual_mov_b32 v11, 0 :: v_dual_mov_b32 v26, v9
	v_dual_mov_b32 v12, 0 :: v_dual_mov_b32 v25, 0
	v_mad_u64_u32 v[23:24], null, v9, 18, 17
	s_mov_b32 s4, 0
	s_delay_alu instid0(VALU_DEP_2)
	v_dual_mov_b32 v18, v12 :: v_dual_mov_b32 v17, v11
	v_dual_mov_b32 v14, v12 :: v_dual_mov_b32 v13, v11
	;; [unrolled: 1-line block ×5, first 2 shown]
.LBB131_11:                             ; =>This Inner Loop Header: Depth=1
	v_ashrrev_i32_e32 v27, 31, v26
	v_subrev_nc_u32_e32 v24, 17, v23
	s_delay_alu instid0(VALU_DEP_2) | instskip(NEXT) | instid1(VALU_DEP_2)
	v_lshlrev_b64 v[27:28], 2, v[26:27]
	v_lshlrev_b64 v[30:31], 4, v[24:25]
	v_add_nc_u32_e32 v24, -15, v23
	v_add_nc_u32_e32 v26, 4, v26
	s_delay_alu instid0(VALU_DEP_4) | instskip(SKIP_1) | instid1(VALU_DEP_4)
	v_add_co_u32 v27, vcc_lo, s6, v27
	v_add_co_ci_u32_e32 v28, vcc_lo, s7, v28, vcc_lo
	v_lshlrev_b64 v[34:35], 4, v[24:25]
	v_add_co_u32 v30, vcc_lo, s8, v30
	global_load_b32 v10, v[27:28], off
	v_add_co_ci_u32_e32 v31, vcc_lo, s9, v31, vcc_lo
	v_mov_b32_e32 v28, v25
	v_add_co_u32 v42, vcc_lo, s8, v34
	v_add_co_ci_u32_e32 v43, vcc_lo, s9, v35, vcc_lo
	s_clause 0x2
	global_load_b128 v[34:37], v[30:31], off offset:16
	global_load_b128 v[38:41], v[30:31], off
	global_load_b128 v[42:45], v[42:43], off
	v_add_nc_u32_e32 v24, -14, v23
	s_delay_alu instid0(VALU_DEP_1) | instskip(SKIP_1) | instid1(VALU_DEP_1)
	v_lshlrev_b64 v[50:51], 4, v[24:25]
	v_add_nc_u32_e32 v24, -13, v23
	v_lshlrev_b64 v[52:53], 4, v[24:25]
	v_add_nc_u32_e32 v24, -12, v23
	s_delay_alu instid0(VALU_DEP_1) | instskip(SKIP_3) | instid1(VALU_DEP_1)
	v_lshlrev_b64 v[54:55], 4, v[24:25]
	v_add_nc_u32_e32 v24, -11, v23
	s_waitcnt vmcnt(3)
	v_subrev_nc_u32_e32 v10, s12, v10
	v_mul_lo_u32 v27, v10, 6
	s_delay_alu instid0(VALU_DEP_1) | instskip(NEXT) | instid1(VALU_DEP_1)
	v_lshlrev_b64 v[30:31], 4, v[27:28]
	v_add_co_u32 v30, vcc_lo, s10, v30
	s_delay_alu instid0(VALU_DEP_2)
	v_add_co_ci_u32_e32 v31, vcc_lo, s11, v31, vcc_lo
	v_add_co_u32 v50, vcc_lo, s8, v50
	v_add_co_ci_u32_e32 v51, vcc_lo, s9, v51, vcc_lo
	global_load_b128 v[46:49], v[30:31], off
	v_add_co_u32 v56, vcc_lo, s8, v52
	v_add_co_ci_u32_e32 v57, vcc_lo, s9, v53, vcc_lo
	v_add_co_u32 v58, vcc_lo, s8, v54
	v_add_co_ci_u32_e32 v59, vcc_lo, s9, v55, vcc_lo
	s_clause 0x2
	global_load_b128 v[50:53], v[50:51], off
	global_load_b128 v[54:57], v[56:57], off
	;; [unrolled: 1-line block ×3, first 2 shown]
	global_load_b128 v[62:65], v[30:31], off offset:16
	v_lshlrev_b64 v[30:31], 4, v[24:25]
	v_add_nc_u32_e32 v24, 2, v27
	s_delay_alu instid0(VALU_DEP_2) | instskip(NEXT) | instid1(VALU_DEP_3)
	v_add_co_u32 v30, vcc_lo, s8, v30
	v_add_co_ci_u32_e32 v31, vcc_lo, s9, v31, vcc_lo
	global_load_b128 v[66:69], v[30:31], off
	v_lshlrev_b64 v[30:31], 4, v[24:25]
	v_add_nc_u32_e32 v24, -10, v23
	s_delay_alu instid0(VALU_DEP_1) | instskip(SKIP_1) | instid1(VALU_DEP_4)
	v_lshlrev_b64 v[70:71], 4, v[24:25]
	v_add_nc_u32_e32 v24, -9, v23
	v_add_co_u32 v30, vcc_lo, s10, v30
	v_add_co_ci_u32_e32 v31, vcc_lo, s11, v31, vcc_lo
	s_delay_alu instid0(VALU_DEP_3) | instskip(SKIP_3) | instid1(VALU_DEP_4)
	v_lshlrev_b64 v[72:73], 4, v[24:25]
	v_add_co_u32 v74, vcc_lo, s8, v70
	v_add_co_ci_u32_e32 v75, vcc_lo, s9, v71, vcc_lo
	v_add_nc_u32_e32 v24, -8, v23
	v_add_co_u32 v78, vcc_lo, s8, v72
	v_add_co_ci_u32_e32 v79, vcc_lo, s9, v73, vcc_lo
	global_load_b128 v[70:73], v[30:31], off
	s_clause 0x1
	global_load_b128 v[74:77], v[74:75], off
	global_load_b128 v[78:81], v[78:79], off
	global_load_b128 v[82:85], v[30:31], off offset:16
	v_lshlrev_b64 v[30:31], 4, v[24:25]
	v_add_nc_u32_e32 v24, -7, v23
	s_delay_alu instid0(VALU_DEP_1) | instskip(SKIP_1) | instid1(VALU_DEP_4)
	v_lshlrev_b64 v[86:87], 4, v[24:25]
	v_add_nc_u32_e32 v24, -6, v23
	v_add_co_u32 v30, vcc_lo, s8, v30
	v_add_co_ci_u32_e32 v31, vcc_lo, s9, v31, vcc_lo
	s_delay_alu instid0(VALU_DEP_3) | instskip(SKIP_3) | instid1(VALU_DEP_4)
	v_lshlrev_b64 v[88:89], 4, v[24:25]
	v_add_co_u32 v90, vcc_lo, s8, v86
	v_add_co_ci_u32_e32 v91, vcc_lo, s9, v87, vcc_lo
	v_add_nc_u32_e32 v24, -5, v23
	v_add_co_u32 v94, vcc_lo, s8, v88
	v_add_co_ci_u32_e32 v95, vcc_lo, s9, v89, vcc_lo
	s_clause 0x2
	global_load_b128 v[86:89], v[30:31], off
	global_load_b128 v[90:93], v[90:91], off
	;; [unrolled: 1-line block ×3, first 2 shown]
	v_lshlrev_b64 v[30:31], 4, v[24:25]
	v_add_nc_u32_e32 v24, 4, v27
	s_delay_alu instid0(VALU_DEP_1) | instskip(SKIP_1) | instid1(VALU_DEP_4)
	v_lshlrev_b64 v[27:28], 4, v[24:25]
	v_add_nc_u32_e32 v24, -4, v23
	v_add_co_u32 v30, vcc_lo, s8, v30
	v_add_co_ci_u32_e32 v31, vcc_lo, s9, v31, vcc_lo
	s_delay_alu instid0(VALU_DEP_3)
	v_lshlrev_b64 v[102:103], 4, v[24:25]
	v_add_nc_u32_e32 v24, -3, v23
	v_add_co_u32 v27, vcc_lo, s10, v27
	global_load_b128 v[98:101], v[30:31], off
	v_add_co_ci_u32_e32 v28, vcc_lo, s11, v28, vcc_lo
	v_lshlrev_b64 v[30:31], 4, v[24:25]
	v_add_co_u32 v106, vcc_lo, s8, v102
	v_add_co_ci_u32_e32 v107, vcc_lo, s9, v103, vcc_lo
	v_mov_b32_e32 v24, v25
	s_delay_alu instid0(VALU_DEP_4)
	v_add_co_u32 v30, vcc_lo, s8, v30
	v_add_co_ci_u32_e32 v31, vcc_lo, s9, v31, vcc_lo
	global_load_b128 v[102:105], v[27:28], off
	s_clause 0x1
	global_load_b128 v[106:109], v[106:107], off
	global_load_b128 v[110:113], v[30:31], off
	s_waitcnt vmcnt(16)
	v_fma_f64 v[17:18], v[38:39], v[46:47], v[17:18]
	v_fma_f64 v[10:11], v[40:41], v[46:47], v[11:12]
	;; [unrolled: 1-line block ×6, first 2 shown]
	v_lshlrev_b64 v[12:13], 4, v[23:24]
	v_add_nc_u32_e32 v24, -2, v23
	s_delay_alu instid0(VALU_DEP_2) | instskip(NEXT) | instid1(VALU_DEP_3)
	v_add_co_u32 v12, vcc_lo, s8, v12
	v_add_co_ci_u32_e32 v13, vcc_lo, s9, v13, vcc_lo
	global_load_b128 v[114:117], v[12:13], off
	global_load_b128 v[13:16], v[27:28], off offset:16
	v_lshlrev_b64 v[27:28], 4, v[24:25]
	v_add_nc_u32_e32 v24, -1, v23
	v_add_nc_u32_e32 v23, 0x48, v23
	v_fma_f64 v[17:18], -v[40:41], v[48:49], v[17:18]
	v_fma_f64 v[10:11], v[38:39], v[48:49], v[10:11]
	v_fma_f64 v[38:39], -v[36:37], v[48:49], v[19:20]
	v_fma_f64 v[40:41], v[34:35], v[48:49], v[21:22]
	v_fma_f64 v[30:31], -v[44:45], v[48:49], v[30:31]
	v_fma_f64 v[42:43], v[42:43], v[48:49], v[46:47]
	v_lshlrev_b64 v[19:20], 4, v[24:25]
	v_add_co_u32 v21, vcc_lo, s8, v27
	v_add_co_ci_u32_e32 v22, vcc_lo, s9, v28, vcc_lo
	s_delay_alu instid0(VALU_DEP_3) | instskip(NEXT) | instid1(VALU_DEP_4)
	v_add_co_u32 v27, vcc_lo, s8, v19
	v_add_co_ci_u32_e32 v28, vcc_lo, s9, v20, vcc_lo
	s_clause 0x1
	global_load_b128 v[19:22], v[21:22], off
	global_load_b128 v[34:37], v[27:28], off
	v_cmp_ge_i32_e32 vcc_lo, v26, v29
	s_or_b32 s4, vcc_lo, s4
	s_waitcnt vmcnt(16)
	v_fma_f64 v[17:18], v[50:51], v[62:63], v[17:18]
	v_fma_f64 v[10:11], v[52:53], v[62:63], v[10:11]
	;; [unrolled: 1-line block ×6, first 2 shown]
	v_fma_f64 v[17:18], -v[52:53], v[64:65], v[17:18]
	v_fma_f64 v[10:11], v[50:51], v[64:65], v[10:11]
	v_fma_f64 v[27:28], -v[56:57], v[64:65], v[27:28]
	v_fma_f64 v[38:39], v[54:55], v[64:65], v[38:39]
	v_fma_f64 v[30:31], -v[60:61], v[64:65], v[30:31]
	v_fma_f64 v[40:41], v[58:59], v[64:65], v[40:41]
	s_waitcnt vmcnt(14)
	v_fma_f64 v[17:18], v[66:67], v[70:71], v[17:18]
	v_fma_f64 v[10:11], v[68:69], v[70:71], v[10:11]
	s_waitcnt vmcnt(13)
	v_fma_f64 v[27:28], v[74:75], v[70:71], v[27:28]
	v_fma_f64 v[38:39], v[76:77], v[70:71], v[38:39]
	s_waitcnt vmcnt(12)
	v_fma_f64 v[30:31], v[78:79], v[70:71], v[30:31]
	v_fma_f64 v[40:41], v[80:81], v[70:71], v[40:41]
	v_fma_f64 v[17:18], -v[68:69], v[72:73], v[17:18]
	v_fma_f64 v[10:11], v[66:67], v[72:73], v[10:11]
	v_fma_f64 v[27:28], -v[76:77], v[72:73], v[27:28]
	v_fma_f64 v[38:39], v[74:75], v[72:73], v[38:39]
	v_fma_f64 v[30:31], -v[80:81], v[72:73], v[30:31]
	v_fma_f64 v[40:41], v[78:79], v[72:73], v[40:41]
	s_waitcnt vmcnt(10)
	v_fma_f64 v[17:18], v[86:87], v[82:83], v[17:18]
	v_fma_f64 v[10:11], v[88:89], v[82:83], v[10:11]
	s_waitcnt vmcnt(9)
	v_fma_f64 v[27:28], v[90:91], v[82:83], v[27:28]
	v_fma_f64 v[38:39], v[92:93], v[82:83], v[38:39]
	s_waitcnt vmcnt(8)
	v_fma_f64 v[30:31], v[94:95], v[82:83], v[30:31]
	v_fma_f64 v[40:41], v[96:97], v[82:83], v[40:41]
	;; [unrolled: 15-line block ×3, first 2 shown]
	v_fma_f64 v[17:18], -v[100:101], v[104:105], v[17:18]
	v_fma_f64 v[10:11], v[98:99], v[104:105], v[10:11]
	v_fma_f64 v[27:28], -v[108:109], v[104:105], v[27:28]
	v_fma_f64 v[38:39], v[106:107], v[104:105], v[38:39]
	;; [unrolled: 2-line block ×3, first 2 shown]
	s_waitcnt vmcnt(1)
	v_fma_f64 v[17:18], v[19:20], v[13:14], v[17:18]
	v_fma_f64 v[10:11], v[21:22], v[13:14], v[10:11]
	s_waitcnt vmcnt(0)
	v_fma_f64 v[27:28], v[34:35], v[13:14], v[27:28]
	v_fma_f64 v[38:39], v[36:37], v[13:14], v[38:39]
	;; [unrolled: 1-line block ×4, first 2 shown]
	v_fma_f64 v[17:18], -v[21:22], v[15:16], v[17:18]
	v_fma_f64 v[11:12], v[19:20], v[15:16], v[10:11]
	v_fma_f64 v[19:20], -v[36:37], v[15:16], v[27:28]
	v_fma_f64 v[21:22], v[34:35], v[15:16], v[38:39]
	;; [unrolled: 2-line block ×3, first 2 shown]
	s_and_not1_b32 exec_lo, exec_lo, s4
	s_cbranch_execnz .LBB131_11
; %bb.12:
	s_or_b32 exec_lo, exec_lo, s4
.LBB131_13:
	s_delay_alu instid0(SALU_CYCLE_1)
	s_or_b32 exec_lo, exec_lo, s1
	s_cbranch_execz .LBB131_15
	s_branch .LBB131_20
.LBB131_14:
                                        ; implicit-def: $vgpr11_vgpr12
                                        ; implicit-def: $vgpr17_vgpr18
                                        ; implicit-def: $vgpr13_vgpr14
                                        ; implicit-def: $vgpr15_vgpr16
                                        ; implicit-def: $vgpr19_vgpr20
                                        ; implicit-def: $vgpr21_vgpr22
.LBB131_15:
	v_mov_b32_e32 v11, 0
	v_mov_b32_e32 v12, 0
	s_delay_alu instid0(VALU_DEP_1)
	v_dual_mov_b32 v18, v12 :: v_dual_mov_b32 v17, v11
	v_dual_mov_b32 v14, v12 :: v_dual_mov_b32 v13, v11
	;; [unrolled: 1-line block ×5, first 2 shown]
	s_and_saveexec_b32 s1, s0
	s_cbranch_execz .LBB131_19
; %bb.16:
	v_dual_mov_b32 v11, 0 :: v_dual_mov_b32 v26, 0
	v_mov_b32_e32 v12, 0
	v_mad_u64_u32 v[23:24], null, v9, 18, 17
	s_mov_b32 s0, 0
	s_delay_alu instid0(VALU_DEP_2)
	v_dual_mov_b32 v18, v12 :: v_dual_mov_b32 v17, v11
	v_dual_mov_b32 v14, v12 :: v_dual_mov_b32 v13, v11
	;; [unrolled: 1-line block ×5, first 2 shown]
.LBB131_17:                             ; =>This Inner Loop Header: Depth=1
	v_ashrrev_i32_e32 v10, 31, v9
	v_dual_mov_b32 v31, v26 :: v_dual_add_nc_u32 v30, -11, v23
	v_dual_mov_b32 v35, v26 :: v_dual_add_nc_u32 v34, -5, v23
	s_delay_alu instid0(VALU_DEP_3) | instskip(SKIP_1) | instid1(VALU_DEP_4)
	v_lshlrev_b64 v[24:25], 2, v[9:10]
	v_mov_b32_e32 v28, v26
	v_lshlrev_b64 v[30:31], 4, v[30:31]
	v_add_nc_u32_e32 v9, 4, v9
	v_lshlrev_b64 v[34:35], 4, v[34:35]
	v_add_co_u32 v24, vcc_lo, s6, v24
	v_add_co_ci_u32_e32 v25, vcc_lo, s7, v25, vcc_lo
	global_load_b32 v10, v[24:25], off
	v_subrev_nc_u32_e32 v25, 17, v23
	v_mov_b32_e32 v24, v26
	s_delay_alu instid0(VALU_DEP_2) | instskip(SKIP_1) | instid1(VALU_DEP_1)
	v_lshlrev_b64 v[36:37], 4, v[25:26]
	v_add_nc_u32_e32 v25, -10, v23
	v_lshlrev_b64 v[42:43], 4, v[25:26]
	v_add_nc_u32_e32 v25, -4, v23
	s_delay_alu instid0(VALU_DEP_4)
	v_add_co_u32 v40, vcc_lo, s8, v36
	v_add_co_ci_u32_e32 v41, vcc_lo, s9, v37, vcc_lo
	v_lshlrev_b64 v[38:39], 4, v[23:24]
	v_add_co_u32 v30, vcc_lo, s8, v30
	v_add_co_ci_u32_e32 v31, vcc_lo, s9, v31, vcc_lo
	v_add_co_u32 v46, vcc_lo, s8, v34
	v_lshlrev_b64 v[58:59], 4, v[25:26]
	v_add_nc_u32_e32 v25, -15, v23
	v_add_co_ci_u32_e32 v47, vcc_lo, s9, v35, vcc_lo
	v_add_co_u32 v50, vcc_lo, s8, v38
	v_add_co_ci_u32_e32 v51, vcc_lo, s9, v39, vcc_lo
	v_add_co_u32 v54, vcc_lo, s8, v42
	v_lshlrev_b64 v[24:25], 4, v[25:26]
	v_add_co_ci_u32_e32 v55, vcc_lo, s9, v43, vcc_lo
	s_clause 0x4
	global_load_b128 v[34:37], v[40:41], off offset:16
	global_load_b128 v[38:41], v[40:41], off
	global_load_b128 v[42:45], v[30:31], off
	;; [unrolled: 1-line block ×4, first 2 shown]
	v_add_co_u32 v30, vcc_lo, s8, v58
	v_add_co_ci_u32_e32 v31, vcc_lo, s9, v59, vcc_lo
	v_add_co_u32 v24, vcc_lo, s8, v24
	v_add_co_ci_u32_e32 v25, vcc_lo, s9, v25, vcc_lo
	s_clause 0x2
	global_load_b128 v[54:57], v[54:55], off
	global_load_b128 v[58:61], v[30:31], off
	;; [unrolled: 1-line block ×3, first 2 shown]
	s_waitcnt vmcnt(8)
	v_subrev_nc_u32_e32 v10, s12, v10
	s_delay_alu instid0(VALU_DEP_1) | instskip(NEXT) | instid1(VALU_DEP_1)
	v_mul_lo_u32 v27, v10, 6
	v_lshlrev_b64 v[24:25], 4, v[27:28]
	s_delay_alu instid0(VALU_DEP_1) | instskip(NEXT) | instid1(VALU_DEP_2)
	v_add_co_u32 v24, vcc_lo, s10, v24
	v_add_co_ci_u32_e32 v25, vcc_lo, s11, v25, vcc_lo
	s_clause 0x1
	global_load_b128 v[66:69], v[24:25], off
	global_load_b128 v[70:73], v[24:25], off offset:16
	v_add_nc_u32_e32 v25, 2, v27
	s_delay_alu instid0(VALU_DEP_1) | instskip(SKIP_1) | instid1(VALU_DEP_1)
	v_lshlrev_b64 v[30:31], 4, v[25:26]
	v_add_nc_u32_e32 v25, -9, v23
	v_lshlrev_b64 v[82:83], 4, v[25:26]
	v_add_nc_u32_e32 v25, -3, v23
	s_delay_alu instid0(VALU_DEP_4) | instskip(SKIP_1) | instid1(VALU_DEP_3)
	v_add_co_u32 v30, vcc_lo, s10, v30
	v_add_co_ci_u32_e32 v31, vcc_lo, s11, v31, vcc_lo
	v_lshlrev_b64 v[84:85], 4, v[25:26]
	s_clause 0x1
	global_load_b128 v[74:77], v[30:31], off offset:16
	global_load_b128 v[78:81], v[30:31], off
	v_add_co_u32 v30, vcc_lo, s8, v82
	v_add_co_ci_u32_e32 v31, vcc_lo, s9, v83, vcc_lo
	v_add_co_u32 v86, vcc_lo, s8, v84
	v_add_co_ci_u32_e32 v87, vcc_lo, s9, v85, vcc_lo
	global_load_b128 v[82:85], v[30:31], off
	v_add_nc_u32_e32 v25, -14, v23
	global_load_b128 v[86:89], v[86:87], off
	v_lshlrev_b64 v[90:91], 4, v[25:26]
	v_add_nc_u32_e32 v25, -8, v23
	s_delay_alu instid0(VALU_DEP_1) | instskip(SKIP_1) | instid1(VALU_DEP_4)
	v_lshlrev_b64 v[30:31], 4, v[25:26]
	v_add_nc_u32_e32 v25, -2, v23
	v_add_co_u32 v90, vcc_lo, s8, v90
	v_add_co_ci_u32_e32 v91, vcc_lo, s9, v91, vcc_lo
	s_delay_alu instid0(VALU_DEP_3) | instskip(SKIP_3) | instid1(VALU_DEP_3)
	v_lshlrev_b64 v[98:99], 4, v[25:26]
	v_add_nc_u32_e32 v25, -13, v23
	v_add_co_u32 v30, vcc_lo, s8, v30
	v_add_co_ci_u32_e32 v31, vcc_lo, s9, v31, vcc_lo
	v_lshlrev_b64 v[100:101], 4, v[25:26]
	v_add_nc_u32_e32 v25, 4, v27
	v_add_co_u32 v27, vcc_lo, s8, v98
	v_add_co_ci_u32_e32 v28, vcc_lo, s9, v99, vcc_lo
	s_delay_alu instid0(VALU_DEP_4)
	v_add_co_u32 v102, vcc_lo, s8, v100
	global_load_b128 v[94:97], v[30:31], off
	v_add_co_ci_u32_e32 v103, vcc_lo, s9, v101, vcc_lo
	s_clause 0x1
	global_load_b128 v[98:101], v[27:28], off
	global_load_b128 v[90:93], v[90:91], off
	v_lshlrev_b64 v[30:31], 4, v[25:26]
	v_add_nc_u32_e32 v25, -7, v23
	s_delay_alu instid0(VALU_DEP_2) | instskip(NEXT) | instid1(VALU_DEP_3)
	v_add_co_u32 v30, vcc_lo, s10, v30
	v_add_co_ci_u32_e32 v31, vcc_lo, s11, v31, vcc_lo
	s_waitcnt vmcnt(8)
	v_fma_f64 v[17:18], v[38:39], v[66:67], v[17:18]
	v_fma_f64 v[10:11], v[40:41], v[66:67], v[11:12]
	s_delay_alu instid0(VALU_DEP_2) | instskip(SKIP_2) | instid1(VALU_DEP_4)
	v_fma_f64 v[27:28], -v[40:41], v[68:69], v[17:18]
	v_fma_f64 v[17:18], v[42:43], v[66:67], v[19:20]
	v_fma_f64 v[19:20], v[44:45], v[66:67], v[21:22]
	;; [unrolled: 1-line block ×3, first 2 shown]
	global_load_b128 v[38:41], v[102:103], off
	v_lshlrev_b64 v[10:11], 4, v[25:26]
	v_add_nc_u32_e32 v25, -1, v23
	s_waitcnt vmcnt(8)
	v_fma_f64 v[27:28], v[34:35], v[70:71], v[27:28]
	v_fma_f64 v[44:45], -v[44:45], v[68:69], v[17:18]
	v_fma_f64 v[42:43], v[42:43], v[68:69], v[19:20]
	v_add_co_u32 v19, vcc_lo, s8, v10
	v_add_co_ci_u32_e32 v20, vcc_lo, s9, v11, vcc_lo
	v_fma_f64 v[10:11], v[46:47], v[66:67], v[13:14]
	v_fma_f64 v[12:13], v[48:49], v[66:67], v[15:16]
	v_lshlrev_b64 v[17:18], 4, v[25:26]
	v_add_nc_u32_e32 v25, -12, v23
	s_delay_alu instid0(VALU_DEP_2) | instskip(NEXT) | instid1(VALU_DEP_3)
	v_add_co_u32 v21, vcc_lo, s8, v17
	v_add_co_ci_u32_e32 v22, vcc_lo, s9, v18, vcc_lo
	v_fma_f64 v[27:28], -v[36:37], v[72:73], v[27:28]
	v_fma_f64 v[42:43], v[56:57], v[70:71], v[42:43]
	v_fma_f64 v[66:67], -v[48:49], v[68:69], v[10:11]
	v_fma_f64 v[68:69], v[46:47], v[68:69], v[12:13]
	global_load_b128 v[10:13], v[30:31], off
	s_clause 0x1
	global_load_b128 v[14:17], v[19:20], off
	global_load_b128 v[18:21], v[21:22], off
	v_fma_f64 v[48:49], v[36:37], v[70:71], v[104:105]
	v_lshlrev_b64 v[46:47], 4, v[25:26]
	v_add_nc_u32_e32 v25, -6, v23
	v_add_nc_u32_e32 v23, 0x48, v23
	s_delay_alu instid0(VALU_DEP_2) | instskip(NEXT) | instid1(VALU_DEP_4)
	v_lshlrev_b64 v[24:25], 4, v[25:26]
	v_add_co_u32 v46, vcc_lo, s8, v46
	v_add_co_ci_u32_e32 v47, vcc_lo, s9, v47, vcc_lo
	s_delay_alu instid0(VALU_DEP_3) | instskip(NEXT) | instid1(VALU_DEP_4)
	v_add_co_u32 v24, vcc_lo, s8, v24
	v_add_co_ci_u32_e32 v25, vcc_lo, s9, v25, vcc_lo
	v_cmp_ge_i32_e32 vcc_lo, v9, v29
	s_or_b32 s0, vcc_lo, s0
	s_waitcnt vmcnt(9)
	v_fma_f64 v[27:28], v[62:63], v[78:79], v[27:28]
	v_fma_f64 v[102:103], v[34:35], v[72:73], v[48:49]
	global_load_b128 v[34:37], v[30:31], off offset:16
	v_fma_f64 v[30:31], v[54:55], v[70:71], v[44:45]
	v_fma_f64 v[54:55], v[54:55], v[72:73], v[42:43]
	s_clause 0x1
	global_load_b128 v[42:45], v[46:47], off
	global_load_b128 v[46:49], v[24:25], off
	v_fma_f64 v[24:25], v[58:59], v[70:71], v[66:67]
	v_fma_f64 v[27:28], -v[64:65], v[80:81], v[27:28]
	v_fma_f64 v[30:31], -v[56:57], v[72:73], v[30:31]
	v_fma_f64 v[56:57], v[60:61], v[70:71], v[68:69]
	s_waitcnt vmcnt(11)
	v_fma_f64 v[54:55], v[84:85], v[78:79], v[54:55]
	v_fma_f64 v[24:25], -v[60:61], v[72:73], v[24:25]
	s_waitcnt vmcnt(7)
	v_fma_f64 v[27:28], v[90:91], v[74:75], v[27:28]
	v_fma_f64 v[30:31], v[82:83], v[78:79], v[30:31]
	;; [unrolled: 1-line block ×6, first 2 shown]
	v_fma_f64 v[27:28], -v[92:93], v[76:77], v[27:28]
	v_fma_f64 v[30:31], -v[84:85], v[80:81], v[30:31]
	v_fma_f64 v[56:57], v[88:89], v[78:79], v[56:57]
	v_fma_f64 v[58:59], v[62:63], v[80:81], v[58:59]
	v_fma_f64 v[24:25], -v[88:89], v[80:81], v[24:25]
	v_fma_f64 v[54:55], v[96:97], v[74:75], v[54:55]
	v_fma_f64 v[30:31], v[94:95], v[74:75], v[30:31]
	v_fma_f64 v[56:57], v[86:87], v[80:81], v[56:57]
	v_fma_f64 v[58:59], v[92:93], v[74:75], v[58:59]
	v_fma_f64 v[24:25], v[98:99], v[74:75], v[24:25]
	v_fma_f64 v[54:55], v[94:95], v[76:77], v[54:55]
	v_fma_f64 v[30:31], -v[96:97], v[76:77], v[30:31]
	v_fma_f64 v[56:57], v[100:101], v[74:75], v[56:57]
	v_fma_f64 v[58:59], v[90:91], v[76:77], v[58:59]
	v_fma_f64 v[24:25], -v[100:101], v[76:77], v[24:25]
	s_delay_alu instid0(VALU_DEP_3) | instskip(SKIP_2) | instid1(VALU_DEP_4)
	v_fma_f64 v[56:57], v[98:99], v[76:77], v[56:57]
	s_waitcnt vmcnt(5)
	v_fma_f64 v[27:28], v[38:39], v[10:11], v[27:28]
	v_fma_f64 v[58:59], v[40:41], v[10:11], v[58:59]
	s_waitcnt vmcnt(4)
	v_fma_f64 v[30:31], v[14:15], v[10:11], v[30:31]
	;; [unrolled: 3-line block ×3, first 2 shown]
	v_fma_f64 v[10:11], v[20:21], v[10:11], v[56:57]
	v_fma_f64 v[27:28], -v[40:41], v[12:13], v[27:28]
	v_fma_f64 v[38:39], v[38:39], v[12:13], v[58:59]
	v_fma_f64 v[16:17], -v[16:17], v[12:13], v[30:31]
	;; [unrolled: 2-line block ×3, first 2 shown]
	v_fma_f64 v[10:11], v[18:19], v[12:13], v[10:11]
	s_waitcnt vmcnt(1)
	v_fma_f64 v[12:13], v[42:43], v[34:35], v[27:28]
	v_fma_f64 v[24:25], v[44:45], v[34:35], v[38:39]
	s_waitcnt vmcnt(0)
	v_fma_f64 v[27:28], v[46:47], v[34:35], v[16:17]
	v_fma_f64 v[14:15], v[48:49], v[34:35], v[14:15]
	v_fma_f64 v[30:31], v[50:51], v[34:35], v[20:21]
	v_fma_f64 v[34:35], v[52:53], v[34:35], v[10:11]
	v_fma_f64 v[17:18], -v[44:45], v[36:37], v[12:13]
	v_fma_f64 v[11:12], v[42:43], v[36:37], v[24:25]
	v_fma_f64 v[19:20], -v[48:49], v[36:37], v[27:28]
	v_fma_f64 v[21:22], v[46:47], v[36:37], v[14:15]
	;; [unrolled: 2-line block ×3, first 2 shown]
	s_and_not1_b32 exec_lo, exec_lo, s0
	s_cbranch_execnz .LBB131_17
; %bb.18:
	s_or_b32 exec_lo, exec_lo, s0
.LBB131_19:
	s_delay_alu instid0(SALU_CYCLE_1)
	s_or_b32 exec_lo, exec_lo, s1
.LBB131_20:
	v_mbcnt_lo_u32_b32 v34, -1, 0
	s_delay_alu instid0(VALU_DEP_1) | instskip(NEXT) | instid1(VALU_DEP_1)
	v_xor_b32_e32 v9, 2, v34
	v_cmp_gt_i32_e32 vcc_lo, 32, v9
	v_cndmask_b32_e32 v9, v34, v9, vcc_lo
	s_delay_alu instid0(VALU_DEP_1)
	v_lshlrev_b32_e32 v32, 2, v9
	ds_bpermute_b32 v23, v32, v11
	ds_bpermute_b32 v24, v32, v12
	;; [unrolled: 1-line block ×4, first 2 shown]
	s_waitcnt lgkmcnt(2)
	v_add_f64 v[23:24], v[11:12], v[23:24]
	s_waitcnt lgkmcnt(0)
	v_add_f64 v[11:12], v[19:20], v[25:26]
	v_xor_b32_e32 v19, 1, v34
	s_delay_alu instid0(VALU_DEP_1)
	v_cmp_gt_i32_e32 vcc_lo, 32, v19
	v_cndmask_b32_e32 v19, v34, v19, vcc_lo
	ds_bpermute_b32 v9, v32, v17
	ds_bpermute_b32 v10, v32, v18
	;; [unrolled: 1-line block ×8, first 2 shown]
	v_lshlrev_b32_e32 v26, 2, v19
	v_cmp_eq_u32_e32 vcc_lo, 3, v33
	s_waitcnt lgkmcnt(6)
	v_add_f64 v[9:10], v[17:18], v[9:10]
	s_waitcnt lgkmcnt(4)
	v_add_f64 v[17:18], v[21:22], v[27:28]
	ds_bpermute_b32 v19, v26, v23
	s_waitcnt lgkmcnt(3)
	v_add_f64 v[13:14], v[13:14], v[29:30]
	ds_bpermute_b32 v20, v26, v24
	;; [unrolled: 3-line block ×3, first 2 shown]
	ds_bpermute_b32 v30, v26, v12
	ds_bpermute_b32 v31, v26, v9
	;; [unrolled: 1-line block ×9, first 2 shown]
	s_and_b32 exec_lo, exec_lo, vcc_lo
	s_cbranch_execz .LBB131_25
; %bb.21:
	v_cmp_eq_f64_e32 vcc_lo, 0, v[4:5]
	v_cmp_eq_f64_e64 s0, 0, v[6:7]
	s_waitcnt lgkmcnt(6)
	v_add_f64 v[9:10], v[9:10], v[31:32]
	v_add_f64 v[19:20], v[23:24], v[19:20]
	;; [unrolled: 1-line block ×3, first 2 shown]
	s_waitcnt lgkmcnt(4)
	v_add_f64 v[17:18], v[17:18], v[27:28]
	s_waitcnt lgkmcnt(2)
	v_add_f64 v[13:14], v[13:14], v[21:22]
	;; [unrolled: 2-line block ×3, first 2 shown]
	s_load_b64 s[2:3], s[2:3], 0x48
	s_and_b32 s0, vcc_lo, s0
	s_delay_alu instid0(SALU_CYCLE_1) | instskip(NEXT) | instid1(SALU_CYCLE_1)
	s_and_saveexec_b32 s1, s0
	s_xor_b32 s0, exec_lo, s1
	s_cbranch_execz .LBB131_23
; %bb.22:
	v_mul_f64 v[4:5], v[19:20], -v[2:3]
	v_mul_f64 v[6:7], v[0:1], v[19:20]
	v_mul_f64 v[19:20], v[17:18], -v[2:3]
	v_mul_f64 v[17:18], v[0:1], v[17:18]
	v_mul_f64 v[21:22], v[15:16], -v[2:3]
	v_mul_f64 v[15:16], v[0:1], v[15:16]
	v_fma_f64 v[4:5], v[0:1], v[9:10], v[4:5]
	v_fma_f64 v[6:7], v[2:3], v[9:10], v[6:7]
	;; [unrolled: 1-line block ×6, first 2 shown]
	v_lshl_add_u32 v13, v8, 1, v8
                                        ; implicit-def: $vgpr8
                                        ; implicit-def: $vgpr19_vgpr20
                                        ; implicit-def: $vgpr17_vgpr18
                                        ; implicit-def: $vgpr15_vgpr16
	s_delay_alu instid0(VALU_DEP_1) | instskip(NEXT) | instid1(VALU_DEP_1)
	v_ashrrev_i32_e32 v14, 31, v13
	v_lshlrev_b64 v[13:14], 4, v[13:14]
	s_waitcnt lgkmcnt(0)
	s_delay_alu instid0(VALU_DEP_1) | instskip(NEXT) | instid1(VALU_DEP_2)
	v_add_co_u32 v13, vcc_lo, s2, v13
	v_add_co_ci_u32_e32 v14, vcc_lo, s3, v14, vcc_lo
	s_clause 0x2
	global_store_b128 v[13:14], v[4:7], off
	global_store_b128 v[13:14], v[9:12], off offset:16
	global_store_b128 v[13:14], v[0:3], off offset:32
                                        ; implicit-def: $vgpr0_vgpr1
                                        ; implicit-def: $vgpr2_vgpr3
                                        ; implicit-def: $vgpr4_vgpr5
                                        ; implicit-def: $vgpr6_vgpr7
                                        ; implicit-def: $vgpr9_vgpr10
                                        ; implicit-def: $vgpr11_vgpr12
                                        ; implicit-def: $vgpr13_vgpr14
.LBB131_23:
	s_and_not1_saveexec_b32 s0, s0
	s_cbranch_execz .LBB131_25
; %bb.24:
	v_lshl_add_u32 v21, v8, 1, v8
	v_mul_f64 v[35:36], v[19:20], -v[2:3]
	v_mul_f64 v[19:20], v[0:1], v[19:20]
	v_mul_f64 v[37:38], v[17:18], -v[2:3]
	v_mul_f64 v[17:18], v[0:1], v[17:18]
	v_ashrrev_i32_e32 v22, 31, v21
	v_mul_f64 v[39:40], v[15:16], -v[2:3]
	v_mul_f64 v[15:16], v[0:1], v[15:16]
	s_delay_alu instid0(VALU_DEP_3) | instskip(SKIP_1) | instid1(VALU_DEP_1)
	v_lshlrev_b64 v[21:22], 4, v[21:22]
	s_waitcnt lgkmcnt(0)
	v_add_co_u32 v33, vcc_lo, s2, v21
	s_delay_alu instid0(VALU_DEP_2)
	v_add_co_ci_u32_e32 v34, vcc_lo, s3, v22, vcc_lo
	s_clause 0x2
	global_load_b128 v[21:24], v[33:34], off
	global_load_b128 v[25:28], v[33:34], off offset:16
	global_load_b128 v[29:32], v[33:34], off offset:32
	v_fma_f64 v[35:36], v[0:1], v[9:10], v[35:36]
	v_fma_f64 v[8:9], v[2:3], v[9:10], v[19:20]
	;; [unrolled: 1-line block ×6, first 2 shown]
	s_waitcnt vmcnt(2)
	v_fma_f64 v[12:13], v[4:5], v[21:22], v[35:36]
	v_fma_f64 v[8:9], v[6:7], v[21:22], v[8:9]
	s_waitcnt vmcnt(1)
	v_fma_f64 v[14:15], v[4:5], v[25:26], v[19:20]
	v_fma_f64 v[10:11], v[6:7], v[25:26], v[10:11]
	;; [unrolled: 3-line block ×3, first 2 shown]
	v_fma_f64 v[0:1], -v[6:7], v[23:24], v[12:13]
	v_fma_f64 v[2:3], v[4:5], v[23:24], v[8:9]
	v_fma_f64 v[8:9], -v[6:7], v[27:28], v[14:15]
	v_fma_f64 v[10:11], v[4:5], v[27:28], v[10:11]
	;; [unrolled: 2-line block ×3, first 2 shown]
	s_clause 0x2
	global_store_b128 v[33:34], v[0:3], off
	global_store_b128 v[33:34], v[8:11], off offset:16
	global_store_b128 v[33:34], v[12:15], off offset:32
.LBB131_25:
	s_nop 0
	s_sendmsg sendmsg(MSG_DEALLOC_VGPRS)
	s_endpgm
	.section	.rodata,"a",@progbits
	.p2align	6, 0x0
	.amdhsa_kernel _ZN9rocsparseL19gebsrmvn_3xn_kernelILj128ELj6ELj4E21rocsparse_complex_numIdEEEvi20rocsparse_direction_NS_24const_host_device_scalarIT2_EEPKiS8_PKS5_SA_S6_PS5_21rocsparse_index_base_b
		.amdhsa_group_segment_fixed_size 2048
		.amdhsa_private_segment_fixed_size 0
		.amdhsa_kernarg_size 88
		.amdhsa_user_sgpr_count 15
		.amdhsa_user_sgpr_dispatch_ptr 1
		.amdhsa_user_sgpr_queue_ptr 0
		.amdhsa_user_sgpr_kernarg_segment_ptr 1
		.amdhsa_user_sgpr_dispatch_id 0
		.amdhsa_user_sgpr_private_segment_size 0
		.amdhsa_wavefront_size32 1
		.amdhsa_uses_dynamic_stack 0
		.amdhsa_enable_private_segment 0
		.amdhsa_system_sgpr_workgroup_id_x 1
		.amdhsa_system_sgpr_workgroup_id_y 0
		.amdhsa_system_sgpr_workgroup_id_z 0
		.amdhsa_system_sgpr_workgroup_info 0
		.amdhsa_system_vgpr_workitem_id 2
		.amdhsa_next_free_vgpr 118
		.amdhsa_next_free_sgpr 18
		.amdhsa_reserve_vcc 1
		.amdhsa_float_round_mode_32 0
		.amdhsa_float_round_mode_16_64 0
		.amdhsa_float_denorm_mode_32 3
		.amdhsa_float_denorm_mode_16_64 3
		.amdhsa_dx10_clamp 1
		.amdhsa_ieee_mode 1
		.amdhsa_fp16_overflow 0
		.amdhsa_workgroup_processor_mode 1
		.amdhsa_memory_ordered 1
		.amdhsa_forward_progress 0
		.amdhsa_shared_vgpr_count 0
		.amdhsa_exception_fp_ieee_invalid_op 0
		.amdhsa_exception_fp_denorm_src 0
		.amdhsa_exception_fp_ieee_div_zero 0
		.amdhsa_exception_fp_ieee_overflow 0
		.amdhsa_exception_fp_ieee_underflow 0
		.amdhsa_exception_fp_ieee_inexact 0
		.amdhsa_exception_int_div_zero 0
	.end_amdhsa_kernel
	.section	.text._ZN9rocsparseL19gebsrmvn_3xn_kernelILj128ELj6ELj4E21rocsparse_complex_numIdEEEvi20rocsparse_direction_NS_24const_host_device_scalarIT2_EEPKiS8_PKS5_SA_S6_PS5_21rocsparse_index_base_b,"axG",@progbits,_ZN9rocsparseL19gebsrmvn_3xn_kernelILj128ELj6ELj4E21rocsparse_complex_numIdEEEvi20rocsparse_direction_NS_24const_host_device_scalarIT2_EEPKiS8_PKS5_SA_S6_PS5_21rocsparse_index_base_b,comdat
.Lfunc_end131:
	.size	_ZN9rocsparseL19gebsrmvn_3xn_kernelILj128ELj6ELj4E21rocsparse_complex_numIdEEEvi20rocsparse_direction_NS_24const_host_device_scalarIT2_EEPKiS8_PKS5_SA_S6_PS5_21rocsparse_index_base_b, .Lfunc_end131-_ZN9rocsparseL19gebsrmvn_3xn_kernelILj128ELj6ELj4E21rocsparse_complex_numIdEEEvi20rocsparse_direction_NS_24const_host_device_scalarIT2_EEPKiS8_PKS5_SA_S6_PS5_21rocsparse_index_base_b
                                        ; -- End function
	.section	.AMDGPU.csdata,"",@progbits
; Kernel info:
; codeLenInByte = 4612
; NumSgprs: 20
; NumVgprs: 118
; ScratchSize: 0
; MemoryBound: 0
; FloatMode: 240
; IeeeMode: 1
; LDSByteSize: 2048 bytes/workgroup (compile time only)
; SGPRBlocks: 2
; VGPRBlocks: 14
; NumSGPRsForWavesPerEU: 20
; NumVGPRsForWavesPerEU: 118
; Occupancy: 12
; WaveLimiterHint : 1
; COMPUTE_PGM_RSRC2:SCRATCH_EN: 0
; COMPUTE_PGM_RSRC2:USER_SGPR: 15
; COMPUTE_PGM_RSRC2:TRAP_HANDLER: 0
; COMPUTE_PGM_RSRC2:TGID_X_EN: 1
; COMPUTE_PGM_RSRC2:TGID_Y_EN: 0
; COMPUTE_PGM_RSRC2:TGID_Z_EN: 0
; COMPUTE_PGM_RSRC2:TIDIG_COMP_CNT: 2
	.section	.text._ZN9rocsparseL19gebsrmvn_3xn_kernelILj128ELj6ELj8E21rocsparse_complex_numIdEEEvi20rocsparse_direction_NS_24const_host_device_scalarIT2_EEPKiS8_PKS5_SA_S6_PS5_21rocsparse_index_base_b,"axG",@progbits,_ZN9rocsparseL19gebsrmvn_3xn_kernelILj128ELj6ELj8E21rocsparse_complex_numIdEEEvi20rocsparse_direction_NS_24const_host_device_scalarIT2_EEPKiS8_PKS5_SA_S6_PS5_21rocsparse_index_base_b,comdat
	.globl	_ZN9rocsparseL19gebsrmvn_3xn_kernelILj128ELj6ELj8E21rocsparse_complex_numIdEEEvi20rocsparse_direction_NS_24const_host_device_scalarIT2_EEPKiS8_PKS5_SA_S6_PS5_21rocsparse_index_base_b ; -- Begin function _ZN9rocsparseL19gebsrmvn_3xn_kernelILj128ELj6ELj8E21rocsparse_complex_numIdEEEvi20rocsparse_direction_NS_24const_host_device_scalarIT2_EEPKiS8_PKS5_SA_S6_PS5_21rocsparse_index_base_b
	.p2align	8
	.type	_ZN9rocsparseL19gebsrmvn_3xn_kernelILj128ELj6ELj8E21rocsparse_complex_numIdEEEvi20rocsparse_direction_NS_24const_host_device_scalarIT2_EEPKiS8_PKS5_SA_S6_PS5_21rocsparse_index_base_b,@function
_ZN9rocsparseL19gebsrmvn_3xn_kernelILj128ELj6ELj8E21rocsparse_complex_numIdEEEvi20rocsparse_direction_NS_24const_host_device_scalarIT2_EEPKiS8_PKS5_SA_S6_PS5_21rocsparse_index_base_b: ; @_ZN9rocsparseL19gebsrmvn_3xn_kernelILj128ELj6ELj8E21rocsparse_complex_numIdEEEvi20rocsparse_direction_NS_24const_host_device_scalarIT2_EEPKiS8_PKS5_SA_S6_PS5_21rocsparse_index_base_b
; %bb.0:
	s_load_b64 s[12:13], s[2:3], 0x50
	s_load_b64 s[16:17], s[0:1], 0x4
	s_load_b128 s[8:11], s[2:3], 0x8
	v_bfe_u32 v1, v0, 10, 10
	s_mov_b64 s[0:1], src_shared_base
	s_load_b128 s[4:7], s[2:3], 0x38
	v_and_b32_e32 v10, 0x3ff, v0
	v_bfe_u32 v0, v0, 20, 10
	s_waitcnt lgkmcnt(0)
	s_bitcmp1_b32 s13, 0
	v_mul_u32_u24_e32 v1, s17, v1
	s_cselect_b32 s0, -1, 0
	s_delay_alu instid0(SALU_CYCLE_1)
	s_and_b32 vcc_lo, s0, exec_lo
	s_cselect_b32 s13, s1, s9
	s_lshr_b32 s14, s16, 16
	v_dual_mov_b32 v2, s4 :: v_dual_mov_b32 v3, s5
	s_mul_i32 s14, s14, s17
	v_mov_b32_e32 v6, s13
	v_mad_u32_u24 v1, s14, v10, v1
	s_delay_alu instid0(VALU_DEP_1) | instskip(SKIP_1) | instid1(VALU_DEP_2)
	v_add_lshl_u32 v4, v1, v0, 3
	v_dual_mov_b32 v0, s8 :: v_dual_mov_b32 v1, s9
	v_add_nc_u32_e32 v5, 0x400, v4
	ds_store_2addr_stride64_b64 v4, v[2:3], v[0:1] offset1:2
	v_dual_mov_b32 v2, s10 :: v_dual_mov_b32 v3, s11
	v_cndmask_b32_e64 v5, s8, v5, s0
	s_xor_b32 s10, s0, -1
	flat_load_b64 v[0:1], v[5:6]
	s_cbranch_vccnz .LBB132_2
; %bb.1:
	v_dual_mov_b32 v2, s8 :: v_dual_mov_b32 v3, s9
	flat_load_b64 v[2:3], v[2:3] offset:8
.LBB132_2:
	s_and_b32 s8, s0, exec_lo
	s_cselect_b32 s1, s1, s5
	v_cndmask_b32_e64 v4, s4, v4, s0
	v_dual_mov_b32 v5, s1 :: v_dual_mov_b32 v6, s6
	v_mov_b32_e32 v7, s7
	s_and_not1_b32 vcc_lo, exec_lo, s10
	flat_load_b64 v[4:5], v[4:5]
	s_cbranch_vccnz .LBB132_4
; %bb.3:
	v_dual_mov_b32 v7, s5 :: v_dual_mov_b32 v6, s4
	flat_load_b64 v[6:7], v[6:7] offset:8
.LBB132_4:
	s_waitcnt vmcnt(1) lgkmcnt(1)
	v_cmp_eq_f64_e32 vcc_lo, 0, v[0:1]
	v_cmp_eq_f64_e64 s0, 0, v[2:3]
	s_delay_alu instid0(VALU_DEP_1)
	s_and_b32 s4, vcc_lo, s0
	s_mov_b32 s0, -1
	s_and_saveexec_b32 s1, s4
	s_cbranch_execz .LBB132_6
; %bb.5:
	s_waitcnt vmcnt(0) lgkmcnt(0)
	v_cmp_neq_f64_e32 vcc_lo, 1.0, v[4:5]
	v_cmp_neq_f64_e64 s0, 0, v[6:7]
	s_delay_alu instid0(VALU_DEP_1) | instskip(NEXT) | instid1(SALU_CYCLE_1)
	s_or_b32 s0, vcc_lo, s0
	s_or_not1_b32 s0, s0, exec_lo
.LBB132_6:
	s_or_b32 exec_lo, exec_lo, s1
	s_and_saveexec_b32 s1, s0
	s_cbranch_execz .LBB132_25
; %bb.7:
	s_load_b64 s[0:1], s[2:3], 0x0
	v_lshrrev_b32_e32 v8, 3, v10
	s_delay_alu instid0(VALU_DEP_1) | instskip(SKIP_1) | instid1(VALU_DEP_1)
	v_lshl_or_b32 v8, s15, 4, v8
	s_waitcnt lgkmcnt(0)
	v_cmp_gt_i32_e32 vcc_lo, s0, v8
	s_and_b32 exec_lo, exec_lo, vcc_lo
	s_cbranch_execz .LBB132_25
; %bb.8:
	s_load_b256 s[4:11], s[2:3], 0x18
	v_ashrrev_i32_e32 v9, 31, v8
	v_and_b32_e32 v33, 7, v10
	s_cmp_lg_u32 s1, 0
	s_delay_alu instid0(VALU_DEP_2) | instskip(SKIP_1) | instid1(VALU_DEP_1)
	v_lshlrev_b64 v[11:12], 2, v[8:9]
	s_waitcnt lgkmcnt(0)
	v_add_co_u32 v11, vcc_lo, s4, v11
	s_delay_alu instid0(VALU_DEP_2) | instskip(SKIP_4) | instid1(VALU_DEP_2)
	v_add_co_ci_u32_e32 v12, vcc_lo, s5, v12, vcc_lo
	global_load_b64 v[11:12], v[11:12], off
	s_waitcnt vmcnt(0)
	v_subrev_nc_u32_e32 v9, s12, v11
	v_subrev_nc_u32_e32 v29, s12, v12
	v_add_nc_u32_e32 v9, v9, v33
	s_delay_alu instid0(VALU_DEP_1)
	v_cmp_lt_i32_e64 s0, v9, v29
	s_cbranch_scc0 .LBB132_14
; %bb.9:
	v_mov_b32_e32 v11, 0
	v_mov_b32_e32 v12, 0
	s_delay_alu instid0(VALU_DEP_1)
	v_dual_mov_b32 v18, v12 :: v_dual_mov_b32 v17, v11
	v_dual_mov_b32 v14, v12 :: v_dual_mov_b32 v13, v11
	v_dual_mov_b32 v16, v12 :: v_dual_mov_b32 v15, v11
	v_dual_mov_b32 v20, v12 :: v_dual_mov_b32 v19, v11
	v_dual_mov_b32 v22, v12 :: v_dual_mov_b32 v21, v11
	s_and_saveexec_b32 s1, s0
	s_cbranch_execz .LBB132_13
; %bb.10:
	v_dual_mov_b32 v11, 0 :: v_dual_mov_b32 v26, v9
	v_dual_mov_b32 v12, 0 :: v_dual_mov_b32 v25, 0
	v_mad_u64_u32 v[23:24], null, v9, 18, 17
	s_mov_b32 s4, 0
	s_delay_alu instid0(VALU_DEP_2)
	v_dual_mov_b32 v18, v12 :: v_dual_mov_b32 v17, v11
	v_dual_mov_b32 v14, v12 :: v_dual_mov_b32 v13, v11
	;; [unrolled: 1-line block ×5, first 2 shown]
.LBB132_11:                             ; =>This Inner Loop Header: Depth=1
	v_ashrrev_i32_e32 v27, 31, v26
	v_subrev_nc_u32_e32 v24, 17, v23
	s_delay_alu instid0(VALU_DEP_2) | instskip(NEXT) | instid1(VALU_DEP_2)
	v_lshlrev_b64 v[27:28], 2, v[26:27]
	v_lshlrev_b64 v[30:31], 4, v[24:25]
	v_add_nc_u32_e32 v24, -15, v23
	v_add_nc_u32_e32 v26, 8, v26
	s_delay_alu instid0(VALU_DEP_4) | instskip(SKIP_1) | instid1(VALU_DEP_4)
	v_add_co_u32 v27, vcc_lo, s6, v27
	v_add_co_ci_u32_e32 v28, vcc_lo, s7, v28, vcc_lo
	v_lshlrev_b64 v[34:35], 4, v[24:25]
	v_add_co_u32 v30, vcc_lo, s8, v30
	global_load_b32 v10, v[27:28], off
	v_add_co_ci_u32_e32 v31, vcc_lo, s9, v31, vcc_lo
	v_mov_b32_e32 v28, v25
	v_add_co_u32 v42, vcc_lo, s8, v34
	v_add_co_ci_u32_e32 v43, vcc_lo, s9, v35, vcc_lo
	s_clause 0x2
	global_load_b128 v[34:37], v[30:31], off offset:16
	global_load_b128 v[38:41], v[30:31], off
	global_load_b128 v[42:45], v[42:43], off
	v_add_nc_u32_e32 v24, -14, v23
	s_delay_alu instid0(VALU_DEP_1) | instskip(SKIP_1) | instid1(VALU_DEP_1)
	v_lshlrev_b64 v[50:51], 4, v[24:25]
	v_add_nc_u32_e32 v24, -13, v23
	v_lshlrev_b64 v[52:53], 4, v[24:25]
	v_add_nc_u32_e32 v24, -12, v23
	s_delay_alu instid0(VALU_DEP_1) | instskip(SKIP_3) | instid1(VALU_DEP_1)
	v_lshlrev_b64 v[54:55], 4, v[24:25]
	v_add_nc_u32_e32 v24, -11, v23
	s_waitcnt vmcnt(3)
	v_subrev_nc_u32_e32 v10, s12, v10
	v_mul_lo_u32 v27, v10, 6
	s_delay_alu instid0(VALU_DEP_1) | instskip(NEXT) | instid1(VALU_DEP_1)
	v_lshlrev_b64 v[30:31], 4, v[27:28]
	v_add_co_u32 v30, vcc_lo, s10, v30
	s_delay_alu instid0(VALU_DEP_2)
	v_add_co_ci_u32_e32 v31, vcc_lo, s11, v31, vcc_lo
	v_add_co_u32 v50, vcc_lo, s8, v50
	v_add_co_ci_u32_e32 v51, vcc_lo, s9, v51, vcc_lo
	global_load_b128 v[46:49], v[30:31], off
	v_add_co_u32 v56, vcc_lo, s8, v52
	v_add_co_ci_u32_e32 v57, vcc_lo, s9, v53, vcc_lo
	v_add_co_u32 v58, vcc_lo, s8, v54
	v_add_co_ci_u32_e32 v59, vcc_lo, s9, v55, vcc_lo
	s_clause 0x2
	global_load_b128 v[50:53], v[50:51], off
	global_load_b128 v[54:57], v[56:57], off
	;; [unrolled: 1-line block ×3, first 2 shown]
	global_load_b128 v[62:65], v[30:31], off offset:16
	v_lshlrev_b64 v[30:31], 4, v[24:25]
	v_add_nc_u32_e32 v24, 2, v27
	s_delay_alu instid0(VALU_DEP_2) | instskip(NEXT) | instid1(VALU_DEP_3)
	v_add_co_u32 v30, vcc_lo, s8, v30
	v_add_co_ci_u32_e32 v31, vcc_lo, s9, v31, vcc_lo
	global_load_b128 v[66:69], v[30:31], off
	v_lshlrev_b64 v[30:31], 4, v[24:25]
	v_add_nc_u32_e32 v24, -10, v23
	s_delay_alu instid0(VALU_DEP_1) | instskip(SKIP_1) | instid1(VALU_DEP_4)
	v_lshlrev_b64 v[70:71], 4, v[24:25]
	v_add_nc_u32_e32 v24, -9, v23
	v_add_co_u32 v30, vcc_lo, s10, v30
	v_add_co_ci_u32_e32 v31, vcc_lo, s11, v31, vcc_lo
	s_delay_alu instid0(VALU_DEP_3) | instskip(SKIP_3) | instid1(VALU_DEP_4)
	v_lshlrev_b64 v[72:73], 4, v[24:25]
	v_add_co_u32 v74, vcc_lo, s8, v70
	v_add_co_ci_u32_e32 v75, vcc_lo, s9, v71, vcc_lo
	v_add_nc_u32_e32 v24, -8, v23
	v_add_co_u32 v78, vcc_lo, s8, v72
	v_add_co_ci_u32_e32 v79, vcc_lo, s9, v73, vcc_lo
	global_load_b128 v[70:73], v[30:31], off
	s_clause 0x1
	global_load_b128 v[74:77], v[74:75], off
	global_load_b128 v[78:81], v[78:79], off
	global_load_b128 v[82:85], v[30:31], off offset:16
	v_lshlrev_b64 v[30:31], 4, v[24:25]
	v_add_nc_u32_e32 v24, -7, v23
	s_delay_alu instid0(VALU_DEP_1) | instskip(SKIP_1) | instid1(VALU_DEP_4)
	v_lshlrev_b64 v[86:87], 4, v[24:25]
	v_add_nc_u32_e32 v24, -6, v23
	v_add_co_u32 v30, vcc_lo, s8, v30
	v_add_co_ci_u32_e32 v31, vcc_lo, s9, v31, vcc_lo
	s_delay_alu instid0(VALU_DEP_3) | instskip(SKIP_3) | instid1(VALU_DEP_4)
	v_lshlrev_b64 v[88:89], 4, v[24:25]
	v_add_co_u32 v90, vcc_lo, s8, v86
	v_add_co_ci_u32_e32 v91, vcc_lo, s9, v87, vcc_lo
	v_add_nc_u32_e32 v24, -5, v23
	v_add_co_u32 v94, vcc_lo, s8, v88
	v_add_co_ci_u32_e32 v95, vcc_lo, s9, v89, vcc_lo
	s_clause 0x2
	global_load_b128 v[86:89], v[30:31], off
	global_load_b128 v[90:93], v[90:91], off
	;; [unrolled: 1-line block ×3, first 2 shown]
	v_lshlrev_b64 v[30:31], 4, v[24:25]
	v_add_nc_u32_e32 v24, 4, v27
	s_delay_alu instid0(VALU_DEP_1) | instskip(SKIP_1) | instid1(VALU_DEP_4)
	v_lshlrev_b64 v[27:28], 4, v[24:25]
	v_add_nc_u32_e32 v24, -4, v23
	v_add_co_u32 v30, vcc_lo, s8, v30
	v_add_co_ci_u32_e32 v31, vcc_lo, s9, v31, vcc_lo
	s_delay_alu instid0(VALU_DEP_3)
	v_lshlrev_b64 v[102:103], 4, v[24:25]
	v_add_nc_u32_e32 v24, -3, v23
	v_add_co_u32 v27, vcc_lo, s10, v27
	global_load_b128 v[98:101], v[30:31], off
	v_add_co_ci_u32_e32 v28, vcc_lo, s11, v28, vcc_lo
	v_lshlrev_b64 v[30:31], 4, v[24:25]
	v_add_co_u32 v106, vcc_lo, s8, v102
	v_add_co_ci_u32_e32 v107, vcc_lo, s9, v103, vcc_lo
	v_mov_b32_e32 v24, v25
	s_delay_alu instid0(VALU_DEP_4)
	v_add_co_u32 v30, vcc_lo, s8, v30
	v_add_co_ci_u32_e32 v31, vcc_lo, s9, v31, vcc_lo
	global_load_b128 v[102:105], v[27:28], off
	s_clause 0x1
	global_load_b128 v[106:109], v[106:107], off
	global_load_b128 v[110:113], v[30:31], off
	s_waitcnt vmcnt(16)
	v_fma_f64 v[17:18], v[38:39], v[46:47], v[17:18]
	v_fma_f64 v[10:11], v[40:41], v[46:47], v[11:12]
	;; [unrolled: 1-line block ×6, first 2 shown]
	v_lshlrev_b64 v[12:13], 4, v[23:24]
	v_add_nc_u32_e32 v24, -2, v23
	s_delay_alu instid0(VALU_DEP_2) | instskip(NEXT) | instid1(VALU_DEP_3)
	v_add_co_u32 v12, vcc_lo, s8, v12
	v_add_co_ci_u32_e32 v13, vcc_lo, s9, v13, vcc_lo
	global_load_b128 v[114:117], v[12:13], off
	global_load_b128 v[13:16], v[27:28], off offset:16
	v_lshlrev_b64 v[27:28], 4, v[24:25]
	v_add_nc_u32_e32 v24, -1, v23
	v_add_nc_u32_e32 v23, 0x90, v23
	v_fma_f64 v[17:18], -v[40:41], v[48:49], v[17:18]
	v_fma_f64 v[10:11], v[38:39], v[48:49], v[10:11]
	v_fma_f64 v[38:39], -v[36:37], v[48:49], v[19:20]
	v_fma_f64 v[40:41], v[34:35], v[48:49], v[21:22]
	;; [unrolled: 2-line block ×3, first 2 shown]
	v_lshlrev_b64 v[19:20], 4, v[24:25]
	v_add_co_u32 v21, vcc_lo, s8, v27
	v_add_co_ci_u32_e32 v22, vcc_lo, s9, v28, vcc_lo
	s_delay_alu instid0(VALU_DEP_3) | instskip(NEXT) | instid1(VALU_DEP_4)
	v_add_co_u32 v27, vcc_lo, s8, v19
	v_add_co_ci_u32_e32 v28, vcc_lo, s9, v20, vcc_lo
	s_clause 0x1
	global_load_b128 v[19:22], v[21:22], off
	global_load_b128 v[34:37], v[27:28], off
	v_cmp_ge_i32_e32 vcc_lo, v26, v29
	s_or_b32 s4, vcc_lo, s4
	s_waitcnt vmcnt(16)
	v_fma_f64 v[17:18], v[50:51], v[62:63], v[17:18]
	v_fma_f64 v[10:11], v[52:53], v[62:63], v[10:11]
	;; [unrolled: 1-line block ×6, first 2 shown]
	v_fma_f64 v[17:18], -v[52:53], v[64:65], v[17:18]
	v_fma_f64 v[10:11], v[50:51], v[64:65], v[10:11]
	v_fma_f64 v[27:28], -v[56:57], v[64:65], v[27:28]
	v_fma_f64 v[38:39], v[54:55], v[64:65], v[38:39]
	v_fma_f64 v[30:31], -v[60:61], v[64:65], v[30:31]
	v_fma_f64 v[40:41], v[58:59], v[64:65], v[40:41]
	s_waitcnt vmcnt(14)
	v_fma_f64 v[17:18], v[66:67], v[70:71], v[17:18]
	v_fma_f64 v[10:11], v[68:69], v[70:71], v[10:11]
	s_waitcnt vmcnt(13)
	v_fma_f64 v[27:28], v[74:75], v[70:71], v[27:28]
	v_fma_f64 v[38:39], v[76:77], v[70:71], v[38:39]
	s_waitcnt vmcnt(12)
	v_fma_f64 v[30:31], v[78:79], v[70:71], v[30:31]
	v_fma_f64 v[40:41], v[80:81], v[70:71], v[40:41]
	v_fma_f64 v[17:18], -v[68:69], v[72:73], v[17:18]
	v_fma_f64 v[10:11], v[66:67], v[72:73], v[10:11]
	v_fma_f64 v[27:28], -v[76:77], v[72:73], v[27:28]
	v_fma_f64 v[38:39], v[74:75], v[72:73], v[38:39]
	v_fma_f64 v[30:31], -v[80:81], v[72:73], v[30:31]
	v_fma_f64 v[40:41], v[78:79], v[72:73], v[40:41]
	s_waitcnt vmcnt(10)
	v_fma_f64 v[17:18], v[86:87], v[82:83], v[17:18]
	v_fma_f64 v[10:11], v[88:89], v[82:83], v[10:11]
	s_waitcnt vmcnt(9)
	v_fma_f64 v[27:28], v[90:91], v[82:83], v[27:28]
	v_fma_f64 v[38:39], v[92:93], v[82:83], v[38:39]
	s_waitcnt vmcnt(8)
	v_fma_f64 v[30:31], v[94:95], v[82:83], v[30:31]
	v_fma_f64 v[40:41], v[96:97], v[82:83], v[40:41]
	;; [unrolled: 15-line block ×3, first 2 shown]
	v_fma_f64 v[17:18], -v[100:101], v[104:105], v[17:18]
	v_fma_f64 v[10:11], v[98:99], v[104:105], v[10:11]
	v_fma_f64 v[27:28], -v[108:109], v[104:105], v[27:28]
	v_fma_f64 v[38:39], v[106:107], v[104:105], v[38:39]
	;; [unrolled: 2-line block ×3, first 2 shown]
	s_waitcnt vmcnt(1)
	v_fma_f64 v[17:18], v[19:20], v[13:14], v[17:18]
	v_fma_f64 v[10:11], v[21:22], v[13:14], v[10:11]
	s_waitcnt vmcnt(0)
	v_fma_f64 v[27:28], v[34:35], v[13:14], v[27:28]
	v_fma_f64 v[38:39], v[36:37], v[13:14], v[38:39]
	;; [unrolled: 1-line block ×4, first 2 shown]
	v_fma_f64 v[17:18], -v[21:22], v[15:16], v[17:18]
	v_fma_f64 v[11:12], v[19:20], v[15:16], v[10:11]
	v_fma_f64 v[19:20], -v[36:37], v[15:16], v[27:28]
	v_fma_f64 v[21:22], v[34:35], v[15:16], v[38:39]
	;; [unrolled: 2-line block ×3, first 2 shown]
	s_and_not1_b32 exec_lo, exec_lo, s4
	s_cbranch_execnz .LBB132_11
; %bb.12:
	s_or_b32 exec_lo, exec_lo, s4
.LBB132_13:
	s_delay_alu instid0(SALU_CYCLE_1)
	s_or_b32 exec_lo, exec_lo, s1
	s_cbranch_execz .LBB132_15
	s_branch .LBB132_20
.LBB132_14:
                                        ; implicit-def: $vgpr11_vgpr12
                                        ; implicit-def: $vgpr17_vgpr18
                                        ; implicit-def: $vgpr13_vgpr14
                                        ; implicit-def: $vgpr15_vgpr16
                                        ; implicit-def: $vgpr19_vgpr20
                                        ; implicit-def: $vgpr21_vgpr22
.LBB132_15:
	v_mov_b32_e32 v11, 0
	v_mov_b32_e32 v12, 0
	s_delay_alu instid0(VALU_DEP_1)
	v_dual_mov_b32 v18, v12 :: v_dual_mov_b32 v17, v11
	v_dual_mov_b32 v14, v12 :: v_dual_mov_b32 v13, v11
	;; [unrolled: 1-line block ×5, first 2 shown]
	s_and_saveexec_b32 s1, s0
	s_cbranch_execz .LBB132_19
; %bb.16:
	v_dual_mov_b32 v11, 0 :: v_dual_mov_b32 v26, 0
	v_mov_b32_e32 v12, 0
	v_mad_u64_u32 v[23:24], null, v9, 18, 17
	s_mov_b32 s0, 0
	s_delay_alu instid0(VALU_DEP_2)
	v_dual_mov_b32 v18, v12 :: v_dual_mov_b32 v17, v11
	v_dual_mov_b32 v14, v12 :: v_dual_mov_b32 v13, v11
	;; [unrolled: 1-line block ×5, first 2 shown]
.LBB132_17:                             ; =>This Inner Loop Header: Depth=1
	v_ashrrev_i32_e32 v10, 31, v9
	v_dual_mov_b32 v31, v26 :: v_dual_add_nc_u32 v30, -11, v23
	v_dual_mov_b32 v35, v26 :: v_dual_add_nc_u32 v34, -5, v23
	s_delay_alu instid0(VALU_DEP_3) | instskip(SKIP_1) | instid1(VALU_DEP_4)
	v_lshlrev_b64 v[24:25], 2, v[9:10]
	v_mov_b32_e32 v28, v26
	v_lshlrev_b64 v[30:31], 4, v[30:31]
	v_add_nc_u32_e32 v9, 8, v9
	v_lshlrev_b64 v[34:35], 4, v[34:35]
	v_add_co_u32 v24, vcc_lo, s6, v24
	v_add_co_ci_u32_e32 v25, vcc_lo, s7, v25, vcc_lo
	global_load_b32 v10, v[24:25], off
	v_subrev_nc_u32_e32 v25, 17, v23
	v_mov_b32_e32 v24, v26
	s_delay_alu instid0(VALU_DEP_2) | instskip(SKIP_1) | instid1(VALU_DEP_1)
	v_lshlrev_b64 v[36:37], 4, v[25:26]
	v_add_nc_u32_e32 v25, -10, v23
	v_lshlrev_b64 v[42:43], 4, v[25:26]
	v_add_nc_u32_e32 v25, -4, v23
	s_delay_alu instid0(VALU_DEP_4)
	v_add_co_u32 v40, vcc_lo, s8, v36
	v_add_co_ci_u32_e32 v41, vcc_lo, s9, v37, vcc_lo
	v_lshlrev_b64 v[38:39], 4, v[23:24]
	v_add_co_u32 v30, vcc_lo, s8, v30
	v_add_co_ci_u32_e32 v31, vcc_lo, s9, v31, vcc_lo
	v_add_co_u32 v46, vcc_lo, s8, v34
	v_lshlrev_b64 v[58:59], 4, v[25:26]
	v_add_nc_u32_e32 v25, -15, v23
	v_add_co_ci_u32_e32 v47, vcc_lo, s9, v35, vcc_lo
	v_add_co_u32 v50, vcc_lo, s8, v38
	v_add_co_ci_u32_e32 v51, vcc_lo, s9, v39, vcc_lo
	v_add_co_u32 v54, vcc_lo, s8, v42
	v_lshlrev_b64 v[24:25], 4, v[25:26]
	v_add_co_ci_u32_e32 v55, vcc_lo, s9, v43, vcc_lo
	s_clause 0x4
	global_load_b128 v[34:37], v[40:41], off offset:16
	global_load_b128 v[38:41], v[40:41], off
	global_load_b128 v[42:45], v[30:31], off
	;; [unrolled: 1-line block ×4, first 2 shown]
	v_add_co_u32 v30, vcc_lo, s8, v58
	v_add_co_ci_u32_e32 v31, vcc_lo, s9, v59, vcc_lo
	v_add_co_u32 v24, vcc_lo, s8, v24
	v_add_co_ci_u32_e32 v25, vcc_lo, s9, v25, vcc_lo
	s_clause 0x2
	global_load_b128 v[54:57], v[54:55], off
	global_load_b128 v[58:61], v[30:31], off
	;; [unrolled: 1-line block ×3, first 2 shown]
	s_waitcnt vmcnt(8)
	v_subrev_nc_u32_e32 v10, s12, v10
	s_delay_alu instid0(VALU_DEP_1) | instskip(NEXT) | instid1(VALU_DEP_1)
	v_mul_lo_u32 v27, v10, 6
	v_lshlrev_b64 v[24:25], 4, v[27:28]
	s_delay_alu instid0(VALU_DEP_1) | instskip(NEXT) | instid1(VALU_DEP_2)
	v_add_co_u32 v24, vcc_lo, s10, v24
	v_add_co_ci_u32_e32 v25, vcc_lo, s11, v25, vcc_lo
	s_clause 0x1
	global_load_b128 v[66:69], v[24:25], off
	global_load_b128 v[70:73], v[24:25], off offset:16
	v_add_nc_u32_e32 v25, 2, v27
	s_delay_alu instid0(VALU_DEP_1) | instskip(SKIP_1) | instid1(VALU_DEP_1)
	v_lshlrev_b64 v[30:31], 4, v[25:26]
	v_add_nc_u32_e32 v25, -9, v23
	v_lshlrev_b64 v[82:83], 4, v[25:26]
	v_add_nc_u32_e32 v25, -3, v23
	s_delay_alu instid0(VALU_DEP_4) | instskip(SKIP_1) | instid1(VALU_DEP_3)
	v_add_co_u32 v30, vcc_lo, s10, v30
	v_add_co_ci_u32_e32 v31, vcc_lo, s11, v31, vcc_lo
	v_lshlrev_b64 v[84:85], 4, v[25:26]
	s_clause 0x1
	global_load_b128 v[74:77], v[30:31], off offset:16
	global_load_b128 v[78:81], v[30:31], off
	v_add_co_u32 v30, vcc_lo, s8, v82
	v_add_co_ci_u32_e32 v31, vcc_lo, s9, v83, vcc_lo
	v_add_co_u32 v86, vcc_lo, s8, v84
	v_add_co_ci_u32_e32 v87, vcc_lo, s9, v85, vcc_lo
	global_load_b128 v[82:85], v[30:31], off
	v_add_nc_u32_e32 v25, -14, v23
	global_load_b128 v[86:89], v[86:87], off
	v_lshlrev_b64 v[90:91], 4, v[25:26]
	v_add_nc_u32_e32 v25, -8, v23
	s_delay_alu instid0(VALU_DEP_1) | instskip(SKIP_1) | instid1(VALU_DEP_4)
	v_lshlrev_b64 v[30:31], 4, v[25:26]
	v_add_nc_u32_e32 v25, -2, v23
	v_add_co_u32 v90, vcc_lo, s8, v90
	v_add_co_ci_u32_e32 v91, vcc_lo, s9, v91, vcc_lo
	s_delay_alu instid0(VALU_DEP_3) | instskip(SKIP_3) | instid1(VALU_DEP_3)
	v_lshlrev_b64 v[98:99], 4, v[25:26]
	v_add_nc_u32_e32 v25, -13, v23
	v_add_co_u32 v30, vcc_lo, s8, v30
	v_add_co_ci_u32_e32 v31, vcc_lo, s9, v31, vcc_lo
	v_lshlrev_b64 v[100:101], 4, v[25:26]
	v_add_nc_u32_e32 v25, 4, v27
	v_add_co_u32 v27, vcc_lo, s8, v98
	v_add_co_ci_u32_e32 v28, vcc_lo, s9, v99, vcc_lo
	s_delay_alu instid0(VALU_DEP_4)
	v_add_co_u32 v102, vcc_lo, s8, v100
	global_load_b128 v[94:97], v[30:31], off
	v_add_co_ci_u32_e32 v103, vcc_lo, s9, v101, vcc_lo
	s_clause 0x1
	global_load_b128 v[98:101], v[27:28], off
	global_load_b128 v[90:93], v[90:91], off
	v_lshlrev_b64 v[30:31], 4, v[25:26]
	v_add_nc_u32_e32 v25, -7, v23
	s_delay_alu instid0(VALU_DEP_2) | instskip(NEXT) | instid1(VALU_DEP_3)
	v_add_co_u32 v30, vcc_lo, s10, v30
	v_add_co_ci_u32_e32 v31, vcc_lo, s11, v31, vcc_lo
	s_waitcnt vmcnt(8)
	v_fma_f64 v[17:18], v[38:39], v[66:67], v[17:18]
	v_fma_f64 v[10:11], v[40:41], v[66:67], v[11:12]
	s_delay_alu instid0(VALU_DEP_2) | instskip(SKIP_2) | instid1(VALU_DEP_4)
	v_fma_f64 v[27:28], -v[40:41], v[68:69], v[17:18]
	v_fma_f64 v[17:18], v[42:43], v[66:67], v[19:20]
	v_fma_f64 v[19:20], v[44:45], v[66:67], v[21:22]
	;; [unrolled: 1-line block ×3, first 2 shown]
	global_load_b128 v[38:41], v[102:103], off
	v_lshlrev_b64 v[10:11], 4, v[25:26]
	v_add_nc_u32_e32 v25, -1, v23
	s_waitcnt vmcnt(8)
	v_fma_f64 v[27:28], v[34:35], v[70:71], v[27:28]
	v_fma_f64 v[44:45], -v[44:45], v[68:69], v[17:18]
	v_fma_f64 v[42:43], v[42:43], v[68:69], v[19:20]
	v_add_co_u32 v19, vcc_lo, s8, v10
	v_add_co_ci_u32_e32 v20, vcc_lo, s9, v11, vcc_lo
	v_fma_f64 v[10:11], v[46:47], v[66:67], v[13:14]
	v_fma_f64 v[12:13], v[48:49], v[66:67], v[15:16]
	v_lshlrev_b64 v[17:18], 4, v[25:26]
	v_add_nc_u32_e32 v25, -12, v23
	s_delay_alu instid0(VALU_DEP_2) | instskip(NEXT) | instid1(VALU_DEP_3)
	v_add_co_u32 v21, vcc_lo, s8, v17
	v_add_co_ci_u32_e32 v22, vcc_lo, s9, v18, vcc_lo
	v_fma_f64 v[27:28], -v[36:37], v[72:73], v[27:28]
	v_fma_f64 v[42:43], v[56:57], v[70:71], v[42:43]
	v_fma_f64 v[66:67], -v[48:49], v[68:69], v[10:11]
	v_fma_f64 v[68:69], v[46:47], v[68:69], v[12:13]
	global_load_b128 v[10:13], v[30:31], off
	s_clause 0x1
	global_load_b128 v[14:17], v[19:20], off
	global_load_b128 v[18:21], v[21:22], off
	v_fma_f64 v[48:49], v[36:37], v[70:71], v[104:105]
	v_lshlrev_b64 v[46:47], 4, v[25:26]
	v_add_nc_u32_e32 v25, -6, v23
	v_add_nc_u32_e32 v23, 0x90, v23
	s_delay_alu instid0(VALU_DEP_2) | instskip(NEXT) | instid1(VALU_DEP_4)
	v_lshlrev_b64 v[24:25], 4, v[25:26]
	v_add_co_u32 v46, vcc_lo, s8, v46
	v_add_co_ci_u32_e32 v47, vcc_lo, s9, v47, vcc_lo
	s_delay_alu instid0(VALU_DEP_3) | instskip(NEXT) | instid1(VALU_DEP_4)
	v_add_co_u32 v24, vcc_lo, s8, v24
	v_add_co_ci_u32_e32 v25, vcc_lo, s9, v25, vcc_lo
	v_cmp_ge_i32_e32 vcc_lo, v9, v29
	s_or_b32 s0, vcc_lo, s0
	s_waitcnt vmcnt(9)
	v_fma_f64 v[27:28], v[62:63], v[78:79], v[27:28]
	v_fma_f64 v[102:103], v[34:35], v[72:73], v[48:49]
	global_load_b128 v[34:37], v[30:31], off offset:16
	v_fma_f64 v[30:31], v[54:55], v[70:71], v[44:45]
	v_fma_f64 v[54:55], v[54:55], v[72:73], v[42:43]
	s_clause 0x1
	global_load_b128 v[42:45], v[46:47], off
	global_load_b128 v[46:49], v[24:25], off
	v_fma_f64 v[24:25], v[58:59], v[70:71], v[66:67]
	v_fma_f64 v[27:28], -v[64:65], v[80:81], v[27:28]
	v_fma_f64 v[30:31], -v[56:57], v[72:73], v[30:31]
	v_fma_f64 v[56:57], v[60:61], v[70:71], v[68:69]
	s_waitcnt vmcnt(11)
	v_fma_f64 v[54:55], v[84:85], v[78:79], v[54:55]
	v_fma_f64 v[24:25], -v[60:61], v[72:73], v[24:25]
	s_waitcnt vmcnt(7)
	v_fma_f64 v[27:28], v[90:91], v[74:75], v[27:28]
	v_fma_f64 v[30:31], v[82:83], v[78:79], v[30:31]
	;; [unrolled: 1-line block ×6, first 2 shown]
	v_fma_f64 v[27:28], -v[92:93], v[76:77], v[27:28]
	v_fma_f64 v[30:31], -v[84:85], v[80:81], v[30:31]
	v_fma_f64 v[56:57], v[88:89], v[78:79], v[56:57]
	v_fma_f64 v[58:59], v[62:63], v[80:81], v[58:59]
	v_fma_f64 v[24:25], -v[88:89], v[80:81], v[24:25]
	v_fma_f64 v[54:55], v[96:97], v[74:75], v[54:55]
	v_fma_f64 v[30:31], v[94:95], v[74:75], v[30:31]
	;; [unrolled: 1-line block ×6, first 2 shown]
	v_fma_f64 v[30:31], -v[96:97], v[76:77], v[30:31]
	v_fma_f64 v[56:57], v[100:101], v[74:75], v[56:57]
	v_fma_f64 v[58:59], v[90:91], v[76:77], v[58:59]
	v_fma_f64 v[24:25], -v[100:101], v[76:77], v[24:25]
	s_delay_alu instid0(VALU_DEP_3) | instskip(SKIP_2) | instid1(VALU_DEP_4)
	v_fma_f64 v[56:57], v[98:99], v[76:77], v[56:57]
	s_waitcnt vmcnt(5)
	v_fma_f64 v[27:28], v[38:39], v[10:11], v[27:28]
	v_fma_f64 v[58:59], v[40:41], v[10:11], v[58:59]
	s_waitcnt vmcnt(4)
	v_fma_f64 v[30:31], v[14:15], v[10:11], v[30:31]
	;; [unrolled: 3-line block ×3, first 2 shown]
	v_fma_f64 v[10:11], v[20:21], v[10:11], v[56:57]
	v_fma_f64 v[27:28], -v[40:41], v[12:13], v[27:28]
	v_fma_f64 v[38:39], v[38:39], v[12:13], v[58:59]
	v_fma_f64 v[16:17], -v[16:17], v[12:13], v[30:31]
	;; [unrolled: 2-line block ×3, first 2 shown]
	v_fma_f64 v[10:11], v[18:19], v[12:13], v[10:11]
	s_waitcnt vmcnt(1)
	v_fma_f64 v[12:13], v[42:43], v[34:35], v[27:28]
	v_fma_f64 v[24:25], v[44:45], v[34:35], v[38:39]
	s_waitcnt vmcnt(0)
	v_fma_f64 v[27:28], v[46:47], v[34:35], v[16:17]
	v_fma_f64 v[14:15], v[48:49], v[34:35], v[14:15]
	;; [unrolled: 1-line block ×4, first 2 shown]
	v_fma_f64 v[17:18], -v[44:45], v[36:37], v[12:13]
	v_fma_f64 v[11:12], v[42:43], v[36:37], v[24:25]
	v_fma_f64 v[19:20], -v[48:49], v[36:37], v[27:28]
	v_fma_f64 v[21:22], v[46:47], v[36:37], v[14:15]
	;; [unrolled: 2-line block ×3, first 2 shown]
	s_and_not1_b32 exec_lo, exec_lo, s0
	s_cbranch_execnz .LBB132_17
; %bb.18:
	s_or_b32 exec_lo, exec_lo, s0
.LBB132_19:
	s_delay_alu instid0(SALU_CYCLE_1)
	s_or_b32 exec_lo, exec_lo, s1
.LBB132_20:
	v_mbcnt_lo_u32_b32 v34, -1, 0
	s_delay_alu instid0(VALU_DEP_1) | instskip(NEXT) | instid1(VALU_DEP_1)
	v_xor_b32_e32 v9, 4, v34
	v_cmp_gt_i32_e32 vcc_lo, 32, v9
	v_cndmask_b32_e32 v9, v34, v9, vcc_lo
	s_delay_alu instid0(VALU_DEP_1)
	v_lshlrev_b32_e32 v32, 2, v9
	ds_bpermute_b32 v9, v32, v17
	ds_bpermute_b32 v10, v32, v18
	;; [unrolled: 1-line block ×4, first 2 shown]
	s_waitcnt lgkmcnt(2)
	v_add_f64 v[9:10], v[17:18], v[9:10]
	s_waitcnt lgkmcnt(0)
	v_add_f64 v[17:18], v[19:20], v[25:26]
	v_xor_b32_e32 v19, 2, v34
	s_delay_alu instid0(VALU_DEP_1)
	v_cmp_gt_i32_e32 vcc_lo, 32, v19
	v_cndmask_b32_e32 v19, v34, v19, vcc_lo
	ds_bpermute_b32 v23, v32, v11
	ds_bpermute_b32 v24, v32, v12
	;; [unrolled: 1-line block ×8, first 2 shown]
	s_waitcnt lgkmcnt(6)
	v_add_f64 v[11:12], v[11:12], v[23:24]
	s_waitcnt lgkmcnt(4)
	v_add_f64 v[21:22], v[21:22], v[27:28]
	;; [unrolled: 2-line block ×4, first 2 shown]
	v_lshlrev_b32_e32 v32, 2, v19
	ds_bpermute_b32 v19, v32, v9
	ds_bpermute_b32 v20, v32, v10
	;; [unrolled: 1-line block ×4, first 2 shown]
	s_waitcnt lgkmcnt(2)
	v_add_f64 v[9:10], v[9:10], v[19:20]
	ds_bpermute_b32 v23, v32, v11
	ds_bpermute_b32 v24, v32, v12
	;; [unrolled: 1-line block ×8, first 2 shown]
	s_waitcnt lgkmcnt(6)
	v_add_f64 v[19:20], v[11:12], v[23:24]
	v_add_f64 v[11:12], v[17:18], v[25:26]
	s_waitcnt lgkmcnt(4)
	v_add_f64 v[17:18], v[21:22], v[27:28]
	v_xor_b32_e32 v21, 1, v34
	s_waitcnt lgkmcnt(2)
	v_add_f64 v[13:14], v[13:14], v[29:30]
	s_waitcnt lgkmcnt(0)
	v_add_f64 v[15:16], v[15:16], v[31:32]
	v_cmp_gt_i32_e32 vcc_lo, 32, v21
	v_cndmask_b32_e32 v21, v34, v21, vcc_lo
	v_cmp_eq_u32_e32 vcc_lo, 7, v33
	s_delay_alu instid0(VALU_DEP_2)
	v_lshlrev_b32_e32 v24, 2, v21
	ds_bpermute_b32 v31, v24, v9
	ds_bpermute_b32 v32, v24, v10
	;; [unrolled: 1-line block ×12, first 2 shown]
	s_and_b32 exec_lo, exec_lo, vcc_lo
	s_cbranch_execz .LBB132_25
; %bb.21:
	v_cmp_eq_f64_e32 vcc_lo, 0, v[4:5]
	v_cmp_eq_f64_e64 s0, 0, v[6:7]
	s_waitcnt lgkmcnt(10)
	v_add_f64 v[9:10], v[9:10], v[31:32]
	s_waitcnt lgkmcnt(8)
	v_add_f64 v[19:20], v[19:20], v[29:30]
	;; [unrolled: 2-line block ×6, first 2 shown]
	s_load_b64 s[2:3], s[2:3], 0x48
	s_and_b32 s0, vcc_lo, s0
	s_delay_alu instid0(SALU_CYCLE_1) | instskip(NEXT) | instid1(SALU_CYCLE_1)
	s_and_saveexec_b32 s1, s0
	s_xor_b32 s0, exec_lo, s1
	s_cbranch_execz .LBB132_23
; %bb.22:
	v_mul_f64 v[4:5], v[19:20], -v[2:3]
	v_mul_f64 v[6:7], v[0:1], v[19:20]
	v_mul_f64 v[19:20], v[17:18], -v[2:3]
	v_mul_f64 v[17:18], v[0:1], v[17:18]
	;; [unrolled: 2-line block ×3, first 2 shown]
	v_fma_f64 v[4:5], v[0:1], v[9:10], v[4:5]
	v_fma_f64 v[6:7], v[2:3], v[9:10], v[6:7]
	;; [unrolled: 1-line block ×6, first 2 shown]
	v_lshl_add_u32 v13, v8, 1, v8
                                        ; implicit-def: $vgpr8
                                        ; implicit-def: $vgpr19_vgpr20
                                        ; implicit-def: $vgpr17_vgpr18
                                        ; implicit-def: $vgpr15_vgpr16
	s_delay_alu instid0(VALU_DEP_1) | instskip(NEXT) | instid1(VALU_DEP_1)
	v_ashrrev_i32_e32 v14, 31, v13
	v_lshlrev_b64 v[13:14], 4, v[13:14]
	s_waitcnt lgkmcnt(0)
	s_delay_alu instid0(VALU_DEP_1) | instskip(NEXT) | instid1(VALU_DEP_2)
	v_add_co_u32 v13, vcc_lo, s2, v13
	v_add_co_ci_u32_e32 v14, vcc_lo, s3, v14, vcc_lo
	s_clause 0x2
	global_store_b128 v[13:14], v[4:7], off
	global_store_b128 v[13:14], v[9:12], off offset:16
	global_store_b128 v[13:14], v[0:3], off offset:32
                                        ; implicit-def: $vgpr0_vgpr1
                                        ; implicit-def: $vgpr2_vgpr3
                                        ; implicit-def: $vgpr4_vgpr5
                                        ; implicit-def: $vgpr6_vgpr7
                                        ; implicit-def: $vgpr9_vgpr10
                                        ; implicit-def: $vgpr11_vgpr12
                                        ; implicit-def: $vgpr13_vgpr14
.LBB132_23:
	s_and_not1_saveexec_b32 s0, s0
	s_cbranch_execz .LBB132_25
; %bb.24:
	v_lshl_add_u32 v21, v8, 1, v8
	v_mul_f64 v[35:36], v[19:20], -v[2:3]
	v_mul_f64 v[19:20], v[0:1], v[19:20]
	v_mul_f64 v[37:38], v[17:18], -v[2:3]
	v_mul_f64 v[17:18], v[0:1], v[17:18]
	v_ashrrev_i32_e32 v22, 31, v21
	v_mul_f64 v[39:40], v[15:16], -v[2:3]
	v_mul_f64 v[15:16], v[0:1], v[15:16]
	s_delay_alu instid0(VALU_DEP_3) | instskip(SKIP_1) | instid1(VALU_DEP_1)
	v_lshlrev_b64 v[21:22], 4, v[21:22]
	s_waitcnt lgkmcnt(0)
	v_add_co_u32 v33, vcc_lo, s2, v21
	s_delay_alu instid0(VALU_DEP_2)
	v_add_co_ci_u32_e32 v34, vcc_lo, s3, v22, vcc_lo
	s_clause 0x2
	global_load_b128 v[21:24], v[33:34], off
	global_load_b128 v[25:28], v[33:34], off offset:16
	global_load_b128 v[29:32], v[33:34], off offset:32
	v_fma_f64 v[35:36], v[0:1], v[9:10], v[35:36]
	v_fma_f64 v[8:9], v[2:3], v[9:10], v[19:20]
	;; [unrolled: 1-line block ×6, first 2 shown]
	s_waitcnt vmcnt(2)
	v_fma_f64 v[12:13], v[4:5], v[21:22], v[35:36]
	v_fma_f64 v[8:9], v[6:7], v[21:22], v[8:9]
	s_waitcnt vmcnt(1)
	v_fma_f64 v[14:15], v[4:5], v[25:26], v[19:20]
	v_fma_f64 v[10:11], v[6:7], v[25:26], v[10:11]
	;; [unrolled: 3-line block ×3, first 2 shown]
	v_fma_f64 v[0:1], -v[6:7], v[23:24], v[12:13]
	v_fma_f64 v[2:3], v[4:5], v[23:24], v[8:9]
	v_fma_f64 v[8:9], -v[6:7], v[27:28], v[14:15]
	v_fma_f64 v[10:11], v[4:5], v[27:28], v[10:11]
	;; [unrolled: 2-line block ×3, first 2 shown]
	s_clause 0x2
	global_store_b128 v[33:34], v[0:3], off
	global_store_b128 v[33:34], v[8:11], off offset:16
	global_store_b128 v[33:34], v[12:15], off offset:32
.LBB132_25:
	s_nop 0
	s_sendmsg sendmsg(MSG_DEALLOC_VGPRS)
	s_endpgm
	.section	.rodata,"a",@progbits
	.p2align	6, 0x0
	.amdhsa_kernel _ZN9rocsparseL19gebsrmvn_3xn_kernelILj128ELj6ELj8E21rocsparse_complex_numIdEEEvi20rocsparse_direction_NS_24const_host_device_scalarIT2_EEPKiS8_PKS5_SA_S6_PS5_21rocsparse_index_base_b
		.amdhsa_group_segment_fixed_size 2048
		.amdhsa_private_segment_fixed_size 0
		.amdhsa_kernarg_size 88
		.amdhsa_user_sgpr_count 15
		.amdhsa_user_sgpr_dispatch_ptr 1
		.amdhsa_user_sgpr_queue_ptr 0
		.amdhsa_user_sgpr_kernarg_segment_ptr 1
		.amdhsa_user_sgpr_dispatch_id 0
		.amdhsa_user_sgpr_private_segment_size 0
		.amdhsa_wavefront_size32 1
		.amdhsa_uses_dynamic_stack 0
		.amdhsa_enable_private_segment 0
		.amdhsa_system_sgpr_workgroup_id_x 1
		.amdhsa_system_sgpr_workgroup_id_y 0
		.amdhsa_system_sgpr_workgroup_id_z 0
		.amdhsa_system_sgpr_workgroup_info 0
		.amdhsa_system_vgpr_workitem_id 2
		.amdhsa_next_free_vgpr 118
		.amdhsa_next_free_sgpr 18
		.amdhsa_reserve_vcc 1
		.amdhsa_float_round_mode_32 0
		.amdhsa_float_round_mode_16_64 0
		.amdhsa_float_denorm_mode_32 3
		.amdhsa_float_denorm_mode_16_64 3
		.amdhsa_dx10_clamp 1
		.amdhsa_ieee_mode 1
		.amdhsa_fp16_overflow 0
		.amdhsa_workgroup_processor_mode 1
		.amdhsa_memory_ordered 1
		.amdhsa_forward_progress 0
		.amdhsa_shared_vgpr_count 0
		.amdhsa_exception_fp_ieee_invalid_op 0
		.amdhsa_exception_fp_denorm_src 0
		.amdhsa_exception_fp_ieee_div_zero 0
		.amdhsa_exception_fp_ieee_overflow 0
		.amdhsa_exception_fp_ieee_underflow 0
		.amdhsa_exception_fp_ieee_inexact 0
		.amdhsa_exception_int_div_zero 0
	.end_amdhsa_kernel
	.section	.text._ZN9rocsparseL19gebsrmvn_3xn_kernelILj128ELj6ELj8E21rocsparse_complex_numIdEEEvi20rocsparse_direction_NS_24const_host_device_scalarIT2_EEPKiS8_PKS5_SA_S6_PS5_21rocsparse_index_base_b,"axG",@progbits,_ZN9rocsparseL19gebsrmvn_3xn_kernelILj128ELj6ELj8E21rocsparse_complex_numIdEEEvi20rocsparse_direction_NS_24const_host_device_scalarIT2_EEPKiS8_PKS5_SA_S6_PS5_21rocsparse_index_base_b,comdat
.Lfunc_end132:
	.size	_ZN9rocsparseL19gebsrmvn_3xn_kernelILj128ELj6ELj8E21rocsparse_complex_numIdEEEvi20rocsparse_direction_NS_24const_host_device_scalarIT2_EEPKiS8_PKS5_SA_S6_PS5_21rocsparse_index_base_b, .Lfunc_end132-_ZN9rocsparseL19gebsrmvn_3xn_kernelILj128ELj6ELj8E21rocsparse_complex_numIdEEEvi20rocsparse_direction_NS_24const_host_device_scalarIT2_EEPKiS8_PKS5_SA_S6_PS5_21rocsparse_index_base_b
                                        ; -- End function
	.section	.AMDGPU.csdata,"",@progbits
; Kernel info:
; codeLenInByte = 4804
; NumSgprs: 20
; NumVgprs: 118
; ScratchSize: 0
; MemoryBound: 0
; FloatMode: 240
; IeeeMode: 1
; LDSByteSize: 2048 bytes/workgroup (compile time only)
; SGPRBlocks: 2
; VGPRBlocks: 14
; NumSGPRsForWavesPerEU: 20
; NumVGPRsForWavesPerEU: 118
; Occupancy: 12
; WaveLimiterHint : 1
; COMPUTE_PGM_RSRC2:SCRATCH_EN: 0
; COMPUTE_PGM_RSRC2:USER_SGPR: 15
; COMPUTE_PGM_RSRC2:TRAP_HANDLER: 0
; COMPUTE_PGM_RSRC2:TGID_X_EN: 1
; COMPUTE_PGM_RSRC2:TGID_Y_EN: 0
; COMPUTE_PGM_RSRC2:TGID_Z_EN: 0
; COMPUTE_PGM_RSRC2:TIDIG_COMP_CNT: 2
	.section	.text._ZN9rocsparseL19gebsrmvn_3xn_kernelILj128ELj6ELj16E21rocsparse_complex_numIdEEEvi20rocsparse_direction_NS_24const_host_device_scalarIT2_EEPKiS8_PKS5_SA_S6_PS5_21rocsparse_index_base_b,"axG",@progbits,_ZN9rocsparseL19gebsrmvn_3xn_kernelILj128ELj6ELj16E21rocsparse_complex_numIdEEEvi20rocsparse_direction_NS_24const_host_device_scalarIT2_EEPKiS8_PKS5_SA_S6_PS5_21rocsparse_index_base_b,comdat
	.globl	_ZN9rocsparseL19gebsrmvn_3xn_kernelILj128ELj6ELj16E21rocsparse_complex_numIdEEEvi20rocsparse_direction_NS_24const_host_device_scalarIT2_EEPKiS8_PKS5_SA_S6_PS5_21rocsparse_index_base_b ; -- Begin function _ZN9rocsparseL19gebsrmvn_3xn_kernelILj128ELj6ELj16E21rocsparse_complex_numIdEEEvi20rocsparse_direction_NS_24const_host_device_scalarIT2_EEPKiS8_PKS5_SA_S6_PS5_21rocsparse_index_base_b
	.p2align	8
	.type	_ZN9rocsparseL19gebsrmvn_3xn_kernelILj128ELj6ELj16E21rocsparse_complex_numIdEEEvi20rocsparse_direction_NS_24const_host_device_scalarIT2_EEPKiS8_PKS5_SA_S6_PS5_21rocsparse_index_base_b,@function
_ZN9rocsparseL19gebsrmvn_3xn_kernelILj128ELj6ELj16E21rocsparse_complex_numIdEEEvi20rocsparse_direction_NS_24const_host_device_scalarIT2_EEPKiS8_PKS5_SA_S6_PS5_21rocsparse_index_base_b: ; @_ZN9rocsparseL19gebsrmvn_3xn_kernelILj128ELj6ELj16E21rocsparse_complex_numIdEEEvi20rocsparse_direction_NS_24const_host_device_scalarIT2_EEPKiS8_PKS5_SA_S6_PS5_21rocsparse_index_base_b
; %bb.0:
	s_load_b64 s[12:13], s[2:3], 0x50
	s_load_b64 s[16:17], s[0:1], 0x4
	s_load_b128 s[8:11], s[2:3], 0x8
	v_bfe_u32 v1, v0, 10, 10
	s_mov_b64 s[0:1], src_shared_base
	s_load_b128 s[4:7], s[2:3], 0x38
	v_and_b32_e32 v10, 0x3ff, v0
	v_bfe_u32 v0, v0, 20, 10
	s_waitcnt lgkmcnt(0)
	s_bitcmp1_b32 s13, 0
	v_mul_u32_u24_e32 v1, s17, v1
	s_cselect_b32 s0, -1, 0
	s_delay_alu instid0(SALU_CYCLE_1)
	s_and_b32 vcc_lo, s0, exec_lo
	s_cselect_b32 s13, s1, s9
	s_lshr_b32 s14, s16, 16
	v_dual_mov_b32 v2, s4 :: v_dual_mov_b32 v3, s5
	s_mul_i32 s14, s14, s17
	v_mov_b32_e32 v6, s13
	v_mad_u32_u24 v1, s14, v10, v1
	s_delay_alu instid0(VALU_DEP_1) | instskip(SKIP_1) | instid1(VALU_DEP_2)
	v_add_lshl_u32 v4, v1, v0, 3
	v_dual_mov_b32 v0, s8 :: v_dual_mov_b32 v1, s9
	v_add_nc_u32_e32 v5, 0x400, v4
	ds_store_2addr_stride64_b64 v4, v[2:3], v[0:1] offset1:2
	v_dual_mov_b32 v2, s10 :: v_dual_mov_b32 v3, s11
	v_cndmask_b32_e64 v5, s8, v5, s0
	s_xor_b32 s10, s0, -1
	flat_load_b64 v[0:1], v[5:6]
	s_cbranch_vccnz .LBB133_2
; %bb.1:
	v_dual_mov_b32 v2, s8 :: v_dual_mov_b32 v3, s9
	flat_load_b64 v[2:3], v[2:3] offset:8
.LBB133_2:
	s_and_b32 s8, s0, exec_lo
	s_cselect_b32 s1, s1, s5
	v_cndmask_b32_e64 v4, s4, v4, s0
	v_dual_mov_b32 v5, s1 :: v_dual_mov_b32 v6, s6
	v_mov_b32_e32 v7, s7
	s_and_not1_b32 vcc_lo, exec_lo, s10
	flat_load_b64 v[4:5], v[4:5]
	s_cbranch_vccnz .LBB133_4
; %bb.3:
	v_dual_mov_b32 v7, s5 :: v_dual_mov_b32 v6, s4
	flat_load_b64 v[6:7], v[6:7] offset:8
.LBB133_4:
	s_waitcnt vmcnt(1) lgkmcnt(1)
	v_cmp_eq_f64_e32 vcc_lo, 0, v[0:1]
	v_cmp_eq_f64_e64 s0, 0, v[2:3]
	s_delay_alu instid0(VALU_DEP_1)
	s_and_b32 s4, vcc_lo, s0
	s_mov_b32 s0, -1
	s_and_saveexec_b32 s1, s4
	s_cbranch_execz .LBB133_6
; %bb.5:
	s_waitcnt vmcnt(0) lgkmcnt(0)
	v_cmp_neq_f64_e32 vcc_lo, 1.0, v[4:5]
	v_cmp_neq_f64_e64 s0, 0, v[6:7]
	s_delay_alu instid0(VALU_DEP_1) | instskip(NEXT) | instid1(SALU_CYCLE_1)
	s_or_b32 s0, vcc_lo, s0
	s_or_not1_b32 s0, s0, exec_lo
.LBB133_6:
	s_or_b32 exec_lo, exec_lo, s1
	s_and_saveexec_b32 s1, s0
	s_cbranch_execz .LBB133_25
; %bb.7:
	s_load_b64 s[0:1], s[2:3], 0x0
	v_lshrrev_b32_e32 v8, 4, v10
	s_delay_alu instid0(VALU_DEP_1) | instskip(SKIP_1) | instid1(VALU_DEP_1)
	v_lshl_or_b32 v8, s15, 3, v8
	s_waitcnt lgkmcnt(0)
	v_cmp_gt_i32_e32 vcc_lo, s0, v8
	s_and_b32 exec_lo, exec_lo, vcc_lo
	s_cbranch_execz .LBB133_25
; %bb.8:
	s_load_b256 s[4:11], s[2:3], 0x18
	v_ashrrev_i32_e32 v9, 31, v8
	v_and_b32_e32 v33, 15, v10
	s_cmp_lg_u32 s1, 0
	s_delay_alu instid0(VALU_DEP_2) | instskip(SKIP_1) | instid1(VALU_DEP_1)
	v_lshlrev_b64 v[11:12], 2, v[8:9]
	s_waitcnt lgkmcnt(0)
	v_add_co_u32 v11, vcc_lo, s4, v11
	s_delay_alu instid0(VALU_DEP_2) | instskip(SKIP_4) | instid1(VALU_DEP_2)
	v_add_co_ci_u32_e32 v12, vcc_lo, s5, v12, vcc_lo
	global_load_b64 v[11:12], v[11:12], off
	s_waitcnt vmcnt(0)
	v_subrev_nc_u32_e32 v9, s12, v11
	v_subrev_nc_u32_e32 v29, s12, v12
	v_add_nc_u32_e32 v9, v9, v33
	s_delay_alu instid0(VALU_DEP_1)
	v_cmp_lt_i32_e64 s0, v9, v29
	s_cbranch_scc0 .LBB133_14
; %bb.9:
	v_mov_b32_e32 v11, 0
	v_mov_b32_e32 v12, 0
	s_delay_alu instid0(VALU_DEP_1)
	v_dual_mov_b32 v18, v12 :: v_dual_mov_b32 v17, v11
	v_dual_mov_b32 v14, v12 :: v_dual_mov_b32 v13, v11
	;; [unrolled: 1-line block ×5, first 2 shown]
	s_and_saveexec_b32 s1, s0
	s_cbranch_execz .LBB133_13
; %bb.10:
	v_dual_mov_b32 v11, 0 :: v_dual_mov_b32 v26, v9
	v_dual_mov_b32 v12, 0 :: v_dual_mov_b32 v25, 0
	v_mad_u64_u32 v[23:24], null, v9, 18, 17
	s_mov_b32 s4, 0
	s_delay_alu instid0(VALU_DEP_2)
	v_dual_mov_b32 v18, v12 :: v_dual_mov_b32 v17, v11
	v_dual_mov_b32 v14, v12 :: v_dual_mov_b32 v13, v11
	;; [unrolled: 1-line block ×5, first 2 shown]
.LBB133_11:                             ; =>This Inner Loop Header: Depth=1
	v_ashrrev_i32_e32 v27, 31, v26
	v_subrev_nc_u32_e32 v24, 17, v23
	s_delay_alu instid0(VALU_DEP_2) | instskip(NEXT) | instid1(VALU_DEP_2)
	v_lshlrev_b64 v[27:28], 2, v[26:27]
	v_lshlrev_b64 v[30:31], 4, v[24:25]
	v_add_nc_u32_e32 v24, -15, v23
	v_add_nc_u32_e32 v26, 16, v26
	s_delay_alu instid0(VALU_DEP_4) | instskip(SKIP_1) | instid1(VALU_DEP_4)
	v_add_co_u32 v27, vcc_lo, s6, v27
	v_add_co_ci_u32_e32 v28, vcc_lo, s7, v28, vcc_lo
	v_lshlrev_b64 v[34:35], 4, v[24:25]
	v_add_co_u32 v30, vcc_lo, s8, v30
	global_load_b32 v10, v[27:28], off
	v_add_co_ci_u32_e32 v31, vcc_lo, s9, v31, vcc_lo
	v_mov_b32_e32 v28, v25
	v_add_co_u32 v42, vcc_lo, s8, v34
	v_add_co_ci_u32_e32 v43, vcc_lo, s9, v35, vcc_lo
	s_clause 0x2
	global_load_b128 v[34:37], v[30:31], off offset:16
	global_load_b128 v[38:41], v[30:31], off
	global_load_b128 v[42:45], v[42:43], off
	v_add_nc_u32_e32 v24, -14, v23
	s_delay_alu instid0(VALU_DEP_1) | instskip(SKIP_1) | instid1(VALU_DEP_1)
	v_lshlrev_b64 v[50:51], 4, v[24:25]
	v_add_nc_u32_e32 v24, -13, v23
	v_lshlrev_b64 v[52:53], 4, v[24:25]
	v_add_nc_u32_e32 v24, -12, v23
	s_delay_alu instid0(VALU_DEP_1) | instskip(SKIP_3) | instid1(VALU_DEP_1)
	v_lshlrev_b64 v[54:55], 4, v[24:25]
	v_add_nc_u32_e32 v24, -11, v23
	s_waitcnt vmcnt(3)
	v_subrev_nc_u32_e32 v10, s12, v10
	v_mul_lo_u32 v27, v10, 6
	s_delay_alu instid0(VALU_DEP_1) | instskip(NEXT) | instid1(VALU_DEP_1)
	v_lshlrev_b64 v[30:31], 4, v[27:28]
	v_add_co_u32 v30, vcc_lo, s10, v30
	s_delay_alu instid0(VALU_DEP_2)
	v_add_co_ci_u32_e32 v31, vcc_lo, s11, v31, vcc_lo
	v_add_co_u32 v50, vcc_lo, s8, v50
	v_add_co_ci_u32_e32 v51, vcc_lo, s9, v51, vcc_lo
	global_load_b128 v[46:49], v[30:31], off
	v_add_co_u32 v56, vcc_lo, s8, v52
	v_add_co_ci_u32_e32 v57, vcc_lo, s9, v53, vcc_lo
	v_add_co_u32 v58, vcc_lo, s8, v54
	v_add_co_ci_u32_e32 v59, vcc_lo, s9, v55, vcc_lo
	s_clause 0x2
	global_load_b128 v[50:53], v[50:51], off
	global_load_b128 v[54:57], v[56:57], off
	;; [unrolled: 1-line block ×3, first 2 shown]
	global_load_b128 v[62:65], v[30:31], off offset:16
	v_lshlrev_b64 v[30:31], 4, v[24:25]
	v_add_nc_u32_e32 v24, 2, v27
	s_delay_alu instid0(VALU_DEP_2) | instskip(NEXT) | instid1(VALU_DEP_3)
	v_add_co_u32 v30, vcc_lo, s8, v30
	v_add_co_ci_u32_e32 v31, vcc_lo, s9, v31, vcc_lo
	global_load_b128 v[66:69], v[30:31], off
	v_lshlrev_b64 v[30:31], 4, v[24:25]
	v_add_nc_u32_e32 v24, -10, v23
	s_delay_alu instid0(VALU_DEP_1) | instskip(SKIP_1) | instid1(VALU_DEP_4)
	v_lshlrev_b64 v[70:71], 4, v[24:25]
	v_add_nc_u32_e32 v24, -9, v23
	v_add_co_u32 v30, vcc_lo, s10, v30
	v_add_co_ci_u32_e32 v31, vcc_lo, s11, v31, vcc_lo
	s_delay_alu instid0(VALU_DEP_3) | instskip(SKIP_3) | instid1(VALU_DEP_4)
	v_lshlrev_b64 v[72:73], 4, v[24:25]
	v_add_co_u32 v74, vcc_lo, s8, v70
	v_add_co_ci_u32_e32 v75, vcc_lo, s9, v71, vcc_lo
	v_add_nc_u32_e32 v24, -8, v23
	v_add_co_u32 v78, vcc_lo, s8, v72
	v_add_co_ci_u32_e32 v79, vcc_lo, s9, v73, vcc_lo
	global_load_b128 v[70:73], v[30:31], off
	s_clause 0x1
	global_load_b128 v[74:77], v[74:75], off
	global_load_b128 v[78:81], v[78:79], off
	global_load_b128 v[82:85], v[30:31], off offset:16
	v_lshlrev_b64 v[30:31], 4, v[24:25]
	v_add_nc_u32_e32 v24, -7, v23
	s_delay_alu instid0(VALU_DEP_1) | instskip(SKIP_1) | instid1(VALU_DEP_4)
	v_lshlrev_b64 v[86:87], 4, v[24:25]
	v_add_nc_u32_e32 v24, -6, v23
	v_add_co_u32 v30, vcc_lo, s8, v30
	v_add_co_ci_u32_e32 v31, vcc_lo, s9, v31, vcc_lo
	s_delay_alu instid0(VALU_DEP_3) | instskip(SKIP_3) | instid1(VALU_DEP_4)
	v_lshlrev_b64 v[88:89], 4, v[24:25]
	v_add_co_u32 v90, vcc_lo, s8, v86
	v_add_co_ci_u32_e32 v91, vcc_lo, s9, v87, vcc_lo
	v_add_nc_u32_e32 v24, -5, v23
	v_add_co_u32 v94, vcc_lo, s8, v88
	v_add_co_ci_u32_e32 v95, vcc_lo, s9, v89, vcc_lo
	s_clause 0x2
	global_load_b128 v[86:89], v[30:31], off
	global_load_b128 v[90:93], v[90:91], off
	;; [unrolled: 1-line block ×3, first 2 shown]
	v_lshlrev_b64 v[30:31], 4, v[24:25]
	v_add_nc_u32_e32 v24, 4, v27
	s_delay_alu instid0(VALU_DEP_1) | instskip(SKIP_1) | instid1(VALU_DEP_4)
	v_lshlrev_b64 v[27:28], 4, v[24:25]
	v_add_nc_u32_e32 v24, -4, v23
	v_add_co_u32 v30, vcc_lo, s8, v30
	v_add_co_ci_u32_e32 v31, vcc_lo, s9, v31, vcc_lo
	s_delay_alu instid0(VALU_DEP_3)
	v_lshlrev_b64 v[102:103], 4, v[24:25]
	v_add_nc_u32_e32 v24, -3, v23
	v_add_co_u32 v27, vcc_lo, s10, v27
	global_load_b128 v[98:101], v[30:31], off
	v_add_co_ci_u32_e32 v28, vcc_lo, s11, v28, vcc_lo
	v_lshlrev_b64 v[30:31], 4, v[24:25]
	v_add_co_u32 v106, vcc_lo, s8, v102
	v_add_co_ci_u32_e32 v107, vcc_lo, s9, v103, vcc_lo
	v_mov_b32_e32 v24, v25
	s_delay_alu instid0(VALU_DEP_4)
	v_add_co_u32 v30, vcc_lo, s8, v30
	v_add_co_ci_u32_e32 v31, vcc_lo, s9, v31, vcc_lo
	global_load_b128 v[102:105], v[27:28], off
	s_clause 0x1
	global_load_b128 v[106:109], v[106:107], off
	global_load_b128 v[110:113], v[30:31], off
	s_waitcnt vmcnt(16)
	v_fma_f64 v[17:18], v[38:39], v[46:47], v[17:18]
	v_fma_f64 v[10:11], v[40:41], v[46:47], v[11:12]
	;; [unrolled: 1-line block ×6, first 2 shown]
	v_lshlrev_b64 v[12:13], 4, v[23:24]
	v_add_nc_u32_e32 v24, -2, v23
	s_delay_alu instid0(VALU_DEP_2) | instskip(NEXT) | instid1(VALU_DEP_3)
	v_add_co_u32 v12, vcc_lo, s8, v12
	v_add_co_ci_u32_e32 v13, vcc_lo, s9, v13, vcc_lo
	global_load_b128 v[114:117], v[12:13], off
	global_load_b128 v[13:16], v[27:28], off offset:16
	v_lshlrev_b64 v[27:28], 4, v[24:25]
	v_add_nc_u32_e32 v24, -1, v23
	v_add_nc_u32_e32 v23, 0x120, v23
	v_fma_f64 v[17:18], -v[40:41], v[48:49], v[17:18]
	v_fma_f64 v[10:11], v[38:39], v[48:49], v[10:11]
	v_fma_f64 v[38:39], -v[36:37], v[48:49], v[19:20]
	v_fma_f64 v[40:41], v[34:35], v[48:49], v[21:22]
	v_fma_f64 v[30:31], -v[44:45], v[48:49], v[30:31]
	v_fma_f64 v[42:43], v[42:43], v[48:49], v[46:47]
	v_lshlrev_b64 v[19:20], 4, v[24:25]
	v_add_co_u32 v21, vcc_lo, s8, v27
	v_add_co_ci_u32_e32 v22, vcc_lo, s9, v28, vcc_lo
	s_delay_alu instid0(VALU_DEP_3) | instskip(NEXT) | instid1(VALU_DEP_4)
	v_add_co_u32 v27, vcc_lo, s8, v19
	v_add_co_ci_u32_e32 v28, vcc_lo, s9, v20, vcc_lo
	s_clause 0x1
	global_load_b128 v[19:22], v[21:22], off
	global_load_b128 v[34:37], v[27:28], off
	v_cmp_ge_i32_e32 vcc_lo, v26, v29
	s_or_b32 s4, vcc_lo, s4
	s_waitcnt vmcnt(16)
	v_fma_f64 v[17:18], v[50:51], v[62:63], v[17:18]
	v_fma_f64 v[10:11], v[52:53], v[62:63], v[10:11]
	;; [unrolled: 1-line block ×6, first 2 shown]
	v_fma_f64 v[17:18], -v[52:53], v[64:65], v[17:18]
	v_fma_f64 v[10:11], v[50:51], v[64:65], v[10:11]
	v_fma_f64 v[27:28], -v[56:57], v[64:65], v[27:28]
	v_fma_f64 v[38:39], v[54:55], v[64:65], v[38:39]
	v_fma_f64 v[30:31], -v[60:61], v[64:65], v[30:31]
	v_fma_f64 v[40:41], v[58:59], v[64:65], v[40:41]
	s_waitcnt vmcnt(14)
	v_fma_f64 v[17:18], v[66:67], v[70:71], v[17:18]
	v_fma_f64 v[10:11], v[68:69], v[70:71], v[10:11]
	s_waitcnt vmcnt(13)
	v_fma_f64 v[27:28], v[74:75], v[70:71], v[27:28]
	v_fma_f64 v[38:39], v[76:77], v[70:71], v[38:39]
	s_waitcnt vmcnt(12)
	v_fma_f64 v[30:31], v[78:79], v[70:71], v[30:31]
	v_fma_f64 v[40:41], v[80:81], v[70:71], v[40:41]
	v_fma_f64 v[17:18], -v[68:69], v[72:73], v[17:18]
	v_fma_f64 v[10:11], v[66:67], v[72:73], v[10:11]
	v_fma_f64 v[27:28], -v[76:77], v[72:73], v[27:28]
	v_fma_f64 v[38:39], v[74:75], v[72:73], v[38:39]
	v_fma_f64 v[30:31], -v[80:81], v[72:73], v[30:31]
	v_fma_f64 v[40:41], v[78:79], v[72:73], v[40:41]
	s_waitcnt vmcnt(10)
	v_fma_f64 v[17:18], v[86:87], v[82:83], v[17:18]
	v_fma_f64 v[10:11], v[88:89], v[82:83], v[10:11]
	s_waitcnt vmcnt(9)
	v_fma_f64 v[27:28], v[90:91], v[82:83], v[27:28]
	v_fma_f64 v[38:39], v[92:93], v[82:83], v[38:39]
	s_waitcnt vmcnt(8)
	v_fma_f64 v[30:31], v[94:95], v[82:83], v[30:31]
	v_fma_f64 v[40:41], v[96:97], v[82:83], v[40:41]
	v_fma_f64 v[17:18], -v[88:89], v[84:85], v[17:18]
	v_fma_f64 v[10:11], v[86:87], v[84:85], v[10:11]
	v_fma_f64 v[27:28], -v[92:93], v[84:85], v[27:28]
	v_fma_f64 v[38:39], v[90:91], v[84:85], v[38:39]
	v_fma_f64 v[30:31], -v[96:97], v[84:85], v[30:31]
	v_fma_f64 v[40:41], v[94:95], v[84:85], v[40:41]
	s_waitcnt vmcnt(6)
	v_fma_f64 v[17:18], v[98:99], v[102:103], v[17:18]
	v_fma_f64 v[10:11], v[100:101], v[102:103], v[10:11]
	s_waitcnt vmcnt(5)
	v_fma_f64 v[27:28], v[106:107], v[102:103], v[27:28]
	v_fma_f64 v[38:39], v[108:109], v[102:103], v[38:39]
	s_waitcnt vmcnt(4)
	v_fma_f64 v[30:31], v[110:111], v[102:103], v[30:31]
	v_fma_f64 v[40:41], v[112:113], v[102:103], v[40:41]
	v_fma_f64 v[17:18], -v[100:101], v[104:105], v[17:18]
	v_fma_f64 v[10:11], v[98:99], v[104:105], v[10:11]
	v_fma_f64 v[27:28], -v[108:109], v[104:105], v[27:28]
	v_fma_f64 v[38:39], v[106:107], v[104:105], v[38:39]
	;; [unrolled: 2-line block ×3, first 2 shown]
	s_waitcnt vmcnt(1)
	v_fma_f64 v[17:18], v[19:20], v[13:14], v[17:18]
	v_fma_f64 v[10:11], v[21:22], v[13:14], v[10:11]
	s_waitcnt vmcnt(0)
	v_fma_f64 v[27:28], v[34:35], v[13:14], v[27:28]
	v_fma_f64 v[38:39], v[36:37], v[13:14], v[38:39]
	;; [unrolled: 1-line block ×4, first 2 shown]
	v_fma_f64 v[17:18], -v[21:22], v[15:16], v[17:18]
	v_fma_f64 v[11:12], v[19:20], v[15:16], v[10:11]
	v_fma_f64 v[19:20], -v[36:37], v[15:16], v[27:28]
	v_fma_f64 v[21:22], v[34:35], v[15:16], v[38:39]
	;; [unrolled: 2-line block ×3, first 2 shown]
	s_and_not1_b32 exec_lo, exec_lo, s4
	s_cbranch_execnz .LBB133_11
; %bb.12:
	s_or_b32 exec_lo, exec_lo, s4
.LBB133_13:
	s_delay_alu instid0(SALU_CYCLE_1)
	s_or_b32 exec_lo, exec_lo, s1
	s_cbranch_execz .LBB133_15
	s_branch .LBB133_20
.LBB133_14:
                                        ; implicit-def: $vgpr11_vgpr12
                                        ; implicit-def: $vgpr17_vgpr18
                                        ; implicit-def: $vgpr13_vgpr14
                                        ; implicit-def: $vgpr15_vgpr16
                                        ; implicit-def: $vgpr19_vgpr20
                                        ; implicit-def: $vgpr21_vgpr22
.LBB133_15:
	v_mov_b32_e32 v11, 0
	v_mov_b32_e32 v12, 0
	s_delay_alu instid0(VALU_DEP_1)
	v_dual_mov_b32 v18, v12 :: v_dual_mov_b32 v17, v11
	v_dual_mov_b32 v14, v12 :: v_dual_mov_b32 v13, v11
	;; [unrolled: 1-line block ×5, first 2 shown]
	s_and_saveexec_b32 s1, s0
	s_cbranch_execz .LBB133_19
; %bb.16:
	v_dual_mov_b32 v11, 0 :: v_dual_mov_b32 v26, 0
	v_mov_b32_e32 v12, 0
	v_mad_u64_u32 v[23:24], null, v9, 18, 17
	s_mov_b32 s0, 0
	s_delay_alu instid0(VALU_DEP_2)
	v_dual_mov_b32 v18, v12 :: v_dual_mov_b32 v17, v11
	v_dual_mov_b32 v14, v12 :: v_dual_mov_b32 v13, v11
	v_dual_mov_b32 v16, v12 :: v_dual_mov_b32 v15, v11
	v_dual_mov_b32 v20, v12 :: v_dual_mov_b32 v19, v11
	v_dual_mov_b32 v22, v12 :: v_dual_mov_b32 v21, v11
.LBB133_17:                             ; =>This Inner Loop Header: Depth=1
	v_ashrrev_i32_e32 v10, 31, v9
	v_dual_mov_b32 v31, v26 :: v_dual_add_nc_u32 v30, -11, v23
	v_dual_mov_b32 v35, v26 :: v_dual_add_nc_u32 v34, -5, v23
	s_delay_alu instid0(VALU_DEP_3) | instskip(SKIP_1) | instid1(VALU_DEP_4)
	v_lshlrev_b64 v[24:25], 2, v[9:10]
	v_mov_b32_e32 v28, v26
	v_lshlrev_b64 v[30:31], 4, v[30:31]
	v_add_nc_u32_e32 v9, 16, v9
	v_lshlrev_b64 v[34:35], 4, v[34:35]
	v_add_co_u32 v24, vcc_lo, s6, v24
	v_add_co_ci_u32_e32 v25, vcc_lo, s7, v25, vcc_lo
	global_load_b32 v10, v[24:25], off
	v_subrev_nc_u32_e32 v25, 17, v23
	v_mov_b32_e32 v24, v26
	s_delay_alu instid0(VALU_DEP_2) | instskip(SKIP_1) | instid1(VALU_DEP_1)
	v_lshlrev_b64 v[36:37], 4, v[25:26]
	v_add_nc_u32_e32 v25, -10, v23
	v_lshlrev_b64 v[42:43], 4, v[25:26]
	v_add_nc_u32_e32 v25, -4, v23
	s_delay_alu instid0(VALU_DEP_4)
	v_add_co_u32 v40, vcc_lo, s8, v36
	v_add_co_ci_u32_e32 v41, vcc_lo, s9, v37, vcc_lo
	v_lshlrev_b64 v[38:39], 4, v[23:24]
	v_add_co_u32 v30, vcc_lo, s8, v30
	v_add_co_ci_u32_e32 v31, vcc_lo, s9, v31, vcc_lo
	v_add_co_u32 v46, vcc_lo, s8, v34
	v_lshlrev_b64 v[58:59], 4, v[25:26]
	v_add_nc_u32_e32 v25, -15, v23
	v_add_co_ci_u32_e32 v47, vcc_lo, s9, v35, vcc_lo
	v_add_co_u32 v50, vcc_lo, s8, v38
	v_add_co_ci_u32_e32 v51, vcc_lo, s9, v39, vcc_lo
	v_add_co_u32 v54, vcc_lo, s8, v42
	v_lshlrev_b64 v[24:25], 4, v[25:26]
	v_add_co_ci_u32_e32 v55, vcc_lo, s9, v43, vcc_lo
	s_clause 0x4
	global_load_b128 v[34:37], v[40:41], off offset:16
	global_load_b128 v[38:41], v[40:41], off
	global_load_b128 v[42:45], v[30:31], off
	;; [unrolled: 1-line block ×4, first 2 shown]
	v_add_co_u32 v30, vcc_lo, s8, v58
	v_add_co_ci_u32_e32 v31, vcc_lo, s9, v59, vcc_lo
	v_add_co_u32 v24, vcc_lo, s8, v24
	v_add_co_ci_u32_e32 v25, vcc_lo, s9, v25, vcc_lo
	s_clause 0x2
	global_load_b128 v[54:57], v[54:55], off
	global_load_b128 v[58:61], v[30:31], off
	global_load_b128 v[62:65], v[24:25], off
	s_waitcnt vmcnt(8)
	v_subrev_nc_u32_e32 v10, s12, v10
	s_delay_alu instid0(VALU_DEP_1) | instskip(NEXT) | instid1(VALU_DEP_1)
	v_mul_lo_u32 v27, v10, 6
	v_lshlrev_b64 v[24:25], 4, v[27:28]
	s_delay_alu instid0(VALU_DEP_1) | instskip(NEXT) | instid1(VALU_DEP_2)
	v_add_co_u32 v24, vcc_lo, s10, v24
	v_add_co_ci_u32_e32 v25, vcc_lo, s11, v25, vcc_lo
	s_clause 0x1
	global_load_b128 v[66:69], v[24:25], off
	global_load_b128 v[70:73], v[24:25], off offset:16
	v_add_nc_u32_e32 v25, 2, v27
	s_delay_alu instid0(VALU_DEP_1) | instskip(SKIP_1) | instid1(VALU_DEP_1)
	v_lshlrev_b64 v[30:31], 4, v[25:26]
	v_add_nc_u32_e32 v25, -9, v23
	v_lshlrev_b64 v[82:83], 4, v[25:26]
	v_add_nc_u32_e32 v25, -3, v23
	s_delay_alu instid0(VALU_DEP_4) | instskip(SKIP_1) | instid1(VALU_DEP_3)
	v_add_co_u32 v30, vcc_lo, s10, v30
	v_add_co_ci_u32_e32 v31, vcc_lo, s11, v31, vcc_lo
	v_lshlrev_b64 v[84:85], 4, v[25:26]
	s_clause 0x1
	global_load_b128 v[74:77], v[30:31], off offset:16
	global_load_b128 v[78:81], v[30:31], off
	v_add_co_u32 v30, vcc_lo, s8, v82
	v_add_co_ci_u32_e32 v31, vcc_lo, s9, v83, vcc_lo
	v_add_co_u32 v86, vcc_lo, s8, v84
	v_add_co_ci_u32_e32 v87, vcc_lo, s9, v85, vcc_lo
	global_load_b128 v[82:85], v[30:31], off
	v_add_nc_u32_e32 v25, -14, v23
	global_load_b128 v[86:89], v[86:87], off
	v_lshlrev_b64 v[90:91], 4, v[25:26]
	v_add_nc_u32_e32 v25, -8, v23
	s_delay_alu instid0(VALU_DEP_1) | instskip(SKIP_1) | instid1(VALU_DEP_4)
	v_lshlrev_b64 v[30:31], 4, v[25:26]
	v_add_nc_u32_e32 v25, -2, v23
	v_add_co_u32 v90, vcc_lo, s8, v90
	v_add_co_ci_u32_e32 v91, vcc_lo, s9, v91, vcc_lo
	s_delay_alu instid0(VALU_DEP_3) | instskip(SKIP_3) | instid1(VALU_DEP_3)
	v_lshlrev_b64 v[98:99], 4, v[25:26]
	v_add_nc_u32_e32 v25, -13, v23
	v_add_co_u32 v30, vcc_lo, s8, v30
	v_add_co_ci_u32_e32 v31, vcc_lo, s9, v31, vcc_lo
	v_lshlrev_b64 v[100:101], 4, v[25:26]
	v_add_nc_u32_e32 v25, 4, v27
	v_add_co_u32 v27, vcc_lo, s8, v98
	v_add_co_ci_u32_e32 v28, vcc_lo, s9, v99, vcc_lo
	s_delay_alu instid0(VALU_DEP_4)
	v_add_co_u32 v102, vcc_lo, s8, v100
	global_load_b128 v[94:97], v[30:31], off
	v_add_co_ci_u32_e32 v103, vcc_lo, s9, v101, vcc_lo
	s_clause 0x1
	global_load_b128 v[98:101], v[27:28], off
	global_load_b128 v[90:93], v[90:91], off
	v_lshlrev_b64 v[30:31], 4, v[25:26]
	v_add_nc_u32_e32 v25, -7, v23
	s_delay_alu instid0(VALU_DEP_2) | instskip(NEXT) | instid1(VALU_DEP_3)
	v_add_co_u32 v30, vcc_lo, s10, v30
	v_add_co_ci_u32_e32 v31, vcc_lo, s11, v31, vcc_lo
	s_waitcnt vmcnt(8)
	v_fma_f64 v[17:18], v[38:39], v[66:67], v[17:18]
	v_fma_f64 v[10:11], v[40:41], v[66:67], v[11:12]
	s_delay_alu instid0(VALU_DEP_2) | instskip(SKIP_2) | instid1(VALU_DEP_4)
	v_fma_f64 v[27:28], -v[40:41], v[68:69], v[17:18]
	v_fma_f64 v[17:18], v[42:43], v[66:67], v[19:20]
	v_fma_f64 v[19:20], v[44:45], v[66:67], v[21:22]
	;; [unrolled: 1-line block ×3, first 2 shown]
	global_load_b128 v[38:41], v[102:103], off
	v_lshlrev_b64 v[10:11], 4, v[25:26]
	v_add_nc_u32_e32 v25, -1, v23
	s_waitcnt vmcnt(8)
	v_fma_f64 v[27:28], v[34:35], v[70:71], v[27:28]
	v_fma_f64 v[44:45], -v[44:45], v[68:69], v[17:18]
	v_fma_f64 v[42:43], v[42:43], v[68:69], v[19:20]
	v_add_co_u32 v19, vcc_lo, s8, v10
	v_add_co_ci_u32_e32 v20, vcc_lo, s9, v11, vcc_lo
	v_fma_f64 v[10:11], v[46:47], v[66:67], v[13:14]
	v_fma_f64 v[12:13], v[48:49], v[66:67], v[15:16]
	v_lshlrev_b64 v[17:18], 4, v[25:26]
	v_add_nc_u32_e32 v25, -12, v23
	s_delay_alu instid0(VALU_DEP_2) | instskip(NEXT) | instid1(VALU_DEP_3)
	v_add_co_u32 v21, vcc_lo, s8, v17
	v_add_co_ci_u32_e32 v22, vcc_lo, s9, v18, vcc_lo
	v_fma_f64 v[27:28], -v[36:37], v[72:73], v[27:28]
	v_fma_f64 v[42:43], v[56:57], v[70:71], v[42:43]
	v_fma_f64 v[66:67], -v[48:49], v[68:69], v[10:11]
	v_fma_f64 v[68:69], v[46:47], v[68:69], v[12:13]
	global_load_b128 v[10:13], v[30:31], off
	s_clause 0x1
	global_load_b128 v[14:17], v[19:20], off
	global_load_b128 v[18:21], v[21:22], off
	v_fma_f64 v[48:49], v[36:37], v[70:71], v[104:105]
	v_lshlrev_b64 v[46:47], 4, v[25:26]
	v_add_nc_u32_e32 v25, -6, v23
	v_add_nc_u32_e32 v23, 0x120, v23
	s_delay_alu instid0(VALU_DEP_2) | instskip(NEXT) | instid1(VALU_DEP_4)
	v_lshlrev_b64 v[24:25], 4, v[25:26]
	v_add_co_u32 v46, vcc_lo, s8, v46
	v_add_co_ci_u32_e32 v47, vcc_lo, s9, v47, vcc_lo
	s_delay_alu instid0(VALU_DEP_3) | instskip(NEXT) | instid1(VALU_DEP_4)
	v_add_co_u32 v24, vcc_lo, s8, v24
	v_add_co_ci_u32_e32 v25, vcc_lo, s9, v25, vcc_lo
	v_cmp_ge_i32_e32 vcc_lo, v9, v29
	s_or_b32 s0, vcc_lo, s0
	s_waitcnt vmcnt(9)
	v_fma_f64 v[27:28], v[62:63], v[78:79], v[27:28]
	v_fma_f64 v[102:103], v[34:35], v[72:73], v[48:49]
	global_load_b128 v[34:37], v[30:31], off offset:16
	v_fma_f64 v[30:31], v[54:55], v[70:71], v[44:45]
	v_fma_f64 v[54:55], v[54:55], v[72:73], v[42:43]
	s_clause 0x1
	global_load_b128 v[42:45], v[46:47], off
	global_load_b128 v[46:49], v[24:25], off
	v_fma_f64 v[24:25], v[58:59], v[70:71], v[66:67]
	v_fma_f64 v[27:28], -v[64:65], v[80:81], v[27:28]
	v_fma_f64 v[30:31], -v[56:57], v[72:73], v[30:31]
	v_fma_f64 v[56:57], v[60:61], v[70:71], v[68:69]
	s_waitcnt vmcnt(11)
	v_fma_f64 v[54:55], v[84:85], v[78:79], v[54:55]
	v_fma_f64 v[24:25], -v[60:61], v[72:73], v[24:25]
	s_waitcnt vmcnt(7)
	v_fma_f64 v[27:28], v[90:91], v[74:75], v[27:28]
	v_fma_f64 v[30:31], v[82:83], v[78:79], v[30:31]
	;; [unrolled: 1-line block ×6, first 2 shown]
	v_fma_f64 v[27:28], -v[92:93], v[76:77], v[27:28]
	v_fma_f64 v[30:31], -v[84:85], v[80:81], v[30:31]
	v_fma_f64 v[56:57], v[88:89], v[78:79], v[56:57]
	v_fma_f64 v[58:59], v[62:63], v[80:81], v[58:59]
	v_fma_f64 v[24:25], -v[88:89], v[80:81], v[24:25]
	v_fma_f64 v[54:55], v[96:97], v[74:75], v[54:55]
	v_fma_f64 v[30:31], v[94:95], v[74:75], v[30:31]
	;; [unrolled: 1-line block ×6, first 2 shown]
	v_fma_f64 v[30:31], -v[96:97], v[76:77], v[30:31]
	v_fma_f64 v[56:57], v[100:101], v[74:75], v[56:57]
	v_fma_f64 v[58:59], v[90:91], v[76:77], v[58:59]
	v_fma_f64 v[24:25], -v[100:101], v[76:77], v[24:25]
	s_delay_alu instid0(VALU_DEP_3) | instskip(SKIP_2) | instid1(VALU_DEP_4)
	v_fma_f64 v[56:57], v[98:99], v[76:77], v[56:57]
	s_waitcnt vmcnt(5)
	v_fma_f64 v[27:28], v[38:39], v[10:11], v[27:28]
	v_fma_f64 v[58:59], v[40:41], v[10:11], v[58:59]
	s_waitcnt vmcnt(4)
	v_fma_f64 v[30:31], v[14:15], v[10:11], v[30:31]
	;; [unrolled: 3-line block ×3, first 2 shown]
	v_fma_f64 v[10:11], v[20:21], v[10:11], v[56:57]
	v_fma_f64 v[27:28], -v[40:41], v[12:13], v[27:28]
	v_fma_f64 v[38:39], v[38:39], v[12:13], v[58:59]
	v_fma_f64 v[16:17], -v[16:17], v[12:13], v[30:31]
	;; [unrolled: 2-line block ×3, first 2 shown]
	v_fma_f64 v[10:11], v[18:19], v[12:13], v[10:11]
	s_waitcnt vmcnt(1)
	v_fma_f64 v[12:13], v[42:43], v[34:35], v[27:28]
	v_fma_f64 v[24:25], v[44:45], v[34:35], v[38:39]
	s_waitcnt vmcnt(0)
	v_fma_f64 v[27:28], v[46:47], v[34:35], v[16:17]
	v_fma_f64 v[14:15], v[48:49], v[34:35], v[14:15]
	;; [unrolled: 1-line block ×4, first 2 shown]
	v_fma_f64 v[17:18], -v[44:45], v[36:37], v[12:13]
	v_fma_f64 v[11:12], v[42:43], v[36:37], v[24:25]
	v_fma_f64 v[19:20], -v[48:49], v[36:37], v[27:28]
	v_fma_f64 v[21:22], v[46:47], v[36:37], v[14:15]
	v_fma_f64 v[13:14], -v[52:53], v[36:37], v[30:31]
	v_fma_f64 v[15:16], v[50:51], v[36:37], v[34:35]
	s_and_not1_b32 exec_lo, exec_lo, s0
	s_cbranch_execnz .LBB133_17
; %bb.18:
	s_or_b32 exec_lo, exec_lo, s0
.LBB133_19:
	s_delay_alu instid0(SALU_CYCLE_1)
	s_or_b32 exec_lo, exec_lo, s1
.LBB133_20:
	v_mbcnt_lo_u32_b32 v34, -1, 0
	s_delay_alu instid0(VALU_DEP_1) | instskip(NEXT) | instid1(VALU_DEP_1)
	v_xor_b32_e32 v9, 8, v34
	v_cmp_gt_i32_e32 vcc_lo, 32, v9
	v_cndmask_b32_e32 v9, v34, v9, vcc_lo
	s_delay_alu instid0(VALU_DEP_1)
	v_lshlrev_b32_e32 v32, 2, v9
	ds_bpermute_b32 v9, v32, v17
	ds_bpermute_b32 v10, v32, v18
	ds_bpermute_b32 v23, v32, v11
	ds_bpermute_b32 v24, v32, v12
	ds_bpermute_b32 v25, v32, v19
	ds_bpermute_b32 v26, v32, v20
	ds_bpermute_b32 v27, v32, v21
	ds_bpermute_b32 v28, v32, v22
	ds_bpermute_b32 v29, v32, v13
	ds_bpermute_b32 v30, v32, v14
	ds_bpermute_b32 v31, v32, v15
	ds_bpermute_b32 v32, v32, v16
	s_waitcnt lgkmcnt(10)
	v_add_f64 v[9:10], v[17:18], v[9:10]
	s_waitcnt lgkmcnt(8)
	v_add_f64 v[11:12], v[11:12], v[23:24]
	s_waitcnt lgkmcnt(6)
	v_add_f64 v[17:18], v[19:20], v[25:26]
	s_waitcnt lgkmcnt(4)
	v_add_f64 v[19:20], v[21:22], v[27:28]
	v_xor_b32_e32 v21, 4, v34
	s_waitcnt lgkmcnt(2)
	v_add_f64 v[13:14], v[13:14], v[29:30]
	s_waitcnt lgkmcnt(0)
	v_add_f64 v[15:16], v[15:16], v[31:32]
	v_cmp_gt_i32_e32 vcc_lo, 32, v21
	v_cndmask_b32_e32 v21, v34, v21, vcc_lo
	s_delay_alu instid0(VALU_DEP_1)
	v_lshlrev_b32_e32 v32, 2, v21
	ds_bpermute_b32 v21, v32, v9
	ds_bpermute_b32 v22, v32, v10
	ds_bpermute_b32 v23, v32, v11
	ds_bpermute_b32 v24, v32, v12
	ds_bpermute_b32 v25, v32, v17
	ds_bpermute_b32 v26, v32, v18
	ds_bpermute_b32 v27, v32, v19
	ds_bpermute_b32 v28, v32, v20
	ds_bpermute_b32 v29, v32, v13
	ds_bpermute_b32 v30, v32, v14
	ds_bpermute_b32 v31, v32, v15
	ds_bpermute_b32 v32, v32, v16
	s_waitcnt lgkmcnt(10)
	v_add_f64 v[9:10], v[9:10], v[21:22]
	s_waitcnt lgkmcnt(8)
	v_add_f64 v[11:12], v[11:12], v[23:24]
	s_waitcnt lgkmcnt(6)
	v_add_f64 v[17:18], v[17:18], v[25:26]
	s_waitcnt lgkmcnt(4)
	v_add_f64 v[21:22], v[19:20], v[27:28]
	v_xor_b32_e32 v19, 2, v34
	s_waitcnt lgkmcnt(2)
	v_add_f64 v[13:14], v[13:14], v[29:30]
	s_waitcnt lgkmcnt(0)
	v_add_f64 v[15:16], v[15:16], v[31:32]
	;; [unrolled: 29-line block ×3, first 2 shown]
	v_cmp_gt_i32_e32 vcc_lo, 32, v21
	v_cndmask_b32_e32 v21, v34, v21, vcc_lo
	v_cmp_eq_u32_e32 vcc_lo, 15, v33
	s_delay_alu instid0(VALU_DEP_2)
	v_lshlrev_b32_e32 v24, 2, v21
	ds_bpermute_b32 v31, v24, v9
	ds_bpermute_b32 v32, v24, v10
	;; [unrolled: 1-line block ×12, first 2 shown]
	s_and_b32 exec_lo, exec_lo, vcc_lo
	s_cbranch_execz .LBB133_25
; %bb.21:
	v_cmp_eq_f64_e32 vcc_lo, 0, v[4:5]
	v_cmp_eq_f64_e64 s0, 0, v[6:7]
	s_waitcnt lgkmcnt(10)
	v_add_f64 v[9:10], v[9:10], v[31:32]
	s_waitcnt lgkmcnt(8)
	v_add_f64 v[19:20], v[19:20], v[29:30]
	;; [unrolled: 2-line block ×6, first 2 shown]
	s_load_b64 s[2:3], s[2:3], 0x48
	s_and_b32 s0, vcc_lo, s0
	s_delay_alu instid0(SALU_CYCLE_1) | instskip(NEXT) | instid1(SALU_CYCLE_1)
	s_and_saveexec_b32 s1, s0
	s_xor_b32 s0, exec_lo, s1
	s_cbranch_execz .LBB133_23
; %bb.22:
	v_mul_f64 v[4:5], v[19:20], -v[2:3]
	v_mul_f64 v[6:7], v[0:1], v[19:20]
	v_mul_f64 v[19:20], v[17:18], -v[2:3]
	v_mul_f64 v[17:18], v[0:1], v[17:18]
	;; [unrolled: 2-line block ×3, first 2 shown]
	v_fma_f64 v[4:5], v[0:1], v[9:10], v[4:5]
	v_fma_f64 v[6:7], v[2:3], v[9:10], v[6:7]
	;; [unrolled: 1-line block ×6, first 2 shown]
	v_lshl_add_u32 v13, v8, 1, v8
                                        ; implicit-def: $vgpr8
                                        ; implicit-def: $vgpr19_vgpr20
                                        ; implicit-def: $vgpr17_vgpr18
                                        ; implicit-def: $vgpr15_vgpr16
	s_delay_alu instid0(VALU_DEP_1) | instskip(NEXT) | instid1(VALU_DEP_1)
	v_ashrrev_i32_e32 v14, 31, v13
	v_lshlrev_b64 v[13:14], 4, v[13:14]
	s_waitcnt lgkmcnt(0)
	s_delay_alu instid0(VALU_DEP_1) | instskip(NEXT) | instid1(VALU_DEP_2)
	v_add_co_u32 v13, vcc_lo, s2, v13
	v_add_co_ci_u32_e32 v14, vcc_lo, s3, v14, vcc_lo
	s_clause 0x2
	global_store_b128 v[13:14], v[4:7], off
	global_store_b128 v[13:14], v[9:12], off offset:16
	global_store_b128 v[13:14], v[0:3], off offset:32
                                        ; implicit-def: $vgpr0_vgpr1
                                        ; implicit-def: $vgpr2_vgpr3
                                        ; implicit-def: $vgpr4_vgpr5
                                        ; implicit-def: $vgpr6_vgpr7
                                        ; implicit-def: $vgpr9_vgpr10
                                        ; implicit-def: $vgpr11_vgpr12
                                        ; implicit-def: $vgpr13_vgpr14
.LBB133_23:
	s_and_not1_saveexec_b32 s0, s0
	s_cbranch_execz .LBB133_25
; %bb.24:
	v_lshl_add_u32 v21, v8, 1, v8
	v_mul_f64 v[35:36], v[19:20], -v[2:3]
	v_mul_f64 v[19:20], v[0:1], v[19:20]
	v_mul_f64 v[37:38], v[17:18], -v[2:3]
	v_mul_f64 v[17:18], v[0:1], v[17:18]
	v_ashrrev_i32_e32 v22, 31, v21
	v_mul_f64 v[39:40], v[15:16], -v[2:3]
	v_mul_f64 v[15:16], v[0:1], v[15:16]
	s_delay_alu instid0(VALU_DEP_3) | instskip(SKIP_1) | instid1(VALU_DEP_1)
	v_lshlrev_b64 v[21:22], 4, v[21:22]
	s_waitcnt lgkmcnt(0)
	v_add_co_u32 v33, vcc_lo, s2, v21
	s_delay_alu instid0(VALU_DEP_2)
	v_add_co_ci_u32_e32 v34, vcc_lo, s3, v22, vcc_lo
	s_clause 0x2
	global_load_b128 v[21:24], v[33:34], off
	global_load_b128 v[25:28], v[33:34], off offset:16
	global_load_b128 v[29:32], v[33:34], off offset:32
	v_fma_f64 v[35:36], v[0:1], v[9:10], v[35:36]
	v_fma_f64 v[8:9], v[2:3], v[9:10], v[19:20]
	v_fma_f64 v[19:20], v[0:1], v[11:12], v[37:38]
	v_fma_f64 v[10:11], v[2:3], v[11:12], v[17:18]
	v_fma_f64 v[0:1], v[0:1], v[13:14], v[39:40]
	v_fma_f64 v[2:3], v[2:3], v[13:14], v[15:16]
	s_waitcnt vmcnt(2)
	v_fma_f64 v[12:13], v[4:5], v[21:22], v[35:36]
	v_fma_f64 v[8:9], v[6:7], v[21:22], v[8:9]
	s_waitcnt vmcnt(1)
	v_fma_f64 v[14:15], v[4:5], v[25:26], v[19:20]
	v_fma_f64 v[10:11], v[6:7], v[25:26], v[10:11]
	;; [unrolled: 3-line block ×3, first 2 shown]
	v_fma_f64 v[0:1], -v[6:7], v[23:24], v[12:13]
	v_fma_f64 v[2:3], v[4:5], v[23:24], v[8:9]
	v_fma_f64 v[8:9], -v[6:7], v[27:28], v[14:15]
	v_fma_f64 v[10:11], v[4:5], v[27:28], v[10:11]
	;; [unrolled: 2-line block ×3, first 2 shown]
	s_clause 0x2
	global_store_b128 v[33:34], v[0:3], off
	global_store_b128 v[33:34], v[8:11], off offset:16
	global_store_b128 v[33:34], v[12:15], off offset:32
.LBB133_25:
	s_nop 0
	s_sendmsg sendmsg(MSG_DEALLOC_VGPRS)
	s_endpgm
	.section	.rodata,"a",@progbits
	.p2align	6, 0x0
	.amdhsa_kernel _ZN9rocsparseL19gebsrmvn_3xn_kernelILj128ELj6ELj16E21rocsparse_complex_numIdEEEvi20rocsparse_direction_NS_24const_host_device_scalarIT2_EEPKiS8_PKS5_SA_S6_PS5_21rocsparse_index_base_b
		.amdhsa_group_segment_fixed_size 2048
		.amdhsa_private_segment_fixed_size 0
		.amdhsa_kernarg_size 88
		.amdhsa_user_sgpr_count 15
		.amdhsa_user_sgpr_dispatch_ptr 1
		.amdhsa_user_sgpr_queue_ptr 0
		.amdhsa_user_sgpr_kernarg_segment_ptr 1
		.amdhsa_user_sgpr_dispatch_id 0
		.amdhsa_user_sgpr_private_segment_size 0
		.amdhsa_wavefront_size32 1
		.amdhsa_uses_dynamic_stack 0
		.amdhsa_enable_private_segment 0
		.amdhsa_system_sgpr_workgroup_id_x 1
		.amdhsa_system_sgpr_workgroup_id_y 0
		.amdhsa_system_sgpr_workgroup_id_z 0
		.amdhsa_system_sgpr_workgroup_info 0
		.amdhsa_system_vgpr_workitem_id 2
		.amdhsa_next_free_vgpr 118
		.amdhsa_next_free_sgpr 18
		.amdhsa_reserve_vcc 1
		.amdhsa_float_round_mode_32 0
		.amdhsa_float_round_mode_16_64 0
		.amdhsa_float_denorm_mode_32 3
		.amdhsa_float_denorm_mode_16_64 3
		.amdhsa_dx10_clamp 1
		.amdhsa_ieee_mode 1
		.amdhsa_fp16_overflow 0
		.amdhsa_workgroup_processor_mode 1
		.amdhsa_memory_ordered 1
		.amdhsa_forward_progress 0
		.amdhsa_shared_vgpr_count 0
		.amdhsa_exception_fp_ieee_invalid_op 0
		.amdhsa_exception_fp_denorm_src 0
		.amdhsa_exception_fp_ieee_div_zero 0
		.amdhsa_exception_fp_ieee_overflow 0
		.amdhsa_exception_fp_ieee_underflow 0
		.amdhsa_exception_fp_ieee_inexact 0
		.amdhsa_exception_int_div_zero 0
	.end_amdhsa_kernel
	.section	.text._ZN9rocsparseL19gebsrmvn_3xn_kernelILj128ELj6ELj16E21rocsparse_complex_numIdEEEvi20rocsparse_direction_NS_24const_host_device_scalarIT2_EEPKiS8_PKS5_SA_S6_PS5_21rocsparse_index_base_b,"axG",@progbits,_ZN9rocsparseL19gebsrmvn_3xn_kernelILj128ELj6ELj16E21rocsparse_complex_numIdEEEvi20rocsparse_direction_NS_24const_host_device_scalarIT2_EEPKiS8_PKS5_SA_S6_PS5_21rocsparse_index_base_b,comdat
.Lfunc_end133:
	.size	_ZN9rocsparseL19gebsrmvn_3xn_kernelILj128ELj6ELj16E21rocsparse_complex_numIdEEEvi20rocsparse_direction_NS_24const_host_device_scalarIT2_EEPKiS8_PKS5_SA_S6_PS5_21rocsparse_index_base_b, .Lfunc_end133-_ZN9rocsparseL19gebsrmvn_3xn_kernelILj128ELj6ELj16E21rocsparse_complex_numIdEEEvi20rocsparse_direction_NS_24const_host_device_scalarIT2_EEPKiS8_PKS5_SA_S6_PS5_21rocsparse_index_base_b
                                        ; -- End function
	.section	.AMDGPU.csdata,"",@progbits
; Kernel info:
; codeLenInByte = 4996
; NumSgprs: 20
; NumVgprs: 118
; ScratchSize: 0
; MemoryBound: 0
; FloatMode: 240
; IeeeMode: 1
; LDSByteSize: 2048 bytes/workgroup (compile time only)
; SGPRBlocks: 2
; VGPRBlocks: 14
; NumSGPRsForWavesPerEU: 20
; NumVGPRsForWavesPerEU: 118
; Occupancy: 12
; WaveLimiterHint : 1
; COMPUTE_PGM_RSRC2:SCRATCH_EN: 0
; COMPUTE_PGM_RSRC2:USER_SGPR: 15
; COMPUTE_PGM_RSRC2:TRAP_HANDLER: 0
; COMPUTE_PGM_RSRC2:TGID_X_EN: 1
; COMPUTE_PGM_RSRC2:TGID_Y_EN: 0
; COMPUTE_PGM_RSRC2:TGID_Z_EN: 0
; COMPUTE_PGM_RSRC2:TIDIG_COMP_CNT: 2
	.section	.text._ZN9rocsparseL19gebsrmvn_3xn_kernelILj128ELj6ELj32E21rocsparse_complex_numIdEEEvi20rocsparse_direction_NS_24const_host_device_scalarIT2_EEPKiS8_PKS5_SA_S6_PS5_21rocsparse_index_base_b,"axG",@progbits,_ZN9rocsparseL19gebsrmvn_3xn_kernelILj128ELj6ELj32E21rocsparse_complex_numIdEEEvi20rocsparse_direction_NS_24const_host_device_scalarIT2_EEPKiS8_PKS5_SA_S6_PS5_21rocsparse_index_base_b,comdat
	.globl	_ZN9rocsparseL19gebsrmvn_3xn_kernelILj128ELj6ELj32E21rocsparse_complex_numIdEEEvi20rocsparse_direction_NS_24const_host_device_scalarIT2_EEPKiS8_PKS5_SA_S6_PS5_21rocsparse_index_base_b ; -- Begin function _ZN9rocsparseL19gebsrmvn_3xn_kernelILj128ELj6ELj32E21rocsparse_complex_numIdEEEvi20rocsparse_direction_NS_24const_host_device_scalarIT2_EEPKiS8_PKS5_SA_S6_PS5_21rocsparse_index_base_b
	.p2align	8
	.type	_ZN9rocsparseL19gebsrmvn_3xn_kernelILj128ELj6ELj32E21rocsparse_complex_numIdEEEvi20rocsparse_direction_NS_24const_host_device_scalarIT2_EEPKiS8_PKS5_SA_S6_PS5_21rocsparse_index_base_b,@function
_ZN9rocsparseL19gebsrmvn_3xn_kernelILj128ELj6ELj32E21rocsparse_complex_numIdEEEvi20rocsparse_direction_NS_24const_host_device_scalarIT2_EEPKiS8_PKS5_SA_S6_PS5_21rocsparse_index_base_b: ; @_ZN9rocsparseL19gebsrmvn_3xn_kernelILj128ELj6ELj32E21rocsparse_complex_numIdEEEvi20rocsparse_direction_NS_24const_host_device_scalarIT2_EEPKiS8_PKS5_SA_S6_PS5_21rocsparse_index_base_b
; %bb.0:
	s_load_b64 s[12:13], s[2:3], 0x50
	s_load_b64 s[16:17], s[0:1], 0x4
	s_load_b128 s[8:11], s[2:3], 0x8
	v_bfe_u32 v1, v0, 10, 10
	s_mov_b64 s[0:1], src_shared_base
	s_load_b128 s[4:7], s[2:3], 0x38
	v_and_b32_e32 v10, 0x3ff, v0
	v_bfe_u32 v0, v0, 20, 10
	s_waitcnt lgkmcnt(0)
	s_bitcmp1_b32 s13, 0
	v_mul_u32_u24_e32 v1, s17, v1
	s_cselect_b32 s0, -1, 0
	s_delay_alu instid0(SALU_CYCLE_1)
	s_and_b32 vcc_lo, s0, exec_lo
	s_cselect_b32 s13, s1, s9
	s_lshr_b32 s14, s16, 16
	v_dual_mov_b32 v2, s4 :: v_dual_mov_b32 v3, s5
	s_mul_i32 s14, s14, s17
	v_mov_b32_e32 v6, s13
	v_mad_u32_u24 v1, s14, v10, v1
	s_delay_alu instid0(VALU_DEP_1) | instskip(SKIP_1) | instid1(VALU_DEP_2)
	v_add_lshl_u32 v4, v1, v0, 3
	v_dual_mov_b32 v0, s8 :: v_dual_mov_b32 v1, s9
	v_add_nc_u32_e32 v5, 0x400, v4
	ds_store_2addr_stride64_b64 v4, v[2:3], v[0:1] offset1:2
	v_dual_mov_b32 v2, s10 :: v_dual_mov_b32 v3, s11
	v_cndmask_b32_e64 v5, s8, v5, s0
	s_xor_b32 s10, s0, -1
	flat_load_b64 v[0:1], v[5:6]
	s_cbranch_vccnz .LBB134_2
; %bb.1:
	v_dual_mov_b32 v2, s8 :: v_dual_mov_b32 v3, s9
	flat_load_b64 v[2:3], v[2:3] offset:8
.LBB134_2:
	s_and_b32 s8, s0, exec_lo
	s_cselect_b32 s1, s1, s5
	v_cndmask_b32_e64 v4, s4, v4, s0
	v_dual_mov_b32 v5, s1 :: v_dual_mov_b32 v6, s6
	v_mov_b32_e32 v7, s7
	s_and_not1_b32 vcc_lo, exec_lo, s10
	flat_load_b64 v[4:5], v[4:5]
	s_cbranch_vccnz .LBB134_4
; %bb.3:
	v_dual_mov_b32 v7, s5 :: v_dual_mov_b32 v6, s4
	flat_load_b64 v[6:7], v[6:7] offset:8
.LBB134_4:
	s_waitcnt vmcnt(1) lgkmcnt(1)
	v_cmp_eq_f64_e32 vcc_lo, 0, v[0:1]
	v_cmp_eq_f64_e64 s0, 0, v[2:3]
	s_delay_alu instid0(VALU_DEP_1)
	s_and_b32 s4, vcc_lo, s0
	s_mov_b32 s0, -1
	s_and_saveexec_b32 s1, s4
	s_cbranch_execz .LBB134_6
; %bb.5:
	s_waitcnt vmcnt(0) lgkmcnt(0)
	v_cmp_neq_f64_e32 vcc_lo, 1.0, v[4:5]
	v_cmp_neq_f64_e64 s0, 0, v[6:7]
	s_delay_alu instid0(VALU_DEP_1) | instskip(NEXT) | instid1(SALU_CYCLE_1)
	s_or_b32 s0, vcc_lo, s0
	s_or_not1_b32 s0, s0, exec_lo
.LBB134_6:
	s_or_b32 exec_lo, exec_lo, s1
	s_and_saveexec_b32 s1, s0
	s_cbranch_execz .LBB134_25
; %bb.7:
	s_load_b64 s[0:1], s[2:3], 0x0
	v_lshrrev_b32_e32 v8, 5, v10
	s_delay_alu instid0(VALU_DEP_1) | instskip(SKIP_1) | instid1(VALU_DEP_1)
	v_lshl_or_b32 v8, s15, 2, v8
	s_waitcnt lgkmcnt(0)
	v_cmp_gt_i32_e32 vcc_lo, s0, v8
	s_and_b32 exec_lo, exec_lo, vcc_lo
	s_cbranch_execz .LBB134_25
; %bb.8:
	s_load_b256 s[4:11], s[2:3], 0x18
	v_ashrrev_i32_e32 v9, 31, v8
	v_and_b32_e32 v33, 31, v10
	s_cmp_lg_u32 s1, 0
	s_delay_alu instid0(VALU_DEP_2) | instskip(SKIP_1) | instid1(VALU_DEP_1)
	v_lshlrev_b64 v[11:12], 2, v[8:9]
	s_waitcnt lgkmcnt(0)
	v_add_co_u32 v11, vcc_lo, s4, v11
	s_delay_alu instid0(VALU_DEP_2) | instskip(SKIP_4) | instid1(VALU_DEP_2)
	v_add_co_ci_u32_e32 v12, vcc_lo, s5, v12, vcc_lo
	global_load_b64 v[11:12], v[11:12], off
	s_waitcnt vmcnt(0)
	v_subrev_nc_u32_e32 v9, s12, v11
	v_subrev_nc_u32_e32 v29, s12, v12
	v_add_nc_u32_e32 v9, v9, v33
	s_delay_alu instid0(VALU_DEP_1)
	v_cmp_lt_i32_e64 s0, v9, v29
	s_cbranch_scc0 .LBB134_14
; %bb.9:
	v_mov_b32_e32 v11, 0
	v_mov_b32_e32 v12, 0
	s_delay_alu instid0(VALU_DEP_1)
	v_dual_mov_b32 v18, v12 :: v_dual_mov_b32 v17, v11
	v_dual_mov_b32 v14, v12 :: v_dual_mov_b32 v13, v11
	;; [unrolled: 1-line block ×5, first 2 shown]
	s_and_saveexec_b32 s1, s0
	s_cbranch_execz .LBB134_13
; %bb.10:
	v_dual_mov_b32 v11, 0 :: v_dual_mov_b32 v26, v9
	v_dual_mov_b32 v12, 0 :: v_dual_mov_b32 v25, 0
	v_mad_u64_u32 v[23:24], null, v9, 18, 17
	s_mov_b32 s4, 0
	s_delay_alu instid0(VALU_DEP_2)
	v_dual_mov_b32 v18, v12 :: v_dual_mov_b32 v17, v11
	v_dual_mov_b32 v14, v12 :: v_dual_mov_b32 v13, v11
	;; [unrolled: 1-line block ×5, first 2 shown]
.LBB134_11:                             ; =>This Inner Loop Header: Depth=1
	v_ashrrev_i32_e32 v27, 31, v26
	v_subrev_nc_u32_e32 v24, 17, v23
	s_delay_alu instid0(VALU_DEP_2) | instskip(NEXT) | instid1(VALU_DEP_2)
	v_lshlrev_b64 v[27:28], 2, v[26:27]
	v_lshlrev_b64 v[30:31], 4, v[24:25]
	v_add_nc_u32_e32 v24, -15, v23
	v_add_nc_u32_e32 v26, 32, v26
	s_delay_alu instid0(VALU_DEP_4) | instskip(SKIP_1) | instid1(VALU_DEP_4)
	v_add_co_u32 v27, vcc_lo, s6, v27
	v_add_co_ci_u32_e32 v28, vcc_lo, s7, v28, vcc_lo
	v_lshlrev_b64 v[34:35], 4, v[24:25]
	v_add_co_u32 v30, vcc_lo, s8, v30
	global_load_b32 v10, v[27:28], off
	v_add_co_ci_u32_e32 v31, vcc_lo, s9, v31, vcc_lo
	v_mov_b32_e32 v28, v25
	v_add_co_u32 v42, vcc_lo, s8, v34
	v_add_co_ci_u32_e32 v43, vcc_lo, s9, v35, vcc_lo
	s_clause 0x2
	global_load_b128 v[34:37], v[30:31], off offset:16
	global_load_b128 v[38:41], v[30:31], off
	global_load_b128 v[42:45], v[42:43], off
	v_add_nc_u32_e32 v24, -14, v23
	s_delay_alu instid0(VALU_DEP_1) | instskip(SKIP_1) | instid1(VALU_DEP_1)
	v_lshlrev_b64 v[50:51], 4, v[24:25]
	v_add_nc_u32_e32 v24, -13, v23
	v_lshlrev_b64 v[52:53], 4, v[24:25]
	v_add_nc_u32_e32 v24, -12, v23
	s_delay_alu instid0(VALU_DEP_1) | instskip(SKIP_3) | instid1(VALU_DEP_1)
	v_lshlrev_b64 v[54:55], 4, v[24:25]
	v_add_nc_u32_e32 v24, -11, v23
	s_waitcnt vmcnt(3)
	v_subrev_nc_u32_e32 v10, s12, v10
	v_mul_lo_u32 v27, v10, 6
	s_delay_alu instid0(VALU_DEP_1) | instskip(NEXT) | instid1(VALU_DEP_1)
	v_lshlrev_b64 v[30:31], 4, v[27:28]
	v_add_co_u32 v30, vcc_lo, s10, v30
	s_delay_alu instid0(VALU_DEP_2)
	v_add_co_ci_u32_e32 v31, vcc_lo, s11, v31, vcc_lo
	v_add_co_u32 v50, vcc_lo, s8, v50
	v_add_co_ci_u32_e32 v51, vcc_lo, s9, v51, vcc_lo
	global_load_b128 v[46:49], v[30:31], off
	v_add_co_u32 v56, vcc_lo, s8, v52
	v_add_co_ci_u32_e32 v57, vcc_lo, s9, v53, vcc_lo
	v_add_co_u32 v58, vcc_lo, s8, v54
	v_add_co_ci_u32_e32 v59, vcc_lo, s9, v55, vcc_lo
	s_clause 0x2
	global_load_b128 v[50:53], v[50:51], off
	global_load_b128 v[54:57], v[56:57], off
	;; [unrolled: 1-line block ×3, first 2 shown]
	global_load_b128 v[62:65], v[30:31], off offset:16
	v_lshlrev_b64 v[30:31], 4, v[24:25]
	v_add_nc_u32_e32 v24, 2, v27
	s_delay_alu instid0(VALU_DEP_2) | instskip(NEXT) | instid1(VALU_DEP_3)
	v_add_co_u32 v30, vcc_lo, s8, v30
	v_add_co_ci_u32_e32 v31, vcc_lo, s9, v31, vcc_lo
	global_load_b128 v[66:69], v[30:31], off
	v_lshlrev_b64 v[30:31], 4, v[24:25]
	v_add_nc_u32_e32 v24, -10, v23
	s_delay_alu instid0(VALU_DEP_1) | instskip(SKIP_1) | instid1(VALU_DEP_4)
	v_lshlrev_b64 v[70:71], 4, v[24:25]
	v_add_nc_u32_e32 v24, -9, v23
	v_add_co_u32 v30, vcc_lo, s10, v30
	v_add_co_ci_u32_e32 v31, vcc_lo, s11, v31, vcc_lo
	s_delay_alu instid0(VALU_DEP_3) | instskip(SKIP_3) | instid1(VALU_DEP_4)
	v_lshlrev_b64 v[72:73], 4, v[24:25]
	v_add_co_u32 v74, vcc_lo, s8, v70
	v_add_co_ci_u32_e32 v75, vcc_lo, s9, v71, vcc_lo
	v_add_nc_u32_e32 v24, -8, v23
	v_add_co_u32 v78, vcc_lo, s8, v72
	v_add_co_ci_u32_e32 v79, vcc_lo, s9, v73, vcc_lo
	global_load_b128 v[70:73], v[30:31], off
	s_clause 0x1
	global_load_b128 v[74:77], v[74:75], off
	global_load_b128 v[78:81], v[78:79], off
	global_load_b128 v[82:85], v[30:31], off offset:16
	v_lshlrev_b64 v[30:31], 4, v[24:25]
	v_add_nc_u32_e32 v24, -7, v23
	s_delay_alu instid0(VALU_DEP_1) | instskip(SKIP_1) | instid1(VALU_DEP_4)
	v_lshlrev_b64 v[86:87], 4, v[24:25]
	v_add_nc_u32_e32 v24, -6, v23
	v_add_co_u32 v30, vcc_lo, s8, v30
	v_add_co_ci_u32_e32 v31, vcc_lo, s9, v31, vcc_lo
	s_delay_alu instid0(VALU_DEP_3) | instskip(SKIP_3) | instid1(VALU_DEP_4)
	v_lshlrev_b64 v[88:89], 4, v[24:25]
	v_add_co_u32 v90, vcc_lo, s8, v86
	v_add_co_ci_u32_e32 v91, vcc_lo, s9, v87, vcc_lo
	v_add_nc_u32_e32 v24, -5, v23
	v_add_co_u32 v94, vcc_lo, s8, v88
	v_add_co_ci_u32_e32 v95, vcc_lo, s9, v89, vcc_lo
	s_clause 0x2
	global_load_b128 v[86:89], v[30:31], off
	global_load_b128 v[90:93], v[90:91], off
	;; [unrolled: 1-line block ×3, first 2 shown]
	v_lshlrev_b64 v[30:31], 4, v[24:25]
	v_add_nc_u32_e32 v24, 4, v27
	s_delay_alu instid0(VALU_DEP_1) | instskip(SKIP_1) | instid1(VALU_DEP_4)
	v_lshlrev_b64 v[27:28], 4, v[24:25]
	v_add_nc_u32_e32 v24, -4, v23
	v_add_co_u32 v30, vcc_lo, s8, v30
	v_add_co_ci_u32_e32 v31, vcc_lo, s9, v31, vcc_lo
	s_delay_alu instid0(VALU_DEP_3)
	v_lshlrev_b64 v[102:103], 4, v[24:25]
	v_add_nc_u32_e32 v24, -3, v23
	v_add_co_u32 v27, vcc_lo, s10, v27
	global_load_b128 v[98:101], v[30:31], off
	v_add_co_ci_u32_e32 v28, vcc_lo, s11, v28, vcc_lo
	v_lshlrev_b64 v[30:31], 4, v[24:25]
	v_add_co_u32 v106, vcc_lo, s8, v102
	v_add_co_ci_u32_e32 v107, vcc_lo, s9, v103, vcc_lo
	v_mov_b32_e32 v24, v25
	s_delay_alu instid0(VALU_DEP_4)
	v_add_co_u32 v30, vcc_lo, s8, v30
	v_add_co_ci_u32_e32 v31, vcc_lo, s9, v31, vcc_lo
	global_load_b128 v[102:105], v[27:28], off
	s_clause 0x1
	global_load_b128 v[106:109], v[106:107], off
	global_load_b128 v[110:113], v[30:31], off
	s_waitcnt vmcnt(16)
	v_fma_f64 v[17:18], v[38:39], v[46:47], v[17:18]
	v_fma_f64 v[10:11], v[40:41], v[46:47], v[11:12]
	;; [unrolled: 1-line block ×6, first 2 shown]
	v_lshlrev_b64 v[12:13], 4, v[23:24]
	v_add_nc_u32_e32 v24, -2, v23
	s_delay_alu instid0(VALU_DEP_2) | instskip(NEXT) | instid1(VALU_DEP_3)
	v_add_co_u32 v12, vcc_lo, s8, v12
	v_add_co_ci_u32_e32 v13, vcc_lo, s9, v13, vcc_lo
	global_load_b128 v[114:117], v[12:13], off
	global_load_b128 v[13:16], v[27:28], off offset:16
	v_lshlrev_b64 v[27:28], 4, v[24:25]
	v_add_nc_u32_e32 v24, -1, v23
	v_add_nc_u32_e32 v23, 0x240, v23
	v_fma_f64 v[17:18], -v[40:41], v[48:49], v[17:18]
	v_fma_f64 v[10:11], v[38:39], v[48:49], v[10:11]
	v_fma_f64 v[38:39], -v[36:37], v[48:49], v[19:20]
	v_fma_f64 v[40:41], v[34:35], v[48:49], v[21:22]
	;; [unrolled: 2-line block ×3, first 2 shown]
	v_lshlrev_b64 v[19:20], 4, v[24:25]
	v_add_co_u32 v21, vcc_lo, s8, v27
	v_add_co_ci_u32_e32 v22, vcc_lo, s9, v28, vcc_lo
	s_delay_alu instid0(VALU_DEP_3) | instskip(NEXT) | instid1(VALU_DEP_4)
	v_add_co_u32 v27, vcc_lo, s8, v19
	v_add_co_ci_u32_e32 v28, vcc_lo, s9, v20, vcc_lo
	s_clause 0x1
	global_load_b128 v[19:22], v[21:22], off
	global_load_b128 v[34:37], v[27:28], off
	v_cmp_ge_i32_e32 vcc_lo, v26, v29
	s_or_b32 s4, vcc_lo, s4
	s_waitcnt vmcnt(16)
	v_fma_f64 v[17:18], v[50:51], v[62:63], v[17:18]
	v_fma_f64 v[10:11], v[52:53], v[62:63], v[10:11]
	;; [unrolled: 1-line block ×6, first 2 shown]
	v_fma_f64 v[17:18], -v[52:53], v[64:65], v[17:18]
	v_fma_f64 v[10:11], v[50:51], v[64:65], v[10:11]
	v_fma_f64 v[27:28], -v[56:57], v[64:65], v[27:28]
	v_fma_f64 v[38:39], v[54:55], v[64:65], v[38:39]
	v_fma_f64 v[30:31], -v[60:61], v[64:65], v[30:31]
	v_fma_f64 v[40:41], v[58:59], v[64:65], v[40:41]
	s_waitcnt vmcnt(14)
	v_fma_f64 v[17:18], v[66:67], v[70:71], v[17:18]
	v_fma_f64 v[10:11], v[68:69], v[70:71], v[10:11]
	s_waitcnt vmcnt(13)
	v_fma_f64 v[27:28], v[74:75], v[70:71], v[27:28]
	v_fma_f64 v[38:39], v[76:77], v[70:71], v[38:39]
	s_waitcnt vmcnt(12)
	v_fma_f64 v[30:31], v[78:79], v[70:71], v[30:31]
	v_fma_f64 v[40:41], v[80:81], v[70:71], v[40:41]
	v_fma_f64 v[17:18], -v[68:69], v[72:73], v[17:18]
	v_fma_f64 v[10:11], v[66:67], v[72:73], v[10:11]
	v_fma_f64 v[27:28], -v[76:77], v[72:73], v[27:28]
	v_fma_f64 v[38:39], v[74:75], v[72:73], v[38:39]
	v_fma_f64 v[30:31], -v[80:81], v[72:73], v[30:31]
	v_fma_f64 v[40:41], v[78:79], v[72:73], v[40:41]
	s_waitcnt vmcnt(10)
	v_fma_f64 v[17:18], v[86:87], v[82:83], v[17:18]
	v_fma_f64 v[10:11], v[88:89], v[82:83], v[10:11]
	s_waitcnt vmcnt(9)
	v_fma_f64 v[27:28], v[90:91], v[82:83], v[27:28]
	v_fma_f64 v[38:39], v[92:93], v[82:83], v[38:39]
	s_waitcnt vmcnt(8)
	v_fma_f64 v[30:31], v[94:95], v[82:83], v[30:31]
	v_fma_f64 v[40:41], v[96:97], v[82:83], v[40:41]
	;; [unrolled: 15-line block ×3, first 2 shown]
	v_fma_f64 v[17:18], -v[100:101], v[104:105], v[17:18]
	v_fma_f64 v[10:11], v[98:99], v[104:105], v[10:11]
	v_fma_f64 v[27:28], -v[108:109], v[104:105], v[27:28]
	v_fma_f64 v[38:39], v[106:107], v[104:105], v[38:39]
	;; [unrolled: 2-line block ×3, first 2 shown]
	s_waitcnt vmcnt(1)
	v_fma_f64 v[17:18], v[19:20], v[13:14], v[17:18]
	v_fma_f64 v[10:11], v[21:22], v[13:14], v[10:11]
	s_waitcnt vmcnt(0)
	v_fma_f64 v[27:28], v[34:35], v[13:14], v[27:28]
	v_fma_f64 v[38:39], v[36:37], v[13:14], v[38:39]
	;; [unrolled: 1-line block ×4, first 2 shown]
	v_fma_f64 v[17:18], -v[21:22], v[15:16], v[17:18]
	v_fma_f64 v[11:12], v[19:20], v[15:16], v[10:11]
	v_fma_f64 v[19:20], -v[36:37], v[15:16], v[27:28]
	v_fma_f64 v[21:22], v[34:35], v[15:16], v[38:39]
	;; [unrolled: 2-line block ×3, first 2 shown]
	s_and_not1_b32 exec_lo, exec_lo, s4
	s_cbranch_execnz .LBB134_11
; %bb.12:
	s_or_b32 exec_lo, exec_lo, s4
.LBB134_13:
	s_delay_alu instid0(SALU_CYCLE_1)
	s_or_b32 exec_lo, exec_lo, s1
	s_cbranch_execz .LBB134_15
	s_branch .LBB134_20
.LBB134_14:
                                        ; implicit-def: $vgpr11_vgpr12
                                        ; implicit-def: $vgpr17_vgpr18
                                        ; implicit-def: $vgpr13_vgpr14
                                        ; implicit-def: $vgpr15_vgpr16
                                        ; implicit-def: $vgpr19_vgpr20
                                        ; implicit-def: $vgpr21_vgpr22
.LBB134_15:
	v_mov_b32_e32 v11, 0
	v_mov_b32_e32 v12, 0
	s_delay_alu instid0(VALU_DEP_1)
	v_dual_mov_b32 v18, v12 :: v_dual_mov_b32 v17, v11
	v_dual_mov_b32 v14, v12 :: v_dual_mov_b32 v13, v11
	v_dual_mov_b32 v16, v12 :: v_dual_mov_b32 v15, v11
	v_dual_mov_b32 v20, v12 :: v_dual_mov_b32 v19, v11
	v_dual_mov_b32 v22, v12 :: v_dual_mov_b32 v21, v11
	s_and_saveexec_b32 s1, s0
	s_cbranch_execz .LBB134_19
; %bb.16:
	v_dual_mov_b32 v11, 0 :: v_dual_mov_b32 v26, 0
	v_mov_b32_e32 v12, 0
	v_mad_u64_u32 v[23:24], null, v9, 18, 17
	s_mov_b32 s0, 0
	s_delay_alu instid0(VALU_DEP_2)
	v_dual_mov_b32 v18, v12 :: v_dual_mov_b32 v17, v11
	v_dual_mov_b32 v14, v12 :: v_dual_mov_b32 v13, v11
	;; [unrolled: 1-line block ×5, first 2 shown]
.LBB134_17:                             ; =>This Inner Loop Header: Depth=1
	v_ashrrev_i32_e32 v10, 31, v9
	v_dual_mov_b32 v31, v26 :: v_dual_add_nc_u32 v30, -11, v23
	v_dual_mov_b32 v35, v26 :: v_dual_add_nc_u32 v34, -5, v23
	s_delay_alu instid0(VALU_DEP_3) | instskip(SKIP_1) | instid1(VALU_DEP_4)
	v_lshlrev_b64 v[24:25], 2, v[9:10]
	v_mov_b32_e32 v28, v26
	v_lshlrev_b64 v[30:31], 4, v[30:31]
	v_add_nc_u32_e32 v9, 32, v9
	v_lshlrev_b64 v[34:35], 4, v[34:35]
	v_add_co_u32 v24, vcc_lo, s6, v24
	v_add_co_ci_u32_e32 v25, vcc_lo, s7, v25, vcc_lo
	global_load_b32 v10, v[24:25], off
	v_subrev_nc_u32_e32 v25, 17, v23
	v_mov_b32_e32 v24, v26
	s_delay_alu instid0(VALU_DEP_2) | instskip(SKIP_1) | instid1(VALU_DEP_1)
	v_lshlrev_b64 v[36:37], 4, v[25:26]
	v_add_nc_u32_e32 v25, -10, v23
	v_lshlrev_b64 v[42:43], 4, v[25:26]
	v_add_nc_u32_e32 v25, -4, v23
	s_delay_alu instid0(VALU_DEP_4)
	v_add_co_u32 v40, vcc_lo, s8, v36
	v_add_co_ci_u32_e32 v41, vcc_lo, s9, v37, vcc_lo
	v_lshlrev_b64 v[38:39], 4, v[23:24]
	v_add_co_u32 v30, vcc_lo, s8, v30
	v_add_co_ci_u32_e32 v31, vcc_lo, s9, v31, vcc_lo
	v_add_co_u32 v46, vcc_lo, s8, v34
	v_lshlrev_b64 v[58:59], 4, v[25:26]
	v_add_nc_u32_e32 v25, -15, v23
	v_add_co_ci_u32_e32 v47, vcc_lo, s9, v35, vcc_lo
	v_add_co_u32 v50, vcc_lo, s8, v38
	v_add_co_ci_u32_e32 v51, vcc_lo, s9, v39, vcc_lo
	v_add_co_u32 v54, vcc_lo, s8, v42
	v_lshlrev_b64 v[24:25], 4, v[25:26]
	v_add_co_ci_u32_e32 v55, vcc_lo, s9, v43, vcc_lo
	s_clause 0x4
	global_load_b128 v[34:37], v[40:41], off offset:16
	global_load_b128 v[38:41], v[40:41], off
	global_load_b128 v[42:45], v[30:31], off
	;; [unrolled: 1-line block ×4, first 2 shown]
	v_add_co_u32 v30, vcc_lo, s8, v58
	v_add_co_ci_u32_e32 v31, vcc_lo, s9, v59, vcc_lo
	v_add_co_u32 v24, vcc_lo, s8, v24
	v_add_co_ci_u32_e32 v25, vcc_lo, s9, v25, vcc_lo
	s_clause 0x2
	global_load_b128 v[54:57], v[54:55], off
	global_load_b128 v[58:61], v[30:31], off
	;; [unrolled: 1-line block ×3, first 2 shown]
	s_waitcnt vmcnt(8)
	v_subrev_nc_u32_e32 v10, s12, v10
	s_delay_alu instid0(VALU_DEP_1) | instskip(NEXT) | instid1(VALU_DEP_1)
	v_mul_lo_u32 v27, v10, 6
	v_lshlrev_b64 v[24:25], 4, v[27:28]
	s_delay_alu instid0(VALU_DEP_1) | instskip(NEXT) | instid1(VALU_DEP_2)
	v_add_co_u32 v24, vcc_lo, s10, v24
	v_add_co_ci_u32_e32 v25, vcc_lo, s11, v25, vcc_lo
	s_clause 0x1
	global_load_b128 v[66:69], v[24:25], off
	global_load_b128 v[70:73], v[24:25], off offset:16
	v_add_nc_u32_e32 v25, 2, v27
	s_delay_alu instid0(VALU_DEP_1) | instskip(SKIP_1) | instid1(VALU_DEP_1)
	v_lshlrev_b64 v[30:31], 4, v[25:26]
	v_add_nc_u32_e32 v25, -9, v23
	v_lshlrev_b64 v[82:83], 4, v[25:26]
	v_add_nc_u32_e32 v25, -3, v23
	s_delay_alu instid0(VALU_DEP_4) | instskip(SKIP_1) | instid1(VALU_DEP_3)
	v_add_co_u32 v30, vcc_lo, s10, v30
	v_add_co_ci_u32_e32 v31, vcc_lo, s11, v31, vcc_lo
	v_lshlrev_b64 v[84:85], 4, v[25:26]
	s_clause 0x1
	global_load_b128 v[74:77], v[30:31], off offset:16
	global_load_b128 v[78:81], v[30:31], off
	v_add_co_u32 v30, vcc_lo, s8, v82
	v_add_co_ci_u32_e32 v31, vcc_lo, s9, v83, vcc_lo
	v_add_co_u32 v86, vcc_lo, s8, v84
	v_add_co_ci_u32_e32 v87, vcc_lo, s9, v85, vcc_lo
	global_load_b128 v[82:85], v[30:31], off
	v_add_nc_u32_e32 v25, -14, v23
	global_load_b128 v[86:89], v[86:87], off
	v_lshlrev_b64 v[90:91], 4, v[25:26]
	v_add_nc_u32_e32 v25, -8, v23
	s_delay_alu instid0(VALU_DEP_1) | instskip(SKIP_1) | instid1(VALU_DEP_4)
	v_lshlrev_b64 v[30:31], 4, v[25:26]
	v_add_nc_u32_e32 v25, -2, v23
	v_add_co_u32 v90, vcc_lo, s8, v90
	v_add_co_ci_u32_e32 v91, vcc_lo, s9, v91, vcc_lo
	s_delay_alu instid0(VALU_DEP_3) | instskip(SKIP_3) | instid1(VALU_DEP_3)
	v_lshlrev_b64 v[98:99], 4, v[25:26]
	v_add_nc_u32_e32 v25, -13, v23
	v_add_co_u32 v30, vcc_lo, s8, v30
	v_add_co_ci_u32_e32 v31, vcc_lo, s9, v31, vcc_lo
	v_lshlrev_b64 v[100:101], 4, v[25:26]
	v_add_nc_u32_e32 v25, 4, v27
	v_add_co_u32 v27, vcc_lo, s8, v98
	v_add_co_ci_u32_e32 v28, vcc_lo, s9, v99, vcc_lo
	s_delay_alu instid0(VALU_DEP_4)
	v_add_co_u32 v102, vcc_lo, s8, v100
	global_load_b128 v[94:97], v[30:31], off
	v_add_co_ci_u32_e32 v103, vcc_lo, s9, v101, vcc_lo
	s_clause 0x1
	global_load_b128 v[98:101], v[27:28], off
	global_load_b128 v[90:93], v[90:91], off
	v_lshlrev_b64 v[30:31], 4, v[25:26]
	v_add_nc_u32_e32 v25, -7, v23
	s_delay_alu instid0(VALU_DEP_2) | instskip(NEXT) | instid1(VALU_DEP_3)
	v_add_co_u32 v30, vcc_lo, s10, v30
	v_add_co_ci_u32_e32 v31, vcc_lo, s11, v31, vcc_lo
	s_waitcnt vmcnt(8)
	v_fma_f64 v[17:18], v[38:39], v[66:67], v[17:18]
	v_fma_f64 v[10:11], v[40:41], v[66:67], v[11:12]
	s_delay_alu instid0(VALU_DEP_2) | instskip(SKIP_2) | instid1(VALU_DEP_4)
	v_fma_f64 v[27:28], -v[40:41], v[68:69], v[17:18]
	v_fma_f64 v[17:18], v[42:43], v[66:67], v[19:20]
	v_fma_f64 v[19:20], v[44:45], v[66:67], v[21:22]
	;; [unrolled: 1-line block ×3, first 2 shown]
	global_load_b128 v[38:41], v[102:103], off
	v_lshlrev_b64 v[10:11], 4, v[25:26]
	v_add_nc_u32_e32 v25, -1, v23
	s_waitcnt vmcnt(8)
	v_fma_f64 v[27:28], v[34:35], v[70:71], v[27:28]
	v_fma_f64 v[44:45], -v[44:45], v[68:69], v[17:18]
	v_fma_f64 v[42:43], v[42:43], v[68:69], v[19:20]
	v_add_co_u32 v19, vcc_lo, s8, v10
	v_add_co_ci_u32_e32 v20, vcc_lo, s9, v11, vcc_lo
	v_fma_f64 v[10:11], v[46:47], v[66:67], v[13:14]
	v_fma_f64 v[12:13], v[48:49], v[66:67], v[15:16]
	v_lshlrev_b64 v[17:18], 4, v[25:26]
	v_add_nc_u32_e32 v25, -12, v23
	s_delay_alu instid0(VALU_DEP_2) | instskip(NEXT) | instid1(VALU_DEP_3)
	v_add_co_u32 v21, vcc_lo, s8, v17
	v_add_co_ci_u32_e32 v22, vcc_lo, s9, v18, vcc_lo
	v_fma_f64 v[27:28], -v[36:37], v[72:73], v[27:28]
	v_fma_f64 v[42:43], v[56:57], v[70:71], v[42:43]
	v_fma_f64 v[66:67], -v[48:49], v[68:69], v[10:11]
	v_fma_f64 v[68:69], v[46:47], v[68:69], v[12:13]
	global_load_b128 v[10:13], v[30:31], off
	s_clause 0x1
	global_load_b128 v[14:17], v[19:20], off
	global_load_b128 v[18:21], v[21:22], off
	v_fma_f64 v[48:49], v[36:37], v[70:71], v[104:105]
	v_lshlrev_b64 v[46:47], 4, v[25:26]
	v_add_nc_u32_e32 v25, -6, v23
	v_add_nc_u32_e32 v23, 0x240, v23
	s_delay_alu instid0(VALU_DEP_2) | instskip(NEXT) | instid1(VALU_DEP_4)
	v_lshlrev_b64 v[24:25], 4, v[25:26]
	v_add_co_u32 v46, vcc_lo, s8, v46
	v_add_co_ci_u32_e32 v47, vcc_lo, s9, v47, vcc_lo
	s_delay_alu instid0(VALU_DEP_3) | instskip(NEXT) | instid1(VALU_DEP_4)
	v_add_co_u32 v24, vcc_lo, s8, v24
	v_add_co_ci_u32_e32 v25, vcc_lo, s9, v25, vcc_lo
	v_cmp_ge_i32_e32 vcc_lo, v9, v29
	s_or_b32 s0, vcc_lo, s0
	s_waitcnt vmcnt(9)
	v_fma_f64 v[27:28], v[62:63], v[78:79], v[27:28]
	v_fma_f64 v[102:103], v[34:35], v[72:73], v[48:49]
	global_load_b128 v[34:37], v[30:31], off offset:16
	v_fma_f64 v[30:31], v[54:55], v[70:71], v[44:45]
	v_fma_f64 v[54:55], v[54:55], v[72:73], v[42:43]
	s_clause 0x1
	global_load_b128 v[42:45], v[46:47], off
	global_load_b128 v[46:49], v[24:25], off
	v_fma_f64 v[24:25], v[58:59], v[70:71], v[66:67]
	v_fma_f64 v[27:28], -v[64:65], v[80:81], v[27:28]
	v_fma_f64 v[30:31], -v[56:57], v[72:73], v[30:31]
	v_fma_f64 v[56:57], v[60:61], v[70:71], v[68:69]
	s_waitcnt vmcnt(11)
	v_fma_f64 v[54:55], v[84:85], v[78:79], v[54:55]
	v_fma_f64 v[24:25], -v[60:61], v[72:73], v[24:25]
	s_waitcnt vmcnt(7)
	v_fma_f64 v[27:28], v[90:91], v[74:75], v[27:28]
	v_fma_f64 v[30:31], v[82:83], v[78:79], v[30:31]
	;; [unrolled: 1-line block ×6, first 2 shown]
	v_fma_f64 v[27:28], -v[92:93], v[76:77], v[27:28]
	v_fma_f64 v[30:31], -v[84:85], v[80:81], v[30:31]
	v_fma_f64 v[56:57], v[88:89], v[78:79], v[56:57]
	v_fma_f64 v[58:59], v[62:63], v[80:81], v[58:59]
	v_fma_f64 v[24:25], -v[88:89], v[80:81], v[24:25]
	v_fma_f64 v[54:55], v[96:97], v[74:75], v[54:55]
	v_fma_f64 v[30:31], v[94:95], v[74:75], v[30:31]
	;; [unrolled: 1-line block ×6, first 2 shown]
	v_fma_f64 v[30:31], -v[96:97], v[76:77], v[30:31]
	v_fma_f64 v[56:57], v[100:101], v[74:75], v[56:57]
	v_fma_f64 v[58:59], v[90:91], v[76:77], v[58:59]
	v_fma_f64 v[24:25], -v[100:101], v[76:77], v[24:25]
	s_delay_alu instid0(VALU_DEP_3) | instskip(SKIP_2) | instid1(VALU_DEP_4)
	v_fma_f64 v[56:57], v[98:99], v[76:77], v[56:57]
	s_waitcnt vmcnt(5)
	v_fma_f64 v[27:28], v[38:39], v[10:11], v[27:28]
	v_fma_f64 v[58:59], v[40:41], v[10:11], v[58:59]
	s_waitcnt vmcnt(4)
	v_fma_f64 v[30:31], v[14:15], v[10:11], v[30:31]
	;; [unrolled: 3-line block ×3, first 2 shown]
	v_fma_f64 v[10:11], v[20:21], v[10:11], v[56:57]
	v_fma_f64 v[27:28], -v[40:41], v[12:13], v[27:28]
	v_fma_f64 v[38:39], v[38:39], v[12:13], v[58:59]
	v_fma_f64 v[16:17], -v[16:17], v[12:13], v[30:31]
	;; [unrolled: 2-line block ×3, first 2 shown]
	v_fma_f64 v[10:11], v[18:19], v[12:13], v[10:11]
	s_waitcnt vmcnt(1)
	v_fma_f64 v[12:13], v[42:43], v[34:35], v[27:28]
	v_fma_f64 v[24:25], v[44:45], v[34:35], v[38:39]
	s_waitcnt vmcnt(0)
	v_fma_f64 v[27:28], v[46:47], v[34:35], v[16:17]
	v_fma_f64 v[14:15], v[48:49], v[34:35], v[14:15]
	;; [unrolled: 1-line block ×4, first 2 shown]
	v_fma_f64 v[17:18], -v[44:45], v[36:37], v[12:13]
	v_fma_f64 v[11:12], v[42:43], v[36:37], v[24:25]
	v_fma_f64 v[19:20], -v[48:49], v[36:37], v[27:28]
	v_fma_f64 v[21:22], v[46:47], v[36:37], v[14:15]
	;; [unrolled: 2-line block ×3, first 2 shown]
	s_and_not1_b32 exec_lo, exec_lo, s0
	s_cbranch_execnz .LBB134_17
; %bb.18:
	s_or_b32 exec_lo, exec_lo, s0
.LBB134_19:
	s_delay_alu instid0(SALU_CYCLE_1)
	s_or_b32 exec_lo, exec_lo, s1
.LBB134_20:
	v_mbcnt_lo_u32_b32 v34, -1, 0
	s_delay_alu instid0(VALU_DEP_1) | instskip(NEXT) | instid1(VALU_DEP_1)
	v_xor_b32_e32 v9, 16, v34
	v_cmp_gt_i32_e32 vcc_lo, 32, v9
	v_cndmask_b32_e32 v9, v34, v9, vcc_lo
	s_delay_alu instid0(VALU_DEP_1)
	v_lshlrev_b32_e32 v32, 2, v9
	ds_bpermute_b32 v9, v32, v17
	ds_bpermute_b32 v10, v32, v18
	;; [unrolled: 1-line block ×12, first 2 shown]
	s_waitcnt lgkmcnt(10)
	v_add_f64 v[9:10], v[17:18], v[9:10]
	s_waitcnt lgkmcnt(8)
	v_add_f64 v[11:12], v[11:12], v[23:24]
	;; [unrolled: 2-line block ×4, first 2 shown]
	v_xor_b32_e32 v21, 8, v34
	s_waitcnt lgkmcnt(2)
	v_add_f64 v[13:14], v[13:14], v[29:30]
	s_waitcnt lgkmcnt(0)
	v_add_f64 v[15:16], v[15:16], v[31:32]
	v_cmp_gt_i32_e32 vcc_lo, 32, v21
	v_cndmask_b32_e32 v21, v34, v21, vcc_lo
	s_delay_alu instid0(VALU_DEP_1)
	v_lshlrev_b32_e32 v32, 2, v21
	ds_bpermute_b32 v21, v32, v9
	ds_bpermute_b32 v22, v32, v10
	;; [unrolled: 1-line block ×12, first 2 shown]
	s_waitcnt lgkmcnt(10)
	v_add_f64 v[9:10], v[9:10], v[21:22]
	v_xor_b32_e32 v21, 4, v34
	s_waitcnt lgkmcnt(8)
	v_add_f64 v[11:12], v[11:12], v[23:24]
	s_waitcnt lgkmcnt(6)
	v_add_f64 v[17:18], v[17:18], v[25:26]
	;; [unrolled: 2-line block ×3, first 2 shown]
	v_cmp_gt_i32_e32 vcc_lo, 32, v21
	s_waitcnt lgkmcnt(2)
	v_add_f64 v[13:14], v[13:14], v[29:30]
	s_waitcnt lgkmcnt(0)
	v_add_f64 v[15:16], v[15:16], v[31:32]
	v_cndmask_b32_e32 v21, v34, v21, vcc_lo
	s_delay_alu instid0(VALU_DEP_1)
	v_lshlrev_b32_e32 v32, 2, v21
	ds_bpermute_b32 v21, v32, v9
	ds_bpermute_b32 v22, v32, v10
	;; [unrolled: 1-line block ×12, first 2 shown]
	s_waitcnt lgkmcnt(10)
	v_add_f64 v[9:10], v[9:10], v[21:22]
	s_waitcnt lgkmcnt(8)
	v_add_f64 v[11:12], v[11:12], v[23:24]
	s_waitcnt lgkmcnt(6)
	v_add_f64 v[17:18], v[17:18], v[25:26]
	s_waitcnt lgkmcnt(4)
	v_add_f64 v[21:22], v[19:20], v[27:28]
	v_xor_b32_e32 v19, 2, v34
	s_waitcnt lgkmcnt(2)
	v_add_f64 v[13:14], v[13:14], v[29:30]
	s_waitcnt lgkmcnt(0)
	v_add_f64 v[15:16], v[15:16], v[31:32]
	v_cmp_gt_i32_e32 vcc_lo, 32, v19
	v_cndmask_b32_e32 v19, v34, v19, vcc_lo
	s_delay_alu instid0(VALU_DEP_1)
	v_lshlrev_b32_e32 v32, 2, v19
	ds_bpermute_b32 v19, v32, v9
	ds_bpermute_b32 v20, v32, v10
	;; [unrolled: 1-line block ×12, first 2 shown]
	s_waitcnt lgkmcnt(10)
	v_add_f64 v[9:10], v[9:10], v[19:20]
	s_waitcnt lgkmcnt(8)
	v_add_f64 v[19:20], v[11:12], v[23:24]
	;; [unrolled: 2-line block ×4, first 2 shown]
	v_xor_b32_e32 v21, 1, v34
	s_waitcnt lgkmcnt(2)
	v_add_f64 v[13:14], v[13:14], v[29:30]
	s_waitcnt lgkmcnt(0)
	v_add_f64 v[15:16], v[15:16], v[31:32]
	v_cmp_gt_i32_e32 vcc_lo, 32, v21
	v_cndmask_b32_e32 v21, v34, v21, vcc_lo
	v_cmp_eq_u32_e32 vcc_lo, 31, v33
	s_delay_alu instid0(VALU_DEP_2)
	v_lshlrev_b32_e32 v24, 2, v21
	ds_bpermute_b32 v31, v24, v9
	ds_bpermute_b32 v32, v24, v10
	;; [unrolled: 1-line block ×12, first 2 shown]
	s_and_b32 exec_lo, exec_lo, vcc_lo
	s_cbranch_execz .LBB134_25
; %bb.21:
	v_cmp_eq_f64_e32 vcc_lo, 0, v[4:5]
	v_cmp_eq_f64_e64 s0, 0, v[6:7]
	s_waitcnt lgkmcnt(10)
	v_add_f64 v[9:10], v[9:10], v[31:32]
	s_waitcnt lgkmcnt(8)
	v_add_f64 v[19:20], v[19:20], v[29:30]
	;; [unrolled: 2-line block ×6, first 2 shown]
	s_load_b64 s[2:3], s[2:3], 0x48
	s_and_b32 s0, vcc_lo, s0
	s_delay_alu instid0(SALU_CYCLE_1) | instskip(NEXT) | instid1(SALU_CYCLE_1)
	s_and_saveexec_b32 s1, s0
	s_xor_b32 s0, exec_lo, s1
	s_cbranch_execz .LBB134_23
; %bb.22:
	v_mul_f64 v[4:5], v[19:20], -v[2:3]
	v_mul_f64 v[6:7], v[0:1], v[19:20]
	v_mul_f64 v[19:20], v[17:18], -v[2:3]
	v_mul_f64 v[17:18], v[0:1], v[17:18]
	;; [unrolled: 2-line block ×3, first 2 shown]
	v_fma_f64 v[4:5], v[0:1], v[9:10], v[4:5]
	v_fma_f64 v[6:7], v[2:3], v[9:10], v[6:7]
	;; [unrolled: 1-line block ×6, first 2 shown]
	v_lshl_add_u32 v13, v8, 1, v8
                                        ; implicit-def: $vgpr8
                                        ; implicit-def: $vgpr19_vgpr20
                                        ; implicit-def: $vgpr17_vgpr18
                                        ; implicit-def: $vgpr15_vgpr16
	s_delay_alu instid0(VALU_DEP_1) | instskip(NEXT) | instid1(VALU_DEP_1)
	v_ashrrev_i32_e32 v14, 31, v13
	v_lshlrev_b64 v[13:14], 4, v[13:14]
	s_waitcnt lgkmcnt(0)
	s_delay_alu instid0(VALU_DEP_1) | instskip(NEXT) | instid1(VALU_DEP_2)
	v_add_co_u32 v13, vcc_lo, s2, v13
	v_add_co_ci_u32_e32 v14, vcc_lo, s3, v14, vcc_lo
	s_clause 0x2
	global_store_b128 v[13:14], v[4:7], off
	global_store_b128 v[13:14], v[9:12], off offset:16
	global_store_b128 v[13:14], v[0:3], off offset:32
                                        ; implicit-def: $vgpr0_vgpr1
                                        ; implicit-def: $vgpr2_vgpr3
                                        ; implicit-def: $vgpr4_vgpr5
                                        ; implicit-def: $vgpr6_vgpr7
                                        ; implicit-def: $vgpr9_vgpr10
                                        ; implicit-def: $vgpr11_vgpr12
                                        ; implicit-def: $vgpr13_vgpr14
.LBB134_23:
	s_and_not1_saveexec_b32 s0, s0
	s_cbranch_execz .LBB134_25
; %bb.24:
	v_lshl_add_u32 v21, v8, 1, v8
	v_mul_f64 v[35:36], v[19:20], -v[2:3]
	v_mul_f64 v[19:20], v[0:1], v[19:20]
	v_mul_f64 v[37:38], v[17:18], -v[2:3]
	v_mul_f64 v[17:18], v[0:1], v[17:18]
	v_ashrrev_i32_e32 v22, 31, v21
	v_mul_f64 v[39:40], v[15:16], -v[2:3]
	v_mul_f64 v[15:16], v[0:1], v[15:16]
	s_delay_alu instid0(VALU_DEP_3) | instskip(SKIP_1) | instid1(VALU_DEP_1)
	v_lshlrev_b64 v[21:22], 4, v[21:22]
	s_waitcnt lgkmcnt(0)
	v_add_co_u32 v33, vcc_lo, s2, v21
	s_delay_alu instid0(VALU_DEP_2)
	v_add_co_ci_u32_e32 v34, vcc_lo, s3, v22, vcc_lo
	s_clause 0x2
	global_load_b128 v[21:24], v[33:34], off
	global_load_b128 v[25:28], v[33:34], off offset:16
	global_load_b128 v[29:32], v[33:34], off offset:32
	v_fma_f64 v[35:36], v[0:1], v[9:10], v[35:36]
	v_fma_f64 v[8:9], v[2:3], v[9:10], v[19:20]
	;; [unrolled: 1-line block ×6, first 2 shown]
	s_waitcnt vmcnt(2)
	v_fma_f64 v[12:13], v[4:5], v[21:22], v[35:36]
	v_fma_f64 v[8:9], v[6:7], v[21:22], v[8:9]
	s_waitcnt vmcnt(1)
	v_fma_f64 v[14:15], v[4:5], v[25:26], v[19:20]
	v_fma_f64 v[10:11], v[6:7], v[25:26], v[10:11]
	;; [unrolled: 3-line block ×3, first 2 shown]
	v_fma_f64 v[0:1], -v[6:7], v[23:24], v[12:13]
	v_fma_f64 v[2:3], v[4:5], v[23:24], v[8:9]
	v_fma_f64 v[8:9], -v[6:7], v[27:28], v[14:15]
	v_fma_f64 v[10:11], v[4:5], v[27:28], v[10:11]
	;; [unrolled: 2-line block ×3, first 2 shown]
	s_clause 0x2
	global_store_b128 v[33:34], v[0:3], off
	global_store_b128 v[33:34], v[8:11], off offset:16
	global_store_b128 v[33:34], v[12:15], off offset:32
.LBB134_25:
	s_nop 0
	s_sendmsg sendmsg(MSG_DEALLOC_VGPRS)
	s_endpgm
	.section	.rodata,"a",@progbits
	.p2align	6, 0x0
	.amdhsa_kernel _ZN9rocsparseL19gebsrmvn_3xn_kernelILj128ELj6ELj32E21rocsparse_complex_numIdEEEvi20rocsparse_direction_NS_24const_host_device_scalarIT2_EEPKiS8_PKS5_SA_S6_PS5_21rocsparse_index_base_b
		.amdhsa_group_segment_fixed_size 2048
		.amdhsa_private_segment_fixed_size 0
		.amdhsa_kernarg_size 88
		.amdhsa_user_sgpr_count 15
		.amdhsa_user_sgpr_dispatch_ptr 1
		.amdhsa_user_sgpr_queue_ptr 0
		.amdhsa_user_sgpr_kernarg_segment_ptr 1
		.amdhsa_user_sgpr_dispatch_id 0
		.amdhsa_user_sgpr_private_segment_size 0
		.amdhsa_wavefront_size32 1
		.amdhsa_uses_dynamic_stack 0
		.amdhsa_enable_private_segment 0
		.amdhsa_system_sgpr_workgroup_id_x 1
		.amdhsa_system_sgpr_workgroup_id_y 0
		.amdhsa_system_sgpr_workgroup_id_z 0
		.amdhsa_system_sgpr_workgroup_info 0
		.amdhsa_system_vgpr_workitem_id 2
		.amdhsa_next_free_vgpr 118
		.amdhsa_next_free_sgpr 18
		.amdhsa_reserve_vcc 1
		.amdhsa_float_round_mode_32 0
		.amdhsa_float_round_mode_16_64 0
		.amdhsa_float_denorm_mode_32 3
		.amdhsa_float_denorm_mode_16_64 3
		.amdhsa_dx10_clamp 1
		.amdhsa_ieee_mode 1
		.amdhsa_fp16_overflow 0
		.amdhsa_workgroup_processor_mode 1
		.amdhsa_memory_ordered 1
		.amdhsa_forward_progress 0
		.amdhsa_shared_vgpr_count 0
		.amdhsa_exception_fp_ieee_invalid_op 0
		.amdhsa_exception_fp_denorm_src 0
		.amdhsa_exception_fp_ieee_div_zero 0
		.amdhsa_exception_fp_ieee_overflow 0
		.amdhsa_exception_fp_ieee_underflow 0
		.amdhsa_exception_fp_ieee_inexact 0
		.amdhsa_exception_int_div_zero 0
	.end_amdhsa_kernel
	.section	.text._ZN9rocsparseL19gebsrmvn_3xn_kernelILj128ELj6ELj32E21rocsparse_complex_numIdEEEvi20rocsparse_direction_NS_24const_host_device_scalarIT2_EEPKiS8_PKS5_SA_S6_PS5_21rocsparse_index_base_b,"axG",@progbits,_ZN9rocsparseL19gebsrmvn_3xn_kernelILj128ELj6ELj32E21rocsparse_complex_numIdEEEvi20rocsparse_direction_NS_24const_host_device_scalarIT2_EEPKiS8_PKS5_SA_S6_PS5_21rocsparse_index_base_b,comdat
.Lfunc_end134:
	.size	_ZN9rocsparseL19gebsrmvn_3xn_kernelILj128ELj6ELj32E21rocsparse_complex_numIdEEEvi20rocsparse_direction_NS_24const_host_device_scalarIT2_EEPKiS8_PKS5_SA_S6_PS5_21rocsparse_index_base_b, .Lfunc_end134-_ZN9rocsparseL19gebsrmvn_3xn_kernelILj128ELj6ELj32E21rocsparse_complex_numIdEEEvi20rocsparse_direction_NS_24const_host_device_scalarIT2_EEPKiS8_PKS5_SA_S6_PS5_21rocsparse_index_base_b
                                        ; -- End function
	.section	.AMDGPU.csdata,"",@progbits
; Kernel info:
; codeLenInByte = 5184
; NumSgprs: 20
; NumVgprs: 118
; ScratchSize: 0
; MemoryBound: 0
; FloatMode: 240
; IeeeMode: 1
; LDSByteSize: 2048 bytes/workgroup (compile time only)
; SGPRBlocks: 2
; VGPRBlocks: 14
; NumSGPRsForWavesPerEU: 20
; NumVGPRsForWavesPerEU: 118
; Occupancy: 12
; WaveLimiterHint : 1
; COMPUTE_PGM_RSRC2:SCRATCH_EN: 0
; COMPUTE_PGM_RSRC2:USER_SGPR: 15
; COMPUTE_PGM_RSRC2:TRAP_HANDLER: 0
; COMPUTE_PGM_RSRC2:TGID_X_EN: 1
; COMPUTE_PGM_RSRC2:TGID_Y_EN: 0
; COMPUTE_PGM_RSRC2:TGID_Z_EN: 0
; COMPUTE_PGM_RSRC2:TIDIG_COMP_CNT: 2
	.section	.text._ZN9rocsparseL19gebsrmvn_3xn_kernelILj128ELj6ELj64E21rocsparse_complex_numIdEEEvi20rocsparse_direction_NS_24const_host_device_scalarIT2_EEPKiS8_PKS5_SA_S6_PS5_21rocsparse_index_base_b,"axG",@progbits,_ZN9rocsparseL19gebsrmvn_3xn_kernelILj128ELj6ELj64E21rocsparse_complex_numIdEEEvi20rocsparse_direction_NS_24const_host_device_scalarIT2_EEPKiS8_PKS5_SA_S6_PS5_21rocsparse_index_base_b,comdat
	.globl	_ZN9rocsparseL19gebsrmvn_3xn_kernelILj128ELj6ELj64E21rocsparse_complex_numIdEEEvi20rocsparse_direction_NS_24const_host_device_scalarIT2_EEPKiS8_PKS5_SA_S6_PS5_21rocsparse_index_base_b ; -- Begin function _ZN9rocsparseL19gebsrmvn_3xn_kernelILj128ELj6ELj64E21rocsparse_complex_numIdEEEvi20rocsparse_direction_NS_24const_host_device_scalarIT2_EEPKiS8_PKS5_SA_S6_PS5_21rocsparse_index_base_b
	.p2align	8
	.type	_ZN9rocsparseL19gebsrmvn_3xn_kernelILj128ELj6ELj64E21rocsparse_complex_numIdEEEvi20rocsparse_direction_NS_24const_host_device_scalarIT2_EEPKiS8_PKS5_SA_S6_PS5_21rocsparse_index_base_b,@function
_ZN9rocsparseL19gebsrmvn_3xn_kernelILj128ELj6ELj64E21rocsparse_complex_numIdEEEvi20rocsparse_direction_NS_24const_host_device_scalarIT2_EEPKiS8_PKS5_SA_S6_PS5_21rocsparse_index_base_b: ; @_ZN9rocsparseL19gebsrmvn_3xn_kernelILj128ELj6ELj64E21rocsparse_complex_numIdEEEvi20rocsparse_direction_NS_24const_host_device_scalarIT2_EEPKiS8_PKS5_SA_S6_PS5_21rocsparse_index_base_b
; %bb.0:
	s_load_b64 s[12:13], s[2:3], 0x50
	s_load_b64 s[16:17], s[0:1], 0x4
	s_load_b128 s[8:11], s[2:3], 0x8
	v_bfe_u32 v1, v0, 10, 10
	s_mov_b64 s[0:1], src_shared_base
	s_load_b128 s[4:7], s[2:3], 0x38
	v_and_b32_e32 v10, 0x3ff, v0
	v_bfe_u32 v0, v0, 20, 10
	s_waitcnt lgkmcnt(0)
	s_bitcmp1_b32 s13, 0
	v_mul_u32_u24_e32 v1, s17, v1
	s_cselect_b32 s0, -1, 0
	s_delay_alu instid0(SALU_CYCLE_1)
	s_and_b32 vcc_lo, s0, exec_lo
	s_cselect_b32 s13, s1, s9
	s_lshr_b32 s14, s16, 16
	v_dual_mov_b32 v2, s4 :: v_dual_mov_b32 v3, s5
	s_mul_i32 s14, s14, s17
	v_mov_b32_e32 v6, s13
	v_mad_u32_u24 v1, s14, v10, v1
	s_delay_alu instid0(VALU_DEP_1) | instskip(SKIP_1) | instid1(VALU_DEP_2)
	v_add_lshl_u32 v4, v1, v0, 3
	v_dual_mov_b32 v0, s8 :: v_dual_mov_b32 v1, s9
	v_add_nc_u32_e32 v5, 0x400, v4
	ds_store_2addr_stride64_b64 v4, v[2:3], v[0:1] offset1:2
	v_dual_mov_b32 v2, s10 :: v_dual_mov_b32 v3, s11
	v_cndmask_b32_e64 v5, s8, v5, s0
	s_xor_b32 s10, s0, -1
	flat_load_b64 v[0:1], v[5:6]
	s_cbranch_vccnz .LBB135_2
; %bb.1:
	v_dual_mov_b32 v2, s8 :: v_dual_mov_b32 v3, s9
	flat_load_b64 v[2:3], v[2:3] offset:8
.LBB135_2:
	s_and_b32 s8, s0, exec_lo
	s_cselect_b32 s1, s1, s5
	v_cndmask_b32_e64 v4, s4, v4, s0
	v_dual_mov_b32 v5, s1 :: v_dual_mov_b32 v6, s6
	v_mov_b32_e32 v7, s7
	s_and_not1_b32 vcc_lo, exec_lo, s10
	flat_load_b64 v[4:5], v[4:5]
	s_cbranch_vccnz .LBB135_4
; %bb.3:
	v_dual_mov_b32 v7, s5 :: v_dual_mov_b32 v6, s4
	flat_load_b64 v[6:7], v[6:7] offset:8
.LBB135_4:
	s_waitcnt vmcnt(1) lgkmcnt(1)
	v_cmp_eq_f64_e32 vcc_lo, 0, v[0:1]
	v_cmp_eq_f64_e64 s0, 0, v[2:3]
	s_delay_alu instid0(VALU_DEP_1)
	s_and_b32 s4, vcc_lo, s0
	s_mov_b32 s0, -1
	s_and_saveexec_b32 s1, s4
	s_cbranch_execz .LBB135_6
; %bb.5:
	s_waitcnt vmcnt(0) lgkmcnt(0)
	v_cmp_neq_f64_e32 vcc_lo, 1.0, v[4:5]
	v_cmp_neq_f64_e64 s0, 0, v[6:7]
	s_delay_alu instid0(VALU_DEP_1) | instskip(NEXT) | instid1(SALU_CYCLE_1)
	s_or_b32 s0, vcc_lo, s0
	s_or_not1_b32 s0, s0, exec_lo
.LBB135_6:
	s_or_b32 exec_lo, exec_lo, s1
	s_and_saveexec_b32 s1, s0
	s_cbranch_execz .LBB135_25
; %bb.7:
	s_load_b64 s[0:1], s[2:3], 0x0
	v_lshrrev_b32_e32 v8, 6, v10
	s_delay_alu instid0(VALU_DEP_1) | instskip(SKIP_1) | instid1(VALU_DEP_1)
	v_lshl_or_b32 v8, s15, 1, v8
	s_waitcnt lgkmcnt(0)
	v_cmp_gt_i32_e32 vcc_lo, s0, v8
	s_and_b32 exec_lo, exec_lo, vcc_lo
	s_cbranch_execz .LBB135_25
; %bb.8:
	s_load_b256 s[4:11], s[2:3], 0x18
	v_ashrrev_i32_e32 v9, 31, v8
	v_and_b32_e32 v33, 63, v10
	s_cmp_lg_u32 s1, 0
	s_delay_alu instid0(VALU_DEP_2) | instskip(SKIP_1) | instid1(VALU_DEP_1)
	v_lshlrev_b64 v[11:12], 2, v[8:9]
	s_waitcnt lgkmcnt(0)
	v_add_co_u32 v11, vcc_lo, s4, v11
	s_delay_alu instid0(VALU_DEP_2) | instskip(SKIP_4) | instid1(VALU_DEP_2)
	v_add_co_ci_u32_e32 v12, vcc_lo, s5, v12, vcc_lo
	global_load_b64 v[11:12], v[11:12], off
	s_waitcnt vmcnt(0)
	v_subrev_nc_u32_e32 v9, s12, v11
	v_subrev_nc_u32_e32 v29, s12, v12
	v_add_nc_u32_e32 v9, v9, v33
	s_delay_alu instid0(VALU_DEP_1)
	v_cmp_lt_i32_e64 s0, v9, v29
	s_cbranch_scc0 .LBB135_14
; %bb.9:
	v_mov_b32_e32 v11, 0
	v_mov_b32_e32 v12, 0
	s_delay_alu instid0(VALU_DEP_1)
	v_dual_mov_b32 v18, v12 :: v_dual_mov_b32 v17, v11
	v_dual_mov_b32 v14, v12 :: v_dual_mov_b32 v13, v11
	;; [unrolled: 1-line block ×5, first 2 shown]
	s_and_saveexec_b32 s1, s0
	s_cbranch_execz .LBB135_13
; %bb.10:
	v_dual_mov_b32 v11, 0 :: v_dual_mov_b32 v26, v9
	v_dual_mov_b32 v12, 0 :: v_dual_mov_b32 v25, 0
	v_mad_u64_u32 v[23:24], null, v9, 18, 17
	s_mov_b32 s4, 0
	s_delay_alu instid0(VALU_DEP_2)
	v_dual_mov_b32 v18, v12 :: v_dual_mov_b32 v17, v11
	v_dual_mov_b32 v14, v12 :: v_dual_mov_b32 v13, v11
	;; [unrolled: 1-line block ×5, first 2 shown]
.LBB135_11:                             ; =>This Inner Loop Header: Depth=1
	v_ashrrev_i32_e32 v27, 31, v26
	v_subrev_nc_u32_e32 v24, 17, v23
	s_delay_alu instid0(VALU_DEP_2) | instskip(NEXT) | instid1(VALU_DEP_2)
	v_lshlrev_b64 v[27:28], 2, v[26:27]
	v_lshlrev_b64 v[30:31], 4, v[24:25]
	v_add_nc_u32_e32 v24, -15, v23
	v_add_nc_u32_e32 v26, 64, v26
	s_delay_alu instid0(VALU_DEP_4) | instskip(SKIP_1) | instid1(VALU_DEP_4)
	v_add_co_u32 v27, vcc_lo, s6, v27
	v_add_co_ci_u32_e32 v28, vcc_lo, s7, v28, vcc_lo
	v_lshlrev_b64 v[34:35], 4, v[24:25]
	v_add_co_u32 v30, vcc_lo, s8, v30
	global_load_b32 v10, v[27:28], off
	v_add_co_ci_u32_e32 v31, vcc_lo, s9, v31, vcc_lo
	v_mov_b32_e32 v28, v25
	v_add_co_u32 v42, vcc_lo, s8, v34
	v_add_co_ci_u32_e32 v43, vcc_lo, s9, v35, vcc_lo
	s_clause 0x2
	global_load_b128 v[34:37], v[30:31], off offset:16
	global_load_b128 v[38:41], v[30:31], off
	global_load_b128 v[42:45], v[42:43], off
	v_add_nc_u32_e32 v24, -14, v23
	s_delay_alu instid0(VALU_DEP_1) | instskip(SKIP_1) | instid1(VALU_DEP_1)
	v_lshlrev_b64 v[50:51], 4, v[24:25]
	v_add_nc_u32_e32 v24, -13, v23
	v_lshlrev_b64 v[52:53], 4, v[24:25]
	v_add_nc_u32_e32 v24, -12, v23
	s_delay_alu instid0(VALU_DEP_1) | instskip(SKIP_3) | instid1(VALU_DEP_1)
	v_lshlrev_b64 v[54:55], 4, v[24:25]
	v_add_nc_u32_e32 v24, -11, v23
	s_waitcnt vmcnt(3)
	v_subrev_nc_u32_e32 v10, s12, v10
	v_mul_lo_u32 v27, v10, 6
	s_delay_alu instid0(VALU_DEP_1) | instskip(NEXT) | instid1(VALU_DEP_1)
	v_lshlrev_b64 v[30:31], 4, v[27:28]
	v_add_co_u32 v30, vcc_lo, s10, v30
	s_delay_alu instid0(VALU_DEP_2)
	v_add_co_ci_u32_e32 v31, vcc_lo, s11, v31, vcc_lo
	v_add_co_u32 v50, vcc_lo, s8, v50
	v_add_co_ci_u32_e32 v51, vcc_lo, s9, v51, vcc_lo
	global_load_b128 v[46:49], v[30:31], off
	v_add_co_u32 v56, vcc_lo, s8, v52
	v_add_co_ci_u32_e32 v57, vcc_lo, s9, v53, vcc_lo
	v_add_co_u32 v58, vcc_lo, s8, v54
	v_add_co_ci_u32_e32 v59, vcc_lo, s9, v55, vcc_lo
	s_clause 0x2
	global_load_b128 v[50:53], v[50:51], off
	global_load_b128 v[54:57], v[56:57], off
	;; [unrolled: 1-line block ×3, first 2 shown]
	global_load_b128 v[62:65], v[30:31], off offset:16
	v_lshlrev_b64 v[30:31], 4, v[24:25]
	v_add_nc_u32_e32 v24, 2, v27
	s_delay_alu instid0(VALU_DEP_2) | instskip(NEXT) | instid1(VALU_DEP_3)
	v_add_co_u32 v30, vcc_lo, s8, v30
	v_add_co_ci_u32_e32 v31, vcc_lo, s9, v31, vcc_lo
	global_load_b128 v[66:69], v[30:31], off
	v_lshlrev_b64 v[30:31], 4, v[24:25]
	v_add_nc_u32_e32 v24, -10, v23
	s_delay_alu instid0(VALU_DEP_1) | instskip(SKIP_1) | instid1(VALU_DEP_4)
	v_lshlrev_b64 v[70:71], 4, v[24:25]
	v_add_nc_u32_e32 v24, -9, v23
	v_add_co_u32 v30, vcc_lo, s10, v30
	v_add_co_ci_u32_e32 v31, vcc_lo, s11, v31, vcc_lo
	s_delay_alu instid0(VALU_DEP_3) | instskip(SKIP_3) | instid1(VALU_DEP_4)
	v_lshlrev_b64 v[72:73], 4, v[24:25]
	v_add_co_u32 v74, vcc_lo, s8, v70
	v_add_co_ci_u32_e32 v75, vcc_lo, s9, v71, vcc_lo
	v_add_nc_u32_e32 v24, -8, v23
	v_add_co_u32 v78, vcc_lo, s8, v72
	v_add_co_ci_u32_e32 v79, vcc_lo, s9, v73, vcc_lo
	global_load_b128 v[70:73], v[30:31], off
	s_clause 0x1
	global_load_b128 v[74:77], v[74:75], off
	global_load_b128 v[78:81], v[78:79], off
	global_load_b128 v[82:85], v[30:31], off offset:16
	v_lshlrev_b64 v[30:31], 4, v[24:25]
	v_add_nc_u32_e32 v24, -7, v23
	s_delay_alu instid0(VALU_DEP_1) | instskip(SKIP_1) | instid1(VALU_DEP_4)
	v_lshlrev_b64 v[86:87], 4, v[24:25]
	v_add_nc_u32_e32 v24, -6, v23
	v_add_co_u32 v30, vcc_lo, s8, v30
	v_add_co_ci_u32_e32 v31, vcc_lo, s9, v31, vcc_lo
	s_delay_alu instid0(VALU_DEP_3) | instskip(SKIP_3) | instid1(VALU_DEP_4)
	v_lshlrev_b64 v[88:89], 4, v[24:25]
	v_add_co_u32 v90, vcc_lo, s8, v86
	v_add_co_ci_u32_e32 v91, vcc_lo, s9, v87, vcc_lo
	v_add_nc_u32_e32 v24, -5, v23
	v_add_co_u32 v94, vcc_lo, s8, v88
	v_add_co_ci_u32_e32 v95, vcc_lo, s9, v89, vcc_lo
	s_clause 0x2
	global_load_b128 v[86:89], v[30:31], off
	global_load_b128 v[90:93], v[90:91], off
	;; [unrolled: 1-line block ×3, first 2 shown]
	v_lshlrev_b64 v[30:31], 4, v[24:25]
	v_add_nc_u32_e32 v24, 4, v27
	s_delay_alu instid0(VALU_DEP_1) | instskip(SKIP_1) | instid1(VALU_DEP_4)
	v_lshlrev_b64 v[27:28], 4, v[24:25]
	v_add_nc_u32_e32 v24, -4, v23
	v_add_co_u32 v30, vcc_lo, s8, v30
	v_add_co_ci_u32_e32 v31, vcc_lo, s9, v31, vcc_lo
	s_delay_alu instid0(VALU_DEP_3)
	v_lshlrev_b64 v[102:103], 4, v[24:25]
	v_add_nc_u32_e32 v24, -3, v23
	v_add_co_u32 v27, vcc_lo, s10, v27
	global_load_b128 v[98:101], v[30:31], off
	v_add_co_ci_u32_e32 v28, vcc_lo, s11, v28, vcc_lo
	v_lshlrev_b64 v[30:31], 4, v[24:25]
	v_add_co_u32 v106, vcc_lo, s8, v102
	v_add_co_ci_u32_e32 v107, vcc_lo, s9, v103, vcc_lo
	v_mov_b32_e32 v24, v25
	s_delay_alu instid0(VALU_DEP_4)
	v_add_co_u32 v30, vcc_lo, s8, v30
	v_add_co_ci_u32_e32 v31, vcc_lo, s9, v31, vcc_lo
	global_load_b128 v[102:105], v[27:28], off
	s_clause 0x1
	global_load_b128 v[106:109], v[106:107], off
	global_load_b128 v[110:113], v[30:31], off
	s_waitcnt vmcnt(16)
	v_fma_f64 v[17:18], v[38:39], v[46:47], v[17:18]
	v_fma_f64 v[10:11], v[40:41], v[46:47], v[11:12]
	;; [unrolled: 1-line block ×6, first 2 shown]
	v_lshlrev_b64 v[12:13], 4, v[23:24]
	v_add_nc_u32_e32 v24, -2, v23
	s_delay_alu instid0(VALU_DEP_2) | instskip(NEXT) | instid1(VALU_DEP_3)
	v_add_co_u32 v12, vcc_lo, s8, v12
	v_add_co_ci_u32_e32 v13, vcc_lo, s9, v13, vcc_lo
	global_load_b128 v[114:117], v[12:13], off
	global_load_b128 v[13:16], v[27:28], off offset:16
	v_lshlrev_b64 v[27:28], 4, v[24:25]
	v_add_nc_u32_e32 v24, -1, v23
	v_add_nc_u32_e32 v23, 0x480, v23
	v_fma_f64 v[17:18], -v[40:41], v[48:49], v[17:18]
	v_fma_f64 v[10:11], v[38:39], v[48:49], v[10:11]
	v_fma_f64 v[38:39], -v[36:37], v[48:49], v[19:20]
	v_fma_f64 v[40:41], v[34:35], v[48:49], v[21:22]
	;; [unrolled: 2-line block ×3, first 2 shown]
	v_lshlrev_b64 v[19:20], 4, v[24:25]
	v_add_co_u32 v21, vcc_lo, s8, v27
	v_add_co_ci_u32_e32 v22, vcc_lo, s9, v28, vcc_lo
	s_delay_alu instid0(VALU_DEP_3) | instskip(NEXT) | instid1(VALU_DEP_4)
	v_add_co_u32 v27, vcc_lo, s8, v19
	v_add_co_ci_u32_e32 v28, vcc_lo, s9, v20, vcc_lo
	s_clause 0x1
	global_load_b128 v[19:22], v[21:22], off
	global_load_b128 v[34:37], v[27:28], off
	v_cmp_ge_i32_e32 vcc_lo, v26, v29
	s_or_b32 s4, vcc_lo, s4
	s_waitcnt vmcnt(16)
	v_fma_f64 v[17:18], v[50:51], v[62:63], v[17:18]
	v_fma_f64 v[10:11], v[52:53], v[62:63], v[10:11]
	;; [unrolled: 1-line block ×6, first 2 shown]
	v_fma_f64 v[17:18], -v[52:53], v[64:65], v[17:18]
	v_fma_f64 v[10:11], v[50:51], v[64:65], v[10:11]
	v_fma_f64 v[27:28], -v[56:57], v[64:65], v[27:28]
	v_fma_f64 v[38:39], v[54:55], v[64:65], v[38:39]
	v_fma_f64 v[30:31], -v[60:61], v[64:65], v[30:31]
	v_fma_f64 v[40:41], v[58:59], v[64:65], v[40:41]
	s_waitcnt vmcnt(14)
	v_fma_f64 v[17:18], v[66:67], v[70:71], v[17:18]
	v_fma_f64 v[10:11], v[68:69], v[70:71], v[10:11]
	s_waitcnt vmcnt(13)
	v_fma_f64 v[27:28], v[74:75], v[70:71], v[27:28]
	v_fma_f64 v[38:39], v[76:77], v[70:71], v[38:39]
	s_waitcnt vmcnt(12)
	v_fma_f64 v[30:31], v[78:79], v[70:71], v[30:31]
	v_fma_f64 v[40:41], v[80:81], v[70:71], v[40:41]
	v_fma_f64 v[17:18], -v[68:69], v[72:73], v[17:18]
	v_fma_f64 v[10:11], v[66:67], v[72:73], v[10:11]
	v_fma_f64 v[27:28], -v[76:77], v[72:73], v[27:28]
	v_fma_f64 v[38:39], v[74:75], v[72:73], v[38:39]
	v_fma_f64 v[30:31], -v[80:81], v[72:73], v[30:31]
	v_fma_f64 v[40:41], v[78:79], v[72:73], v[40:41]
	s_waitcnt vmcnt(10)
	v_fma_f64 v[17:18], v[86:87], v[82:83], v[17:18]
	v_fma_f64 v[10:11], v[88:89], v[82:83], v[10:11]
	s_waitcnt vmcnt(9)
	v_fma_f64 v[27:28], v[90:91], v[82:83], v[27:28]
	v_fma_f64 v[38:39], v[92:93], v[82:83], v[38:39]
	s_waitcnt vmcnt(8)
	v_fma_f64 v[30:31], v[94:95], v[82:83], v[30:31]
	v_fma_f64 v[40:41], v[96:97], v[82:83], v[40:41]
	;; [unrolled: 15-line block ×3, first 2 shown]
	v_fma_f64 v[17:18], -v[100:101], v[104:105], v[17:18]
	v_fma_f64 v[10:11], v[98:99], v[104:105], v[10:11]
	v_fma_f64 v[27:28], -v[108:109], v[104:105], v[27:28]
	v_fma_f64 v[38:39], v[106:107], v[104:105], v[38:39]
	;; [unrolled: 2-line block ×3, first 2 shown]
	s_waitcnt vmcnt(1)
	v_fma_f64 v[17:18], v[19:20], v[13:14], v[17:18]
	v_fma_f64 v[10:11], v[21:22], v[13:14], v[10:11]
	s_waitcnt vmcnt(0)
	v_fma_f64 v[27:28], v[34:35], v[13:14], v[27:28]
	v_fma_f64 v[38:39], v[36:37], v[13:14], v[38:39]
	;; [unrolled: 1-line block ×4, first 2 shown]
	v_fma_f64 v[17:18], -v[21:22], v[15:16], v[17:18]
	v_fma_f64 v[11:12], v[19:20], v[15:16], v[10:11]
	v_fma_f64 v[19:20], -v[36:37], v[15:16], v[27:28]
	v_fma_f64 v[21:22], v[34:35], v[15:16], v[38:39]
	;; [unrolled: 2-line block ×3, first 2 shown]
	s_and_not1_b32 exec_lo, exec_lo, s4
	s_cbranch_execnz .LBB135_11
; %bb.12:
	s_or_b32 exec_lo, exec_lo, s4
.LBB135_13:
	s_delay_alu instid0(SALU_CYCLE_1)
	s_or_b32 exec_lo, exec_lo, s1
	s_cbranch_execz .LBB135_15
	s_branch .LBB135_20
.LBB135_14:
                                        ; implicit-def: $vgpr11_vgpr12
                                        ; implicit-def: $vgpr17_vgpr18
                                        ; implicit-def: $vgpr13_vgpr14
                                        ; implicit-def: $vgpr15_vgpr16
                                        ; implicit-def: $vgpr19_vgpr20
                                        ; implicit-def: $vgpr21_vgpr22
.LBB135_15:
	v_mov_b32_e32 v11, 0
	v_mov_b32_e32 v12, 0
	s_delay_alu instid0(VALU_DEP_1)
	v_dual_mov_b32 v18, v12 :: v_dual_mov_b32 v17, v11
	v_dual_mov_b32 v14, v12 :: v_dual_mov_b32 v13, v11
	;; [unrolled: 1-line block ×5, first 2 shown]
	s_and_saveexec_b32 s1, s0
	s_cbranch_execz .LBB135_19
; %bb.16:
	v_dual_mov_b32 v11, 0 :: v_dual_mov_b32 v26, 0
	v_mov_b32_e32 v12, 0
	v_mad_u64_u32 v[23:24], null, v9, 18, 17
	s_mov_b32 s0, 0
	s_delay_alu instid0(VALU_DEP_2)
	v_dual_mov_b32 v18, v12 :: v_dual_mov_b32 v17, v11
	v_dual_mov_b32 v14, v12 :: v_dual_mov_b32 v13, v11
	;; [unrolled: 1-line block ×5, first 2 shown]
.LBB135_17:                             ; =>This Inner Loop Header: Depth=1
	v_ashrrev_i32_e32 v10, 31, v9
	v_dual_mov_b32 v31, v26 :: v_dual_add_nc_u32 v30, -11, v23
	v_dual_mov_b32 v35, v26 :: v_dual_add_nc_u32 v34, -5, v23
	s_delay_alu instid0(VALU_DEP_3) | instskip(SKIP_1) | instid1(VALU_DEP_4)
	v_lshlrev_b64 v[24:25], 2, v[9:10]
	v_mov_b32_e32 v28, v26
	v_lshlrev_b64 v[30:31], 4, v[30:31]
	v_add_nc_u32_e32 v9, 64, v9
	v_lshlrev_b64 v[34:35], 4, v[34:35]
	v_add_co_u32 v24, vcc_lo, s6, v24
	v_add_co_ci_u32_e32 v25, vcc_lo, s7, v25, vcc_lo
	global_load_b32 v10, v[24:25], off
	v_subrev_nc_u32_e32 v25, 17, v23
	v_mov_b32_e32 v24, v26
	s_delay_alu instid0(VALU_DEP_2) | instskip(SKIP_1) | instid1(VALU_DEP_1)
	v_lshlrev_b64 v[36:37], 4, v[25:26]
	v_add_nc_u32_e32 v25, -10, v23
	v_lshlrev_b64 v[42:43], 4, v[25:26]
	v_add_nc_u32_e32 v25, -4, v23
	s_delay_alu instid0(VALU_DEP_4)
	v_add_co_u32 v40, vcc_lo, s8, v36
	v_add_co_ci_u32_e32 v41, vcc_lo, s9, v37, vcc_lo
	v_lshlrev_b64 v[38:39], 4, v[23:24]
	v_add_co_u32 v30, vcc_lo, s8, v30
	v_add_co_ci_u32_e32 v31, vcc_lo, s9, v31, vcc_lo
	v_add_co_u32 v46, vcc_lo, s8, v34
	v_lshlrev_b64 v[58:59], 4, v[25:26]
	v_add_nc_u32_e32 v25, -15, v23
	v_add_co_ci_u32_e32 v47, vcc_lo, s9, v35, vcc_lo
	v_add_co_u32 v50, vcc_lo, s8, v38
	v_add_co_ci_u32_e32 v51, vcc_lo, s9, v39, vcc_lo
	v_add_co_u32 v54, vcc_lo, s8, v42
	v_lshlrev_b64 v[24:25], 4, v[25:26]
	v_add_co_ci_u32_e32 v55, vcc_lo, s9, v43, vcc_lo
	s_clause 0x4
	global_load_b128 v[34:37], v[40:41], off offset:16
	global_load_b128 v[38:41], v[40:41], off
	global_load_b128 v[42:45], v[30:31], off
	;; [unrolled: 1-line block ×4, first 2 shown]
	v_add_co_u32 v30, vcc_lo, s8, v58
	v_add_co_ci_u32_e32 v31, vcc_lo, s9, v59, vcc_lo
	v_add_co_u32 v24, vcc_lo, s8, v24
	v_add_co_ci_u32_e32 v25, vcc_lo, s9, v25, vcc_lo
	s_clause 0x2
	global_load_b128 v[54:57], v[54:55], off
	global_load_b128 v[58:61], v[30:31], off
	;; [unrolled: 1-line block ×3, first 2 shown]
	s_waitcnt vmcnt(8)
	v_subrev_nc_u32_e32 v10, s12, v10
	s_delay_alu instid0(VALU_DEP_1) | instskip(NEXT) | instid1(VALU_DEP_1)
	v_mul_lo_u32 v27, v10, 6
	v_lshlrev_b64 v[24:25], 4, v[27:28]
	s_delay_alu instid0(VALU_DEP_1) | instskip(NEXT) | instid1(VALU_DEP_2)
	v_add_co_u32 v24, vcc_lo, s10, v24
	v_add_co_ci_u32_e32 v25, vcc_lo, s11, v25, vcc_lo
	s_clause 0x1
	global_load_b128 v[66:69], v[24:25], off
	global_load_b128 v[70:73], v[24:25], off offset:16
	v_add_nc_u32_e32 v25, 2, v27
	s_delay_alu instid0(VALU_DEP_1) | instskip(SKIP_1) | instid1(VALU_DEP_1)
	v_lshlrev_b64 v[30:31], 4, v[25:26]
	v_add_nc_u32_e32 v25, -9, v23
	v_lshlrev_b64 v[82:83], 4, v[25:26]
	v_add_nc_u32_e32 v25, -3, v23
	s_delay_alu instid0(VALU_DEP_4) | instskip(SKIP_1) | instid1(VALU_DEP_3)
	v_add_co_u32 v30, vcc_lo, s10, v30
	v_add_co_ci_u32_e32 v31, vcc_lo, s11, v31, vcc_lo
	v_lshlrev_b64 v[84:85], 4, v[25:26]
	s_clause 0x1
	global_load_b128 v[74:77], v[30:31], off offset:16
	global_load_b128 v[78:81], v[30:31], off
	v_add_co_u32 v30, vcc_lo, s8, v82
	v_add_co_ci_u32_e32 v31, vcc_lo, s9, v83, vcc_lo
	v_add_co_u32 v86, vcc_lo, s8, v84
	v_add_co_ci_u32_e32 v87, vcc_lo, s9, v85, vcc_lo
	global_load_b128 v[82:85], v[30:31], off
	v_add_nc_u32_e32 v25, -14, v23
	global_load_b128 v[86:89], v[86:87], off
	v_lshlrev_b64 v[90:91], 4, v[25:26]
	v_add_nc_u32_e32 v25, -8, v23
	s_delay_alu instid0(VALU_DEP_1) | instskip(SKIP_1) | instid1(VALU_DEP_4)
	v_lshlrev_b64 v[30:31], 4, v[25:26]
	v_add_nc_u32_e32 v25, -2, v23
	v_add_co_u32 v90, vcc_lo, s8, v90
	v_add_co_ci_u32_e32 v91, vcc_lo, s9, v91, vcc_lo
	s_delay_alu instid0(VALU_DEP_3) | instskip(SKIP_3) | instid1(VALU_DEP_3)
	v_lshlrev_b64 v[98:99], 4, v[25:26]
	v_add_nc_u32_e32 v25, -13, v23
	v_add_co_u32 v30, vcc_lo, s8, v30
	v_add_co_ci_u32_e32 v31, vcc_lo, s9, v31, vcc_lo
	v_lshlrev_b64 v[100:101], 4, v[25:26]
	v_add_nc_u32_e32 v25, 4, v27
	v_add_co_u32 v27, vcc_lo, s8, v98
	v_add_co_ci_u32_e32 v28, vcc_lo, s9, v99, vcc_lo
	s_delay_alu instid0(VALU_DEP_4)
	v_add_co_u32 v102, vcc_lo, s8, v100
	global_load_b128 v[94:97], v[30:31], off
	v_add_co_ci_u32_e32 v103, vcc_lo, s9, v101, vcc_lo
	s_clause 0x1
	global_load_b128 v[98:101], v[27:28], off
	global_load_b128 v[90:93], v[90:91], off
	v_lshlrev_b64 v[30:31], 4, v[25:26]
	v_add_nc_u32_e32 v25, -7, v23
	s_delay_alu instid0(VALU_DEP_2) | instskip(NEXT) | instid1(VALU_DEP_3)
	v_add_co_u32 v30, vcc_lo, s10, v30
	v_add_co_ci_u32_e32 v31, vcc_lo, s11, v31, vcc_lo
	s_waitcnt vmcnt(8)
	v_fma_f64 v[17:18], v[38:39], v[66:67], v[17:18]
	v_fma_f64 v[10:11], v[40:41], v[66:67], v[11:12]
	s_delay_alu instid0(VALU_DEP_2) | instskip(SKIP_2) | instid1(VALU_DEP_4)
	v_fma_f64 v[27:28], -v[40:41], v[68:69], v[17:18]
	v_fma_f64 v[17:18], v[42:43], v[66:67], v[19:20]
	v_fma_f64 v[19:20], v[44:45], v[66:67], v[21:22]
	;; [unrolled: 1-line block ×3, first 2 shown]
	global_load_b128 v[38:41], v[102:103], off
	v_lshlrev_b64 v[10:11], 4, v[25:26]
	v_add_nc_u32_e32 v25, -1, v23
	s_waitcnt vmcnt(8)
	v_fma_f64 v[27:28], v[34:35], v[70:71], v[27:28]
	v_fma_f64 v[44:45], -v[44:45], v[68:69], v[17:18]
	v_fma_f64 v[42:43], v[42:43], v[68:69], v[19:20]
	v_add_co_u32 v19, vcc_lo, s8, v10
	v_add_co_ci_u32_e32 v20, vcc_lo, s9, v11, vcc_lo
	v_fma_f64 v[10:11], v[46:47], v[66:67], v[13:14]
	v_fma_f64 v[12:13], v[48:49], v[66:67], v[15:16]
	v_lshlrev_b64 v[17:18], 4, v[25:26]
	v_add_nc_u32_e32 v25, -12, v23
	s_delay_alu instid0(VALU_DEP_2) | instskip(NEXT) | instid1(VALU_DEP_3)
	v_add_co_u32 v21, vcc_lo, s8, v17
	v_add_co_ci_u32_e32 v22, vcc_lo, s9, v18, vcc_lo
	v_fma_f64 v[27:28], -v[36:37], v[72:73], v[27:28]
	v_fma_f64 v[42:43], v[56:57], v[70:71], v[42:43]
	v_fma_f64 v[66:67], -v[48:49], v[68:69], v[10:11]
	v_fma_f64 v[68:69], v[46:47], v[68:69], v[12:13]
	global_load_b128 v[10:13], v[30:31], off
	s_clause 0x1
	global_load_b128 v[14:17], v[19:20], off
	global_load_b128 v[18:21], v[21:22], off
	v_fma_f64 v[48:49], v[36:37], v[70:71], v[104:105]
	v_lshlrev_b64 v[46:47], 4, v[25:26]
	v_add_nc_u32_e32 v25, -6, v23
	v_add_nc_u32_e32 v23, 0x480, v23
	s_delay_alu instid0(VALU_DEP_2) | instskip(NEXT) | instid1(VALU_DEP_4)
	v_lshlrev_b64 v[24:25], 4, v[25:26]
	v_add_co_u32 v46, vcc_lo, s8, v46
	v_add_co_ci_u32_e32 v47, vcc_lo, s9, v47, vcc_lo
	s_delay_alu instid0(VALU_DEP_3) | instskip(NEXT) | instid1(VALU_DEP_4)
	v_add_co_u32 v24, vcc_lo, s8, v24
	v_add_co_ci_u32_e32 v25, vcc_lo, s9, v25, vcc_lo
	v_cmp_ge_i32_e32 vcc_lo, v9, v29
	s_or_b32 s0, vcc_lo, s0
	s_waitcnt vmcnt(9)
	v_fma_f64 v[27:28], v[62:63], v[78:79], v[27:28]
	v_fma_f64 v[102:103], v[34:35], v[72:73], v[48:49]
	global_load_b128 v[34:37], v[30:31], off offset:16
	v_fma_f64 v[30:31], v[54:55], v[70:71], v[44:45]
	v_fma_f64 v[54:55], v[54:55], v[72:73], v[42:43]
	s_clause 0x1
	global_load_b128 v[42:45], v[46:47], off
	global_load_b128 v[46:49], v[24:25], off
	v_fma_f64 v[24:25], v[58:59], v[70:71], v[66:67]
	v_fma_f64 v[27:28], -v[64:65], v[80:81], v[27:28]
	v_fma_f64 v[30:31], -v[56:57], v[72:73], v[30:31]
	v_fma_f64 v[56:57], v[60:61], v[70:71], v[68:69]
	s_waitcnt vmcnt(11)
	v_fma_f64 v[54:55], v[84:85], v[78:79], v[54:55]
	v_fma_f64 v[24:25], -v[60:61], v[72:73], v[24:25]
	s_waitcnt vmcnt(7)
	v_fma_f64 v[27:28], v[90:91], v[74:75], v[27:28]
	v_fma_f64 v[30:31], v[82:83], v[78:79], v[30:31]
	;; [unrolled: 1-line block ×6, first 2 shown]
	v_fma_f64 v[27:28], -v[92:93], v[76:77], v[27:28]
	v_fma_f64 v[30:31], -v[84:85], v[80:81], v[30:31]
	v_fma_f64 v[56:57], v[88:89], v[78:79], v[56:57]
	v_fma_f64 v[58:59], v[62:63], v[80:81], v[58:59]
	v_fma_f64 v[24:25], -v[88:89], v[80:81], v[24:25]
	v_fma_f64 v[54:55], v[96:97], v[74:75], v[54:55]
	v_fma_f64 v[30:31], v[94:95], v[74:75], v[30:31]
	;; [unrolled: 1-line block ×6, first 2 shown]
	v_fma_f64 v[30:31], -v[96:97], v[76:77], v[30:31]
	v_fma_f64 v[56:57], v[100:101], v[74:75], v[56:57]
	v_fma_f64 v[58:59], v[90:91], v[76:77], v[58:59]
	v_fma_f64 v[24:25], -v[100:101], v[76:77], v[24:25]
	s_delay_alu instid0(VALU_DEP_3) | instskip(SKIP_2) | instid1(VALU_DEP_4)
	v_fma_f64 v[56:57], v[98:99], v[76:77], v[56:57]
	s_waitcnt vmcnt(5)
	v_fma_f64 v[27:28], v[38:39], v[10:11], v[27:28]
	v_fma_f64 v[58:59], v[40:41], v[10:11], v[58:59]
	s_waitcnt vmcnt(4)
	v_fma_f64 v[30:31], v[14:15], v[10:11], v[30:31]
	;; [unrolled: 3-line block ×3, first 2 shown]
	v_fma_f64 v[10:11], v[20:21], v[10:11], v[56:57]
	v_fma_f64 v[27:28], -v[40:41], v[12:13], v[27:28]
	v_fma_f64 v[38:39], v[38:39], v[12:13], v[58:59]
	v_fma_f64 v[16:17], -v[16:17], v[12:13], v[30:31]
	;; [unrolled: 2-line block ×3, first 2 shown]
	v_fma_f64 v[10:11], v[18:19], v[12:13], v[10:11]
	s_waitcnt vmcnt(1)
	v_fma_f64 v[12:13], v[42:43], v[34:35], v[27:28]
	v_fma_f64 v[24:25], v[44:45], v[34:35], v[38:39]
	s_waitcnt vmcnt(0)
	v_fma_f64 v[27:28], v[46:47], v[34:35], v[16:17]
	v_fma_f64 v[14:15], v[48:49], v[34:35], v[14:15]
	;; [unrolled: 1-line block ×4, first 2 shown]
	v_fma_f64 v[17:18], -v[44:45], v[36:37], v[12:13]
	v_fma_f64 v[11:12], v[42:43], v[36:37], v[24:25]
	v_fma_f64 v[19:20], -v[48:49], v[36:37], v[27:28]
	v_fma_f64 v[21:22], v[46:47], v[36:37], v[14:15]
	;; [unrolled: 2-line block ×3, first 2 shown]
	s_and_not1_b32 exec_lo, exec_lo, s0
	s_cbranch_execnz .LBB135_17
; %bb.18:
	s_or_b32 exec_lo, exec_lo, s0
.LBB135_19:
	s_delay_alu instid0(SALU_CYCLE_1)
	s_or_b32 exec_lo, exec_lo, s1
.LBB135_20:
	v_mbcnt_lo_u32_b32 v34, -1, 0
	s_delay_alu instid0(VALU_DEP_1) | instskip(NEXT) | instid1(VALU_DEP_1)
	v_or_b32_e32 v9, 32, v34
	v_cmp_gt_i32_e32 vcc_lo, 32, v9
	v_cndmask_b32_e32 v9, v34, v9, vcc_lo
	s_delay_alu instid0(VALU_DEP_1)
	v_lshlrev_b32_e32 v32, 2, v9
	ds_bpermute_b32 v9, v32, v17
	ds_bpermute_b32 v10, v32, v18
	;; [unrolled: 1-line block ×12, first 2 shown]
	s_waitcnt lgkmcnt(10)
	v_add_f64 v[9:10], v[17:18], v[9:10]
	s_waitcnt lgkmcnt(8)
	v_add_f64 v[11:12], v[11:12], v[23:24]
	;; [unrolled: 2-line block ×4, first 2 shown]
	v_xor_b32_e32 v21, 16, v34
	s_waitcnt lgkmcnt(2)
	v_add_f64 v[13:14], v[13:14], v[29:30]
	s_waitcnt lgkmcnt(0)
	v_add_f64 v[15:16], v[15:16], v[31:32]
	v_cmp_gt_i32_e32 vcc_lo, 32, v21
	v_cndmask_b32_e32 v21, v34, v21, vcc_lo
	s_delay_alu instid0(VALU_DEP_1)
	v_lshlrev_b32_e32 v32, 2, v21
	ds_bpermute_b32 v21, v32, v9
	ds_bpermute_b32 v22, v32, v10
	;; [unrolled: 1-line block ×12, first 2 shown]
	s_waitcnt lgkmcnt(10)
	v_add_f64 v[9:10], v[9:10], v[21:22]
	v_xor_b32_e32 v21, 8, v34
	s_waitcnt lgkmcnt(8)
	v_add_f64 v[11:12], v[11:12], v[23:24]
	s_waitcnt lgkmcnt(6)
	v_add_f64 v[17:18], v[17:18], v[25:26]
	;; [unrolled: 2-line block ×3, first 2 shown]
	v_cmp_gt_i32_e32 vcc_lo, 32, v21
	s_waitcnt lgkmcnt(2)
	v_add_f64 v[13:14], v[13:14], v[29:30]
	s_waitcnt lgkmcnt(0)
	v_add_f64 v[15:16], v[15:16], v[31:32]
	v_cndmask_b32_e32 v21, v34, v21, vcc_lo
	s_delay_alu instid0(VALU_DEP_1)
	v_lshlrev_b32_e32 v32, 2, v21
	ds_bpermute_b32 v21, v32, v9
	ds_bpermute_b32 v22, v32, v10
	;; [unrolled: 1-line block ×12, first 2 shown]
	s_waitcnt lgkmcnt(10)
	v_add_f64 v[9:10], v[9:10], v[21:22]
	v_xor_b32_e32 v21, 4, v34
	s_waitcnt lgkmcnt(8)
	v_add_f64 v[11:12], v[11:12], v[23:24]
	s_waitcnt lgkmcnt(6)
	v_add_f64 v[17:18], v[17:18], v[25:26]
	s_waitcnt lgkmcnt(4)
	v_add_f64 v[19:20], v[19:20], v[27:28]
	v_cmp_gt_i32_e32 vcc_lo, 32, v21
	s_waitcnt lgkmcnt(2)
	v_add_f64 v[13:14], v[13:14], v[29:30]
	s_waitcnt lgkmcnt(0)
	v_add_f64 v[15:16], v[15:16], v[31:32]
	v_cndmask_b32_e32 v21, v34, v21, vcc_lo
	s_delay_alu instid0(VALU_DEP_1)
	v_lshlrev_b32_e32 v32, 2, v21
	ds_bpermute_b32 v21, v32, v9
	ds_bpermute_b32 v22, v32, v10
	;; [unrolled: 1-line block ×12, first 2 shown]
	s_waitcnt lgkmcnt(10)
	v_add_f64 v[9:10], v[9:10], v[21:22]
	s_waitcnt lgkmcnt(8)
	v_add_f64 v[11:12], v[11:12], v[23:24]
	;; [unrolled: 2-line block ×4, first 2 shown]
	v_xor_b32_e32 v19, 2, v34
	s_waitcnt lgkmcnt(2)
	v_add_f64 v[13:14], v[13:14], v[29:30]
	s_waitcnt lgkmcnt(0)
	v_add_f64 v[15:16], v[15:16], v[31:32]
	v_cmp_gt_i32_e32 vcc_lo, 32, v19
	v_cndmask_b32_e32 v19, v34, v19, vcc_lo
	s_delay_alu instid0(VALU_DEP_1)
	v_lshlrev_b32_e32 v32, 2, v19
	ds_bpermute_b32 v19, v32, v9
	ds_bpermute_b32 v20, v32, v10
	;; [unrolled: 1-line block ×12, first 2 shown]
	s_waitcnt lgkmcnt(10)
	v_add_f64 v[9:10], v[9:10], v[19:20]
	s_waitcnt lgkmcnt(8)
	v_add_f64 v[19:20], v[11:12], v[23:24]
	;; [unrolled: 2-line block ×4, first 2 shown]
	v_xor_b32_e32 v21, 1, v34
	s_waitcnt lgkmcnt(2)
	v_add_f64 v[13:14], v[13:14], v[29:30]
	s_waitcnt lgkmcnt(0)
	v_add_f64 v[15:16], v[15:16], v[31:32]
	v_cmp_gt_i32_e32 vcc_lo, 32, v21
	v_cndmask_b32_e32 v21, v34, v21, vcc_lo
	v_cmp_eq_u32_e32 vcc_lo, 63, v33
	s_delay_alu instid0(VALU_DEP_2)
	v_lshlrev_b32_e32 v24, 2, v21
	ds_bpermute_b32 v31, v24, v9
	ds_bpermute_b32 v32, v24, v10
	;; [unrolled: 1-line block ×12, first 2 shown]
	s_and_b32 exec_lo, exec_lo, vcc_lo
	s_cbranch_execz .LBB135_25
; %bb.21:
	v_cmp_eq_f64_e32 vcc_lo, 0, v[4:5]
	v_cmp_eq_f64_e64 s0, 0, v[6:7]
	s_waitcnt lgkmcnt(10)
	v_add_f64 v[9:10], v[9:10], v[31:32]
	s_waitcnt lgkmcnt(8)
	v_add_f64 v[19:20], v[19:20], v[29:30]
	;; [unrolled: 2-line block ×6, first 2 shown]
	s_load_b64 s[2:3], s[2:3], 0x48
	s_and_b32 s0, vcc_lo, s0
	s_delay_alu instid0(SALU_CYCLE_1) | instskip(NEXT) | instid1(SALU_CYCLE_1)
	s_and_saveexec_b32 s1, s0
	s_xor_b32 s0, exec_lo, s1
	s_cbranch_execz .LBB135_23
; %bb.22:
	v_mul_f64 v[4:5], v[19:20], -v[2:3]
	v_mul_f64 v[6:7], v[0:1], v[19:20]
	v_mul_f64 v[19:20], v[17:18], -v[2:3]
	v_mul_f64 v[17:18], v[0:1], v[17:18]
	;; [unrolled: 2-line block ×3, first 2 shown]
	v_fma_f64 v[4:5], v[0:1], v[9:10], v[4:5]
	v_fma_f64 v[6:7], v[2:3], v[9:10], v[6:7]
	;; [unrolled: 1-line block ×6, first 2 shown]
	v_lshl_add_u32 v13, v8, 1, v8
                                        ; implicit-def: $vgpr8
                                        ; implicit-def: $vgpr19_vgpr20
                                        ; implicit-def: $vgpr17_vgpr18
                                        ; implicit-def: $vgpr15_vgpr16
	s_delay_alu instid0(VALU_DEP_1) | instskip(NEXT) | instid1(VALU_DEP_1)
	v_ashrrev_i32_e32 v14, 31, v13
	v_lshlrev_b64 v[13:14], 4, v[13:14]
	s_waitcnt lgkmcnt(0)
	s_delay_alu instid0(VALU_DEP_1) | instskip(NEXT) | instid1(VALU_DEP_2)
	v_add_co_u32 v13, vcc_lo, s2, v13
	v_add_co_ci_u32_e32 v14, vcc_lo, s3, v14, vcc_lo
	s_clause 0x2
	global_store_b128 v[13:14], v[4:7], off
	global_store_b128 v[13:14], v[9:12], off offset:16
	global_store_b128 v[13:14], v[0:3], off offset:32
                                        ; implicit-def: $vgpr0_vgpr1
                                        ; implicit-def: $vgpr2_vgpr3
                                        ; implicit-def: $vgpr4_vgpr5
                                        ; implicit-def: $vgpr6_vgpr7
                                        ; implicit-def: $vgpr9_vgpr10
                                        ; implicit-def: $vgpr11_vgpr12
                                        ; implicit-def: $vgpr13_vgpr14
.LBB135_23:
	s_and_not1_saveexec_b32 s0, s0
	s_cbranch_execz .LBB135_25
; %bb.24:
	v_lshl_add_u32 v21, v8, 1, v8
	v_mul_f64 v[35:36], v[19:20], -v[2:3]
	v_mul_f64 v[19:20], v[0:1], v[19:20]
	v_mul_f64 v[37:38], v[17:18], -v[2:3]
	v_mul_f64 v[17:18], v[0:1], v[17:18]
	v_ashrrev_i32_e32 v22, 31, v21
	v_mul_f64 v[39:40], v[15:16], -v[2:3]
	v_mul_f64 v[15:16], v[0:1], v[15:16]
	s_delay_alu instid0(VALU_DEP_3) | instskip(SKIP_1) | instid1(VALU_DEP_1)
	v_lshlrev_b64 v[21:22], 4, v[21:22]
	s_waitcnt lgkmcnt(0)
	v_add_co_u32 v33, vcc_lo, s2, v21
	s_delay_alu instid0(VALU_DEP_2)
	v_add_co_ci_u32_e32 v34, vcc_lo, s3, v22, vcc_lo
	s_clause 0x2
	global_load_b128 v[21:24], v[33:34], off
	global_load_b128 v[25:28], v[33:34], off offset:16
	global_load_b128 v[29:32], v[33:34], off offset:32
	v_fma_f64 v[35:36], v[0:1], v[9:10], v[35:36]
	v_fma_f64 v[8:9], v[2:3], v[9:10], v[19:20]
	;; [unrolled: 1-line block ×6, first 2 shown]
	s_waitcnt vmcnt(2)
	v_fma_f64 v[12:13], v[4:5], v[21:22], v[35:36]
	v_fma_f64 v[8:9], v[6:7], v[21:22], v[8:9]
	s_waitcnt vmcnt(1)
	v_fma_f64 v[14:15], v[4:5], v[25:26], v[19:20]
	v_fma_f64 v[10:11], v[6:7], v[25:26], v[10:11]
	;; [unrolled: 3-line block ×3, first 2 shown]
	v_fma_f64 v[0:1], -v[6:7], v[23:24], v[12:13]
	v_fma_f64 v[2:3], v[4:5], v[23:24], v[8:9]
	v_fma_f64 v[8:9], -v[6:7], v[27:28], v[14:15]
	v_fma_f64 v[10:11], v[4:5], v[27:28], v[10:11]
	;; [unrolled: 2-line block ×3, first 2 shown]
	s_clause 0x2
	global_store_b128 v[33:34], v[0:3], off
	global_store_b128 v[33:34], v[8:11], off offset:16
	global_store_b128 v[33:34], v[12:15], off offset:32
.LBB135_25:
	s_nop 0
	s_sendmsg sendmsg(MSG_DEALLOC_VGPRS)
	s_endpgm
	.section	.rodata,"a",@progbits
	.p2align	6, 0x0
	.amdhsa_kernel _ZN9rocsparseL19gebsrmvn_3xn_kernelILj128ELj6ELj64E21rocsparse_complex_numIdEEEvi20rocsparse_direction_NS_24const_host_device_scalarIT2_EEPKiS8_PKS5_SA_S6_PS5_21rocsparse_index_base_b
		.amdhsa_group_segment_fixed_size 2048
		.amdhsa_private_segment_fixed_size 0
		.amdhsa_kernarg_size 88
		.amdhsa_user_sgpr_count 15
		.amdhsa_user_sgpr_dispatch_ptr 1
		.amdhsa_user_sgpr_queue_ptr 0
		.amdhsa_user_sgpr_kernarg_segment_ptr 1
		.amdhsa_user_sgpr_dispatch_id 0
		.amdhsa_user_sgpr_private_segment_size 0
		.amdhsa_wavefront_size32 1
		.amdhsa_uses_dynamic_stack 0
		.amdhsa_enable_private_segment 0
		.amdhsa_system_sgpr_workgroup_id_x 1
		.amdhsa_system_sgpr_workgroup_id_y 0
		.amdhsa_system_sgpr_workgroup_id_z 0
		.amdhsa_system_sgpr_workgroup_info 0
		.amdhsa_system_vgpr_workitem_id 2
		.amdhsa_next_free_vgpr 118
		.amdhsa_next_free_sgpr 18
		.amdhsa_reserve_vcc 1
		.amdhsa_float_round_mode_32 0
		.amdhsa_float_round_mode_16_64 0
		.amdhsa_float_denorm_mode_32 3
		.amdhsa_float_denorm_mode_16_64 3
		.amdhsa_dx10_clamp 1
		.amdhsa_ieee_mode 1
		.amdhsa_fp16_overflow 0
		.amdhsa_workgroup_processor_mode 1
		.amdhsa_memory_ordered 1
		.amdhsa_forward_progress 0
		.amdhsa_shared_vgpr_count 0
		.amdhsa_exception_fp_ieee_invalid_op 0
		.amdhsa_exception_fp_denorm_src 0
		.amdhsa_exception_fp_ieee_div_zero 0
		.amdhsa_exception_fp_ieee_overflow 0
		.amdhsa_exception_fp_ieee_underflow 0
		.amdhsa_exception_fp_ieee_inexact 0
		.amdhsa_exception_int_div_zero 0
	.end_amdhsa_kernel
	.section	.text._ZN9rocsparseL19gebsrmvn_3xn_kernelILj128ELj6ELj64E21rocsparse_complex_numIdEEEvi20rocsparse_direction_NS_24const_host_device_scalarIT2_EEPKiS8_PKS5_SA_S6_PS5_21rocsparse_index_base_b,"axG",@progbits,_ZN9rocsparseL19gebsrmvn_3xn_kernelILj128ELj6ELj64E21rocsparse_complex_numIdEEEvi20rocsparse_direction_NS_24const_host_device_scalarIT2_EEPKiS8_PKS5_SA_S6_PS5_21rocsparse_index_base_b,comdat
.Lfunc_end135:
	.size	_ZN9rocsparseL19gebsrmvn_3xn_kernelILj128ELj6ELj64E21rocsparse_complex_numIdEEEvi20rocsparse_direction_NS_24const_host_device_scalarIT2_EEPKiS8_PKS5_SA_S6_PS5_21rocsparse_index_base_b, .Lfunc_end135-_ZN9rocsparseL19gebsrmvn_3xn_kernelILj128ELj6ELj64E21rocsparse_complex_numIdEEEvi20rocsparse_direction_NS_24const_host_device_scalarIT2_EEPKiS8_PKS5_SA_S6_PS5_21rocsparse_index_base_b
                                        ; -- End function
	.section	.AMDGPU.csdata,"",@progbits
; Kernel info:
; codeLenInByte = 5372
; NumSgprs: 20
; NumVgprs: 118
; ScratchSize: 0
; MemoryBound: 0
; FloatMode: 240
; IeeeMode: 1
; LDSByteSize: 2048 bytes/workgroup (compile time only)
; SGPRBlocks: 2
; VGPRBlocks: 14
; NumSGPRsForWavesPerEU: 20
; NumVGPRsForWavesPerEU: 118
; Occupancy: 12
; WaveLimiterHint : 1
; COMPUTE_PGM_RSRC2:SCRATCH_EN: 0
; COMPUTE_PGM_RSRC2:USER_SGPR: 15
; COMPUTE_PGM_RSRC2:TRAP_HANDLER: 0
; COMPUTE_PGM_RSRC2:TGID_X_EN: 1
; COMPUTE_PGM_RSRC2:TGID_Y_EN: 0
; COMPUTE_PGM_RSRC2:TGID_Z_EN: 0
; COMPUTE_PGM_RSRC2:TIDIG_COMP_CNT: 2
	.section	.text._ZN9rocsparseL19gebsrmvn_3xn_kernelILj128ELj7ELj4E21rocsparse_complex_numIdEEEvi20rocsparse_direction_NS_24const_host_device_scalarIT2_EEPKiS8_PKS5_SA_S6_PS5_21rocsparse_index_base_b,"axG",@progbits,_ZN9rocsparseL19gebsrmvn_3xn_kernelILj128ELj7ELj4E21rocsparse_complex_numIdEEEvi20rocsparse_direction_NS_24const_host_device_scalarIT2_EEPKiS8_PKS5_SA_S6_PS5_21rocsparse_index_base_b,comdat
	.globl	_ZN9rocsparseL19gebsrmvn_3xn_kernelILj128ELj7ELj4E21rocsparse_complex_numIdEEEvi20rocsparse_direction_NS_24const_host_device_scalarIT2_EEPKiS8_PKS5_SA_S6_PS5_21rocsparse_index_base_b ; -- Begin function _ZN9rocsparseL19gebsrmvn_3xn_kernelILj128ELj7ELj4E21rocsparse_complex_numIdEEEvi20rocsparse_direction_NS_24const_host_device_scalarIT2_EEPKiS8_PKS5_SA_S6_PS5_21rocsparse_index_base_b
	.p2align	8
	.type	_ZN9rocsparseL19gebsrmvn_3xn_kernelILj128ELj7ELj4E21rocsparse_complex_numIdEEEvi20rocsparse_direction_NS_24const_host_device_scalarIT2_EEPKiS8_PKS5_SA_S6_PS5_21rocsparse_index_base_b,@function
_ZN9rocsparseL19gebsrmvn_3xn_kernelILj128ELj7ELj4E21rocsparse_complex_numIdEEEvi20rocsparse_direction_NS_24const_host_device_scalarIT2_EEPKiS8_PKS5_SA_S6_PS5_21rocsparse_index_base_b: ; @_ZN9rocsparseL19gebsrmvn_3xn_kernelILj128ELj7ELj4E21rocsparse_complex_numIdEEEvi20rocsparse_direction_NS_24const_host_device_scalarIT2_EEPKiS8_PKS5_SA_S6_PS5_21rocsparse_index_base_b
; %bb.0:
	s_load_b64 s[12:13], s[2:3], 0x50
	s_load_b64 s[16:17], s[0:1], 0x4
	s_load_b128 s[8:11], s[2:3], 0x8
	v_bfe_u32 v1, v0, 10, 10
	s_mov_b64 s[0:1], src_shared_base
	s_load_b128 s[4:7], s[2:3], 0x38
	v_and_b32_e32 v12, 0x3ff, v0
	v_bfe_u32 v0, v0, 20, 10
	s_waitcnt lgkmcnt(0)
	s_bitcmp1_b32 s13, 0
	v_mul_u32_u24_e32 v1, s17, v1
	s_cselect_b32 s0, -1, 0
	s_delay_alu instid0(SALU_CYCLE_1)
	s_and_b32 vcc_lo, s0, exec_lo
	s_cselect_b32 s13, s1, s9
	s_lshr_b32 s14, s16, 16
	v_dual_mov_b32 v2, s4 :: v_dual_mov_b32 v3, s5
	s_mul_i32 s14, s14, s17
	v_mov_b32_e32 v6, s13
	v_mad_u32_u24 v1, s14, v12, v1
	s_delay_alu instid0(VALU_DEP_1) | instskip(SKIP_1) | instid1(VALU_DEP_2)
	v_add_lshl_u32 v4, v1, v0, 3
	v_dual_mov_b32 v0, s8 :: v_dual_mov_b32 v1, s9
	v_add_nc_u32_e32 v5, 0x400, v4
	ds_store_2addr_stride64_b64 v4, v[2:3], v[0:1] offset1:2
	v_dual_mov_b32 v2, s10 :: v_dual_mov_b32 v3, s11
	v_cndmask_b32_e64 v5, s8, v5, s0
	s_xor_b32 s10, s0, -1
	flat_load_b64 v[0:1], v[5:6]
	s_cbranch_vccnz .LBB136_2
; %bb.1:
	v_dual_mov_b32 v2, s8 :: v_dual_mov_b32 v3, s9
	flat_load_b64 v[2:3], v[2:3] offset:8
.LBB136_2:
	s_and_b32 s8, s0, exec_lo
	s_cselect_b32 s1, s1, s5
	v_cndmask_b32_e64 v4, s4, v4, s0
	v_dual_mov_b32 v5, s1 :: v_dual_mov_b32 v6, s6
	v_mov_b32_e32 v7, s7
	s_and_not1_b32 vcc_lo, exec_lo, s10
	flat_load_b64 v[4:5], v[4:5]
	s_cbranch_vccnz .LBB136_4
; %bb.3:
	v_dual_mov_b32 v7, s5 :: v_dual_mov_b32 v6, s4
	flat_load_b64 v[6:7], v[6:7] offset:8
.LBB136_4:
	s_waitcnt vmcnt(1) lgkmcnt(1)
	v_cmp_eq_f64_e32 vcc_lo, 0, v[0:1]
	v_cmp_eq_f64_e64 s0, 0, v[2:3]
	s_delay_alu instid0(VALU_DEP_1)
	s_and_b32 s4, vcc_lo, s0
	s_mov_b32 s0, -1
	s_and_saveexec_b32 s1, s4
	s_cbranch_execz .LBB136_6
; %bb.5:
	s_waitcnt vmcnt(0) lgkmcnt(0)
	v_cmp_neq_f64_e32 vcc_lo, 1.0, v[4:5]
	v_cmp_neq_f64_e64 s0, 0, v[6:7]
	s_delay_alu instid0(VALU_DEP_1) | instskip(NEXT) | instid1(SALU_CYCLE_1)
	s_or_b32 s0, vcc_lo, s0
	s_or_not1_b32 s0, s0, exec_lo
.LBB136_6:
	s_or_b32 exec_lo, exec_lo, s1
	s_and_saveexec_b32 s1, s0
	s_cbranch_execz .LBB136_29
; %bb.7:
	s_load_b64 s[0:1], s[2:3], 0x0
	v_lshrrev_b32_e32 v8, 2, v12
	s_delay_alu instid0(VALU_DEP_1) | instskip(SKIP_1) | instid1(VALU_DEP_1)
	v_lshl_or_b32 v8, s15, 5, v8
	s_waitcnt lgkmcnt(0)
	v_cmp_gt_i32_e32 vcc_lo, s0, v8
	s_and_b32 exec_lo, exec_lo, vcc_lo
	s_cbranch_execz .LBB136_29
; %bb.8:
	s_load_b256 s[4:11], s[2:3], 0x18
	v_ashrrev_i32_e32 v9, 31, v8
	v_and_b32_e32 v38, 3, v12
	s_cmp_lg_u32 s1, 0
	s_delay_alu instid0(VALU_DEP_2) | instskip(SKIP_1) | instid1(VALU_DEP_1)
	v_lshlrev_b64 v[9:10], 2, v[8:9]
	s_waitcnt lgkmcnt(0)
	v_add_co_u32 v9, vcc_lo, s4, v9
	s_delay_alu instid0(VALU_DEP_2) | instskip(SKIP_4) | instid1(VALU_DEP_2)
	v_add_co_ci_u32_e32 v10, vcc_lo, s5, v10, vcc_lo
	global_load_b64 v[10:11], v[9:10], off
	s_waitcnt vmcnt(0)
	v_subrev_nc_u32_e32 v9, s12, v10
	v_subrev_nc_u32_e32 v39, s12, v11
	v_add_nc_u32_e32 v9, v9, v38
	s_delay_alu instid0(VALU_DEP_1)
	v_cmp_lt_i32_e64 s0, v9, v39
	s_cbranch_scc0 .LBB136_16
; %bb.9:
	v_mov_b32_e32 v11, 0
	v_mov_b32_e32 v12, 0
	s_delay_alu instid0(VALU_DEP_1)
	v_dual_mov_b32 v20, v12 :: v_dual_mov_b32 v19, v11
	v_dual_mov_b32 v14, v12 :: v_dual_mov_b32 v13, v11
	;; [unrolled: 1-line block ×5, first 2 shown]
	s_and_saveexec_b32 s1, s0
	s_cbranch_execz .LBB136_18
; %bb.10:
	v_mul_lo_u32 v10, v10, 21
	v_dual_mov_b32 v11, 0 :: v_dual_mov_b32 v24, 0
	v_dual_mov_b32 v12, 0 :: v_dual_mov_b32 v25, v9
	v_mul_lo_u32 v40, v9, 21
	s_mul_i32 s4, s12, 21
	s_delay_alu instid0(VALU_DEP_2) | instskip(SKIP_4) | instid1(VALU_DEP_4)
	v_dual_mov_b32 v20, v12 :: v_dual_mov_b32 v19, v11
	v_mad_u32_u24 v10, v38, 21, v10
	v_dual_mov_b32 v14, v12 :: v_dual_mov_b32 v13, v11
	v_dual_mov_b32 v16, v12 :: v_dual_mov_b32 v15, v11
	;; [unrolled: 1-line block ×3, first 2 shown]
	v_subrev_nc_u32_e32 v41, s4, v10
	v_dual_mov_b32 v22, v12 :: v_dual_mov_b32 v21, v11
	s_mov_b32 s4, 0
	s_branch .LBB136_12
.LBB136_11:                             ;   in Loop: Header=BB136_12 Depth=1
	v_add_nc_u32_e32 v25, 4, v25
	v_add_nc_u32_e32 v40, 0x54, v40
	;; [unrolled: 1-line block ×3, first 2 shown]
	s_delay_alu instid0(VALU_DEP_3) | instskip(SKIP_1) | instid1(SALU_CYCLE_1)
	v_cmp_ge_i32_e32 vcc_lo, v25, v39
	s_or_b32 s4, vcc_lo, s4
	s_and_not1_b32 exec_lo, exec_lo, s4
	s_cbranch_execz .LBB136_17
.LBB136_12:                             ; =>This Loop Header: Depth=1
                                        ;     Child Loop BB136_14 Depth 2
	v_ashrrev_i32_e32 v26, 31, v25
	v_dual_mov_b32 v31, v12 :: v_dual_mov_b32 v30, v11
	v_dual_mov_b32 v33, v20 :: v_dual_mov_b32 v32, v19
	s_delay_alu instid0(VALU_DEP_3) | instskip(SKIP_3) | instid1(VALU_DEP_4)
	v_lshlrev_b64 v[26:27], 2, v[25:26]
	v_dual_mov_b32 v29, v14 :: v_dual_mov_b32 v28, v13
	v_dual_mov_b32 v35, v18 :: v_dual_mov_b32 v34, v17
	;; [unrolled: 1-line block ×3, first 2 shown]
	v_add_co_u32 v26, vcc_lo, s6, v26
	v_add_co_ci_u32_e32 v27, vcc_lo, s7, v27, vcc_lo
	s_mov_b32 s5, 0
	global_load_b32 v10, v[26:27], off
	v_dual_mov_b32 v27, v16 :: v_dual_mov_b32 v26, v15
	s_waitcnt vmcnt(0)
	v_subrev_nc_u32_e32 v10, s12, v10
	s_delay_alu instid0(VALU_DEP_1)
	v_mul_lo_u32 v10, v10, 7
	s_branch .LBB136_14
.LBB136_13:                             ;   in Loop: Header=BB136_12 Depth=1
                                        ; implicit-def: $vgpr36_vgpr37
                                        ; implicit-def: $vgpr34_vgpr35
                                        ; implicit-def: $vgpr26_vgpr27
                                        ; implicit-def: $vgpr28_vgpr29
                                        ; implicit-def: $vgpr32_vgpr33
                                        ; implicit-def: $vgpr30_vgpr31
                                        ; implicit-def: $sgpr5
                                        ; implicit-def: $vgpr10
	s_branch .LBB136_11
.LBB136_14:                             ;   Parent Loop BB136_12 Depth=1
                                        ; =>  This Inner Loop Header: Depth=2
	v_add_nc_u32_e32 v23, s5, v41
	v_dual_mov_b32 v11, v24 :: v_dual_add_nc_u32 v42, s5, v40
	s_cmp_eq_u32 s5, 18
	s_delay_alu instid0(VALU_DEP_2) | instskip(NEXT) | instid1(VALU_DEP_2)
	v_lshlrev_b64 v[12:13], 4, v[23:24]
	v_add_nc_u32_e32 v23, 1, v42
	s_delay_alu instid0(VALU_DEP_3) | instskip(NEXT) | instid1(VALU_DEP_2)
	v_lshlrev_b64 v[14:15], 4, v[10:11]
	v_lshlrev_b64 v[16:17], 4, v[23:24]
	v_add_nc_u32_e32 v23, 2, v42
	v_add_co_u32 v11, vcc_lo, s8, v12
	v_add_co_ci_u32_e32 v12, vcc_lo, s9, v13, vcc_lo
	v_add_co_u32 v18, vcc_lo, s10, v14
	s_delay_alu instid0(VALU_DEP_4) | instskip(SKIP_3) | instid1(VALU_DEP_4)
	v_lshlrev_b64 v[20:21], 4, v[23:24]
	v_add_co_ci_u32_e32 v19, vcc_lo, s11, v15, vcc_lo
	v_add_co_u32 v15, vcc_lo, s8, v16
	v_add_co_ci_u32_e32 v16, vcc_lo, s9, v17, vcc_lo
	v_add_co_u32 v20, vcc_lo, s8, v20
	v_add_co_ci_u32_e32 v21, vcc_lo, s9, v21, vcc_lo
	global_load_b128 v[11:14], v[11:12], off
	global_load_b128 v[43:46], v[18:19], off
	s_clause 0x1
	global_load_b128 v[15:18], v[15:16], off
	global_load_b128 v[47:50], v[20:21], off
	s_waitcnt vmcnt(2)
	v_fma_f64 v[19:20], v[11:12], v[43:44], v[32:33]
	v_fma_f64 v[21:22], v[13:14], v[43:44], v[30:31]
	s_waitcnt vmcnt(1)
	v_fma_f64 v[30:31], v[15:16], v[43:44], v[34:35]
	v_fma_f64 v[32:33], v[17:18], v[43:44], v[36:37]
	s_waitcnt vmcnt(0)
	v_fma_f64 v[28:29], v[47:48], v[43:44], v[28:29]
	v_fma_f64 v[26:27], v[49:50], v[43:44], v[26:27]
	v_fma_f64 v[19:20], -v[13:14], v[45:46], v[19:20]
	v_fma_f64 v[11:12], v[11:12], v[45:46], v[21:22]
	v_fma_f64 v[17:18], -v[17:18], v[45:46], v[30:31]
	v_fma_f64 v[21:22], v[15:16], v[45:46], v[32:33]
	;; [unrolled: 2-line block ×3, first 2 shown]
	s_cbranch_scc1 .LBB136_13
; %bb.15:                               ;   in Loop: Header=BB136_14 Depth=2
	v_add_nc_u32_e32 v23, 3, v42
	s_add_i32 s5, s5, 6
	s_delay_alu instid0(VALU_DEP_1) | instskip(SKIP_2) | instid1(VALU_DEP_2)
	v_lshlrev_b64 v[26:27], 4, v[23:24]
	v_add_nc_u32_e32 v23, 1, v10
	v_add_nc_u32_e32 v10, 2, v10
	v_lshlrev_b64 v[30:31], 4, v[23:24]
	v_add_nc_u32_e32 v23, 4, v42
	v_add_co_u32 v26, vcc_lo, s8, v26
	v_add_co_ci_u32_e32 v27, vcc_lo, s9, v27, vcc_lo
	s_delay_alu instid0(VALU_DEP_3) | instskip(SKIP_3) | instid1(VALU_DEP_3)
	v_lshlrev_b64 v[32:33], 4, v[23:24]
	v_add_nc_u32_e32 v23, 5, v42
	v_add_co_u32 v30, vcc_lo, s10, v30
	v_add_co_ci_u32_e32 v31, vcc_lo, s11, v31, vcc_lo
	v_lshlrev_b64 v[34:35], 4, v[23:24]
	v_add_co_u32 v32, vcc_lo, s8, v32
	v_add_co_ci_u32_e32 v33, vcc_lo, s9, v33, vcc_lo
	global_load_b128 v[26:29], v[26:27], off
	v_add_co_u32 v34, vcc_lo, s8, v34
	v_add_co_ci_u32_e32 v35, vcc_lo, s9, v35, vcc_lo
	global_load_b128 v[42:45], v[30:31], off
	s_clause 0x1
	global_load_b128 v[46:49], v[32:33], off
	global_load_b128 v[50:53], v[34:35], off
	s_waitcnt vmcnt(2)
	v_fma_f64 v[30:31], v[26:27], v[42:43], v[19:20]
	v_fma_f64 v[34:35], v[28:29], v[42:43], v[11:12]
	s_waitcnt vmcnt(1)
	v_fma_f64 v[36:37], v[46:47], v[42:43], v[17:18]
	v_fma_f64 v[54:55], v[48:49], v[42:43], v[21:22]
	s_waitcnt vmcnt(0)
	v_fma_f64 v[56:57], v[50:51], v[42:43], v[13:14]
	v_fma_f64 v[42:43], v[52:53], v[42:43], v[15:16]
	v_fma_f64 v[32:33], -v[28:29], v[44:45], v[30:31]
	v_fma_f64 v[30:31], v[26:27], v[44:45], v[34:35]
	v_fma_f64 v[34:35], -v[48:49], v[44:45], v[36:37]
	v_fma_f64 v[36:37], v[46:47], v[44:45], v[54:55]
	;; [unrolled: 2-line block ×3, first 2 shown]
	s_cbranch_execnz .LBB136_14
	s_branch .LBB136_11
.LBB136_16:
                                        ; implicit-def: $vgpr11_vgpr12
                                        ; implicit-def: $vgpr19_vgpr20
                                        ; implicit-def: $vgpr13_vgpr14
                                        ; implicit-def: $vgpr15_vgpr16
                                        ; implicit-def: $vgpr17_vgpr18
                                        ; implicit-def: $vgpr21_vgpr22
	s_branch .LBB136_19
.LBB136_17:
	s_or_b32 exec_lo, exec_lo, s4
.LBB136_18:
	s_delay_alu instid0(SALU_CYCLE_1)
	s_or_b32 exec_lo, exec_lo, s1
	s_cbranch_execnz .LBB136_24
.LBB136_19:
	v_mov_b32_e32 v11, 0
	v_mov_b32_e32 v12, 0
	s_delay_alu instid0(VALU_DEP_1)
	v_dual_mov_b32 v20, v12 :: v_dual_mov_b32 v19, v11
	v_dual_mov_b32 v14, v12 :: v_dual_mov_b32 v13, v11
	v_dual_mov_b32 v16, v12 :: v_dual_mov_b32 v15, v11
	v_dual_mov_b32 v18, v12 :: v_dual_mov_b32 v17, v11
	v_dual_mov_b32 v22, v12 :: v_dual_mov_b32 v21, v11
	s_and_saveexec_b32 s1, s0
	s_cbranch_execz .LBB136_23
; %bb.20:
	v_dual_mov_b32 v11, 0 :: v_dual_mov_b32 v26, 0
	v_mov_b32_e32 v12, 0
	v_mad_u64_u32 v[23:24], null, v9, 21, 20
	s_mov_b32 s0, 0
	s_delay_alu instid0(VALU_DEP_2)
	v_dual_mov_b32 v20, v12 :: v_dual_mov_b32 v19, v11
	v_dual_mov_b32 v14, v12 :: v_dual_mov_b32 v13, v11
	;; [unrolled: 1-line block ×5, first 2 shown]
.LBB136_21:                             ; =>This Inner Loop Header: Depth=1
	v_ashrrev_i32_e32 v10, 31, v9
	v_dual_mov_b32 v36, v26 :: v_dual_add_nc_u32 v27, -13, v23
	v_dual_mov_b32 v28, v26 :: v_dual_add_nc_u32 v29, -6, v23
	s_delay_alu instid0(VALU_DEP_3) | instskip(SKIP_1) | instid1(VALU_DEP_3)
	v_lshlrev_b64 v[24:25], 2, v[9:10]
	v_add_nc_u32_e32 v9, 4, v9
	v_lshlrev_b64 v[27:28], 4, v[27:28]
	s_delay_alu instid0(VALU_DEP_3) | instskip(NEXT) | instid1(VALU_DEP_4)
	v_add_co_u32 v24, vcc_lo, s6, v24
	v_add_co_ci_u32_e32 v25, vcc_lo, s7, v25, vcc_lo
	global_load_b32 v10, v[24:25], off
	v_subrev_nc_u32_e32 v25, 20, v23
	v_mov_b32_e32 v24, v26
	s_delay_alu instid0(VALU_DEP_2) | instskip(SKIP_1) | instid1(VALU_DEP_3)
	v_lshlrev_b64 v[31:32], 4, v[25:26]
	v_subrev_nc_u32_e32 v25, 19, v23
	v_lshlrev_b64 v[33:34], 4, v[23:24]
	s_delay_alu instid0(VALU_DEP_2) | instskip(NEXT) | instid1(VALU_DEP_4)
	v_lshlrev_b64 v[24:25], 4, v[25:26]
	v_add_co_u32 v31, vcc_lo, s8, v31
	v_add_co_ci_u32_e32 v32, vcc_lo, s9, v32, vcc_lo
	v_add_co_u32 v40, vcc_lo, s8, v27
	v_add_co_ci_u32_e32 v41, vcc_lo, s9, v28, vcc_lo
	s_waitcnt vmcnt(0)
	v_subrev_nc_u32_e32 v10, s12, v10
	s_delay_alu instid0(VALU_DEP_1) | instskip(SKIP_1) | instid1(VALU_DEP_1)
	v_mul_lo_u32 v35, v10, 7
	v_mov_b32_e32 v30, v26
	v_lshlrev_b64 v[29:30], 4, v[29:30]
	s_delay_alu instid0(VALU_DEP_3) | instskip(NEXT) | instid1(VALU_DEP_2)
	v_lshlrev_b64 v[36:37], 4, v[35:36]
	v_add_co_u32 v42, vcc_lo, s8, v29
	s_delay_alu instid0(VALU_DEP_3)
	v_add_co_ci_u32_e32 v43, vcc_lo, s9, v30, vcc_lo
	v_add_co_u32 v44, vcc_lo, s8, v33
	v_add_co_ci_u32_e32 v45, vcc_lo, s9, v34, vcc_lo
	v_add_co_u32 v24, vcc_lo, s8, v24
	;; [unrolled: 2-line block ×3, first 2 shown]
	v_add_co_ci_u32_e32 v37, vcc_lo, s11, v37, vcc_lo
	s_clause 0x4
	global_load_b128 v[27:30], v[31:32], off
	global_load_b128 v[31:34], v[40:41], off
	;; [unrolled: 1-line block ×5, first 2 shown]
	v_add_nc_u32_e32 v25, 1, v35
	global_load_b128 v[52:55], v[36:37], off
	v_lshlrev_b64 v[56:57], 4, v[25:26]
	v_add_nc_u32_e32 v25, -12, v23
	s_delay_alu instid0(VALU_DEP_2) | instskip(NEXT) | instid1(VALU_DEP_3)
	v_add_co_u32 v36, vcc_lo, s10, v56
	v_add_co_ci_u32_e32 v37, vcc_lo, s11, v57, vcc_lo
	s_delay_alu instid0(VALU_DEP_3)
	v_lshlrev_b64 v[60:61], 4, v[25:26]
	v_add_nc_u32_e32 v25, -5, v23
	global_load_b128 v[56:59], v[36:37], off
	v_add_co_u32 v36, vcc_lo, s8, v60
	v_add_co_ci_u32_e32 v37, vcc_lo, s9, v61, vcc_lo
	v_lshlrev_b64 v[64:65], 4, v[25:26]
	v_subrev_nc_u32_e32 v25, 18, v23
	global_load_b128 v[60:63], v[36:37], off
	v_add_co_u32 v36, vcc_lo, s8, v64
	v_add_co_ci_u32_e32 v37, vcc_lo, s9, v65, vcc_lo
	v_lshlrev_b64 v[68:69], 4, v[25:26]
	v_add_nc_u32_e32 v25, 2, v35
	global_load_b128 v[64:67], v[36:37], off
	v_add_co_u32 v36, vcc_lo, s8, v68
	v_lshlrev_b64 v[72:73], 4, v[25:26]
	v_add_nc_u32_e32 v25, -11, v23
	v_add_co_ci_u32_e32 v37, vcc_lo, s9, v69, vcc_lo
	s_delay_alu instid0(VALU_DEP_2)
	v_lshlrev_b64 v[74:75], 4, v[25:26]
	global_load_b128 v[68:71], v[36:37], off
	v_add_co_u32 v36, vcc_lo, s10, v72
	v_add_co_ci_u32_e32 v37, vcc_lo, s11, v73, vcc_lo
	v_add_co_u32 v76, vcc_lo, s8, v74
	v_add_co_ci_u32_e32 v77, vcc_lo, s9, v75, vcc_lo
	global_load_b128 v[72:75], v[36:37], off
	v_add_nc_u32_e32 v25, -4, v23
	global_load_b128 v[76:79], v[76:77], off
	v_lshlrev_b64 v[80:81], 4, v[25:26]
	v_subrev_nc_u32_e32 v25, 17, v23
	s_delay_alu instid0(VALU_DEP_2) | instskip(NEXT) | instid1(VALU_DEP_3)
	v_add_co_u32 v80, vcc_lo, s8, v80
	v_add_co_ci_u32_e32 v81, vcc_lo, s9, v81, vcc_lo
	s_delay_alu instid0(VALU_DEP_3)
	v_lshlrev_b64 v[36:37], 4, v[25:26]
	v_add_nc_u32_e32 v25, 3, v35
	global_load_b128 v[80:83], v[80:81], off
	v_lshlrev_b64 v[88:89], 4, v[25:26]
	v_add_nc_u32_e32 v25, -10, v23
	v_add_co_u32 v36, vcc_lo, s8, v36
	v_add_co_ci_u32_e32 v37, vcc_lo, s9, v37, vcc_lo
	s_delay_alu instid0(VALU_DEP_3)
	v_lshlrev_b64 v[90:91], 4, v[25:26]
	v_add_nc_u32_e32 v25, -3, v23
	global_load_b128 v[84:87], v[36:37], off
	v_add_co_u32 v36, vcc_lo, s10, v88
	v_lshlrev_b64 v[92:93], 4, v[25:26]
	v_add_co_ci_u32_e32 v37, vcc_lo, s11, v89, vcc_lo
	v_add_co_u32 v94, vcc_lo, s8, v90
	v_add_co_ci_u32_e32 v95, vcc_lo, s9, v91, vcc_lo
	s_delay_alu instid0(VALU_DEP_4) | instskip(SKIP_4) | instid1(VALU_DEP_1)
	v_add_co_u32 v96, vcc_lo, s8, v92
	v_add_co_ci_u32_e32 v97, vcc_lo, s9, v93, vcc_lo
	global_load_b128 v[88:91], v[36:37], off
	global_load_b128 v[92:95], v[94:95], off
	v_add_nc_u32_e32 v25, -16, v23
	v_lshlrev_b64 v[36:37], 4, v[25:26]
	v_add_nc_u32_e32 v25, 4, v35
	s_delay_alu instid0(VALU_DEP_1) | instskip(SKIP_1) | instid1(VALU_DEP_4)
	v_lshlrev_b64 v[98:99], 4, v[25:26]
	v_add_nc_u32_e32 v25, -9, v23
	v_add_co_u32 v36, vcc_lo, s8, v36
	v_add_co_ci_u32_e32 v37, vcc_lo, s9, v37, vcc_lo
	s_waitcnt vmcnt(10)
	v_fma_f64 v[19:20], v[27:28], v[52:53], v[19:20]
	v_fma_f64 v[10:11], v[29:30], v[52:53], v[11:12]
	;; [unrolled: 1-line block ×5, first 2 shown]
	v_fma_f64 v[100:101], -v[29:30], v[54:55], v[19:20]
	v_fma_f64 v[19:20], v[33:34], v[52:53], v[21:22]
	v_fma_f64 v[102:103], v[27:28], v[54:55], v[10:11]
	global_load_b128 v[27:30], v[96:97], off
	v_lshlrev_b64 v[96:97], 4, v[25:26]
	v_add_nc_u32_e32 v25, -2, v23
	v_fma_f64 v[21:22], -v[33:34], v[54:55], v[17:18]
	v_add_co_u32 v10, vcc_lo, s10, v98
	v_add_co_ci_u32_e32 v11, vcc_lo, s11, v99, vcc_lo
	s_delay_alu instid0(VALU_DEP_4) | instskip(SKIP_2) | instid1(VALU_DEP_2)
	v_lshlrev_b64 v[33:34], 4, v[25:26]
	v_add_nc_u32_e32 v25, -15, v23
	v_fma_f64 v[14:15], v[40:41], v[54:55], v[14:15]
	v_lshlrev_b64 v[40:41], 4, v[25:26]
	v_add_nc_u32_e32 v25, 5, v35
	v_fma_f64 v[98:99], v[31:32], v[54:55], v[19:20]
	v_add_co_u32 v31, vcc_lo, s8, v96
	v_add_co_ci_u32_e32 v32, vcc_lo, s9, v97, vcc_lo
	global_load_b128 v[17:20], v[36:37], off
	v_fma_f64 v[36:37], -v[42:43], v[54:55], v[12:13]
	v_add_co_u32 v42, vcc_lo, s8, v33
	v_add_co_ci_u32_e32 v43, vcc_lo, s9, v34, vcc_lo
	v_add_co_u32 v52, vcc_lo, s8, v40
	v_add_co_ci_u32_e32 v53, vcc_lo, s9, v41, vcc_lo
	s_waitcnt vmcnt(11)
	v_fma_f64 v[40:41], v[48:49], v[56:57], v[100:101]
	v_fma_f64 v[96:97], v[50:51], v[56:57], v[102:103]
	global_load_b128 v[10:13], v[10:11], off
	global_load_b128 v[31:34], v[31:32], off
	s_waitcnt vmcnt(12)
	v_fma_f64 v[21:22], v[60:61], v[56:57], v[21:22]
	s_waitcnt vmcnt(11)
	v_fma_f64 v[14:15], v[66:67], v[56:57], v[14:15]
	v_lshlrev_b64 v[54:55], 4, v[25:26]
	v_add_nc_u32_e32 v25, -8, v23
	s_delay_alu instid0(VALU_DEP_1) | instskip(SKIP_1) | instid1(VALU_DEP_4)
	v_lshlrev_b64 v[102:103], 4, v[25:26]
	v_add_nc_u32_e32 v25, -1, v23
	v_add_co_u32 v54, vcc_lo, s10, v54
	v_add_co_ci_u32_e32 v55, vcc_lo, s11, v55, vcc_lo
	v_fma_f64 v[36:37], v[64:65], v[56:57], v[36:37]
	v_fma_f64 v[100:101], -v[50:51], v[58:59], v[40:41]
	global_load_b128 v[40:43], v[42:43], off
	v_fma_f64 v[96:97], v[48:49], v[58:59], v[96:97]
	v_fma_f64 v[48:49], v[62:63], v[56:57], v[98:99]
	v_fma_f64 v[21:22], -v[62:63], v[58:59], v[21:22]
	v_lshlrev_b64 v[62:63], 4, v[25:26]
	v_fma_f64 v[14:15], v[64:65], v[58:59], v[14:15]
	v_add_nc_u32_e32 v25, -14, v23
	s_delay_alu instid0(VALU_DEP_1) | instskip(SKIP_2) | instid1(VALU_DEP_2)
	v_lshlrev_b64 v[64:65], 4, v[25:26]
	v_add_nc_u32_e32 v25, 6, v35
	v_fma_f64 v[36:37], -v[66:67], v[58:59], v[36:37]
	v_lshlrev_b64 v[66:67], 4, v[25:26]
	v_add_nc_u32_e32 v25, -7, v23
	v_add_nc_u32_e32 v23, 0x54, v23
	s_delay_alu instid0(VALU_DEP_2)
	v_lshlrev_b64 v[24:25], 4, v[25:26]
	s_waitcnt vmcnt(10)
	v_fma_f64 v[100:101], v[68:69], v[72:73], v[100:101]
	v_fma_f64 v[96:97], v[70:71], v[72:73], v[96:97]
	;; [unrolled: 1-line block ×3, first 2 shown]
	v_add_co_u32 v60, vcc_lo, s8, v102
	v_add_co_ci_u32_e32 v61, vcc_lo, s9, v103, vcc_lo
	v_add_co_u32 v62, vcc_lo, s8, v62
	v_add_co_ci_u32_e32 v63, vcc_lo, s9, v63, vcc_lo
	s_clause 0x1
	global_load_b128 v[48:51], v[52:53], off
	global_load_b128 v[56:59], v[60:61], off
	;; [unrolled: 1-line block ×4, first 2 shown]
	s_waitcnt vmcnt(13)
	v_fma_f64 v[21:22], v[76:77], v[72:73], v[21:22]
	v_add_co_u32 v64, vcc_lo, s8, v64
	v_add_co_ci_u32_e32 v65, vcc_lo, s9, v65, vcc_lo
	s_waitcnt vmcnt(12)
	v_fma_f64 v[14:15], v[82:83], v[72:73], v[14:15]
	v_fma_f64 v[100:101], -v[70:71], v[74:75], v[100:101]
	v_fma_f64 v[96:97], v[68:69], v[74:75], v[96:97]
	v_fma_f64 v[70:71], v[78:79], v[72:73], v[98:99]
	v_add_co_u32 v68, vcc_lo, s10, v66
	v_add_co_ci_u32_e32 v69, vcc_lo, s11, v67, vcc_lo
	global_load_b128 v[64:67], v[64:65], off
	v_add_co_u32 v24, vcc_lo, s8, v24
	v_add_co_ci_u32_e32 v25, vcc_lo, s9, v25, vcc_lo
	v_cmp_ge_i32_e32 vcc_lo, v9, v39
	v_fma_f64 v[21:22], -v[78:79], v[74:75], v[21:22]
	s_or_b32 s0, vcc_lo, s0
	v_fma_f64 v[14:15], v[80:81], v[74:75], v[14:15]
	v_fma_f64 v[98:99], v[76:77], v[74:75], v[70:71]
	global_load_b128 v[68:71], v[68:69], off
	global_load_b128 v[76:79], v[24:25], off
	v_fma_f64 v[24:25], v[80:81], v[72:73], v[36:37]
	s_waitcnt vmcnt(13)
	v_fma_f64 v[35:36], v[84:85], v[88:89], v[100:101]
	v_fma_f64 v[72:73], v[86:87], v[88:89], v[96:97]
	s_waitcnt vmcnt(12)
	v_fma_f64 v[21:22], v[92:93], v[88:89], v[21:22]
	s_delay_alu instid0(VALU_DEP_4) | instskip(SKIP_4) | instid1(VALU_DEP_4)
	v_fma_f64 v[24:25], -v[82:83], v[74:75], v[24:25]
	v_fma_f64 v[74:75], v[94:95], v[88:89], v[98:99]
	v_fma_f64 v[35:36], -v[86:87], v[90:91], v[35:36]
	v_fma_f64 v[72:73], v[84:85], v[90:91], v[72:73]
	;; [unrolled: 2-line block ×3, first 2 shown]
	s_waitcnt vmcnt(11)
	v_fma_f64 v[24:25], v[27:28], v[88:89], v[24:25]
	v_fma_f64 v[14:15], v[29:30], v[88:89], v[14:15]
	s_delay_alu instid0(VALU_DEP_2) | instskip(NEXT) | instid1(VALU_DEP_2)
	v_fma_f64 v[24:25], -v[29:30], v[90:91], v[24:25]
	v_fma_f64 v[14:15], v[27:28], v[90:91], v[14:15]
	s_waitcnt vmcnt(9)
	v_fma_f64 v[27:28], v[17:18], v[10:11], v[35:36]
	v_fma_f64 v[29:30], v[19:20], v[10:11], v[72:73]
	s_waitcnt vmcnt(8)
	v_fma_f64 v[21:22], v[31:32], v[10:11], v[21:22]
	;; [unrolled: 3-line block ×3, first 2 shown]
	v_fma_f64 v[10:11], v[42:43], v[10:11], v[14:15]
	v_fma_f64 v[14:15], -v[19:20], v[12:13], v[27:28]
	v_fma_f64 v[16:17], v[17:18], v[12:13], v[29:30]
	v_fma_f64 v[18:19], -v[33:34], v[12:13], v[21:22]
	;; [unrolled: 2-line block ×3, first 2 shown]
	v_fma_f64 v[10:11], v[40:41], v[12:13], v[10:11]
	s_waitcnt vmcnt(4)
	v_fma_f64 v[12:13], v[48:49], v[52:53], v[14:15]
	v_fma_f64 v[14:15], v[50:51], v[52:53], v[16:17]
	;; [unrolled: 1-line block ×4, first 2 shown]
	s_waitcnt vmcnt(3)
	v_fma_f64 v[20:21], v[60:61], v[52:53], v[24:25]
	v_fma_f64 v[10:11], v[62:63], v[52:53], v[10:11]
	v_fma_f64 v[12:13], -v[50:51], v[54:55], v[12:13]
	v_fma_f64 v[14:15], v[48:49], v[54:55], v[14:15]
	v_fma_f64 v[16:17], -v[58:59], v[54:55], v[16:17]
	;; [unrolled: 2-line block ×3, first 2 shown]
	v_fma_f64 v[10:11], v[60:61], v[54:55], v[10:11]
	s_waitcnt vmcnt(1)
	v_fma_f64 v[12:13], v[64:65], v[68:69], v[12:13]
	v_fma_f64 v[14:15], v[66:67], v[68:69], v[14:15]
	s_waitcnt vmcnt(0)
	v_fma_f64 v[16:17], v[76:77], v[68:69], v[16:17]
	v_fma_f64 v[24:25], v[78:79], v[68:69], v[18:19]
	;; [unrolled: 1-line block ×4, first 2 shown]
	v_fma_f64 v[19:20], -v[66:67], v[70:71], v[12:13]
	v_fma_f64 v[11:12], v[64:65], v[70:71], v[14:15]
	v_fma_f64 v[17:18], -v[78:79], v[70:71], v[16:17]
	v_fma_f64 v[21:22], v[76:77], v[70:71], v[24:25]
	;; [unrolled: 2-line block ×3, first 2 shown]
	s_and_not1_b32 exec_lo, exec_lo, s0
	s_cbranch_execnz .LBB136_21
; %bb.22:
	s_or_b32 exec_lo, exec_lo, s0
.LBB136_23:
	s_delay_alu instid0(SALU_CYCLE_1)
	s_or_b32 exec_lo, exec_lo, s1
.LBB136_24:
	v_mbcnt_lo_u32_b32 v33, -1, 0
	s_delay_alu instid0(VALU_DEP_1) | instskip(NEXT) | instid1(VALU_DEP_1)
	v_xor_b32_e32 v9, 2, v33
	v_cmp_gt_i32_e32 vcc_lo, 32, v9
	v_cndmask_b32_e32 v9, v33, v9, vcc_lo
	s_delay_alu instid0(VALU_DEP_1)
	v_lshlrev_b32_e32 v32, 2, v9
	ds_bpermute_b32 v9, v32, v19
	ds_bpermute_b32 v10, v32, v20
	;; [unrolled: 1-line block ×12, first 2 shown]
	s_waitcnt lgkmcnt(10)
	v_add_f64 v[9:10], v[19:20], v[9:10]
	s_waitcnt lgkmcnt(8)
	v_add_f64 v[19:20], v[11:12], v[23:24]
	;; [unrolled: 2-line block ×4, first 2 shown]
	v_xor_b32_e32 v21, 1, v33
	s_waitcnt lgkmcnt(2)
	v_add_f64 v[13:14], v[13:14], v[29:30]
	s_waitcnt lgkmcnt(0)
	v_add_f64 v[15:16], v[15:16], v[31:32]
	v_cmp_gt_i32_e32 vcc_lo, 32, v21
	v_cndmask_b32_e32 v21, v33, v21, vcc_lo
	v_cmp_eq_u32_e32 vcc_lo, 3, v38
	s_delay_alu instid0(VALU_DEP_2)
	v_lshlrev_b32_e32 v24, 2, v21
	ds_bpermute_b32 v31, v24, v9
	ds_bpermute_b32 v32, v24, v10
	;; [unrolled: 1-line block ×12, first 2 shown]
	s_and_b32 exec_lo, exec_lo, vcc_lo
	s_cbranch_execz .LBB136_29
; %bb.25:
	v_cmp_eq_f64_e32 vcc_lo, 0, v[4:5]
	v_cmp_eq_f64_e64 s0, 0, v[6:7]
	s_waitcnt lgkmcnt(10)
	v_add_f64 v[9:10], v[9:10], v[31:32]
	s_waitcnt lgkmcnt(8)
	v_add_f64 v[19:20], v[19:20], v[29:30]
	;; [unrolled: 2-line block ×6, first 2 shown]
	s_load_b64 s[2:3], s[2:3], 0x48
	s_and_b32 s0, vcc_lo, s0
	s_delay_alu instid0(SALU_CYCLE_1) | instskip(NEXT) | instid1(SALU_CYCLE_1)
	s_and_saveexec_b32 s1, s0
	s_xor_b32 s0, exec_lo, s1
	s_cbranch_execz .LBB136_27
; %bb.26:
	v_mul_f64 v[4:5], v[19:20], -v[2:3]
	v_mul_f64 v[6:7], v[0:1], v[19:20]
	v_mul_f64 v[19:20], v[17:18], -v[2:3]
	v_mul_f64 v[17:18], v[0:1], v[17:18]
	;; [unrolled: 2-line block ×3, first 2 shown]
	v_fma_f64 v[4:5], v[0:1], v[9:10], v[4:5]
	v_fma_f64 v[6:7], v[2:3], v[9:10], v[6:7]
	;; [unrolled: 1-line block ×6, first 2 shown]
	v_lshl_add_u32 v13, v8, 1, v8
                                        ; implicit-def: $vgpr8
                                        ; implicit-def: $vgpr19_vgpr20
                                        ; implicit-def: $vgpr17_vgpr18
                                        ; implicit-def: $vgpr15_vgpr16
	s_delay_alu instid0(VALU_DEP_1) | instskip(NEXT) | instid1(VALU_DEP_1)
	v_ashrrev_i32_e32 v14, 31, v13
	v_lshlrev_b64 v[13:14], 4, v[13:14]
	s_waitcnt lgkmcnt(0)
	s_delay_alu instid0(VALU_DEP_1) | instskip(NEXT) | instid1(VALU_DEP_2)
	v_add_co_u32 v13, vcc_lo, s2, v13
	v_add_co_ci_u32_e32 v14, vcc_lo, s3, v14, vcc_lo
	s_clause 0x2
	global_store_b128 v[13:14], v[4:7], off
	global_store_b128 v[13:14], v[9:12], off offset:16
	global_store_b128 v[13:14], v[0:3], off offset:32
                                        ; implicit-def: $vgpr0_vgpr1
                                        ; implicit-def: $vgpr2_vgpr3
                                        ; implicit-def: $vgpr4_vgpr5
                                        ; implicit-def: $vgpr6_vgpr7
                                        ; implicit-def: $vgpr9_vgpr10
                                        ; implicit-def: $vgpr11_vgpr12
                                        ; implicit-def: $vgpr13_vgpr14
.LBB136_27:
	s_and_not1_saveexec_b32 s0, s0
	s_cbranch_execz .LBB136_29
; %bb.28:
	v_lshl_add_u32 v21, v8, 1, v8
	v_mul_f64 v[35:36], v[19:20], -v[2:3]
	v_mul_f64 v[19:20], v[0:1], v[19:20]
	v_mul_f64 v[37:38], v[17:18], -v[2:3]
	v_mul_f64 v[17:18], v[0:1], v[17:18]
	v_ashrrev_i32_e32 v22, 31, v21
	v_mul_f64 v[39:40], v[15:16], -v[2:3]
	v_mul_f64 v[15:16], v[0:1], v[15:16]
	s_delay_alu instid0(VALU_DEP_3) | instskip(SKIP_1) | instid1(VALU_DEP_1)
	v_lshlrev_b64 v[21:22], 4, v[21:22]
	s_waitcnt lgkmcnt(0)
	v_add_co_u32 v33, vcc_lo, s2, v21
	s_delay_alu instid0(VALU_DEP_2)
	v_add_co_ci_u32_e32 v34, vcc_lo, s3, v22, vcc_lo
	s_clause 0x2
	global_load_b128 v[21:24], v[33:34], off
	global_load_b128 v[25:28], v[33:34], off offset:16
	global_load_b128 v[29:32], v[33:34], off offset:32
	v_fma_f64 v[35:36], v[0:1], v[9:10], v[35:36]
	v_fma_f64 v[8:9], v[2:3], v[9:10], v[19:20]
	;; [unrolled: 1-line block ×6, first 2 shown]
	s_waitcnt vmcnt(2)
	v_fma_f64 v[12:13], v[4:5], v[21:22], v[35:36]
	v_fma_f64 v[8:9], v[6:7], v[21:22], v[8:9]
	s_waitcnt vmcnt(1)
	v_fma_f64 v[14:15], v[4:5], v[25:26], v[19:20]
	v_fma_f64 v[10:11], v[6:7], v[25:26], v[10:11]
	;; [unrolled: 3-line block ×3, first 2 shown]
	v_fma_f64 v[0:1], -v[6:7], v[23:24], v[12:13]
	v_fma_f64 v[2:3], v[4:5], v[23:24], v[8:9]
	v_fma_f64 v[8:9], -v[6:7], v[27:28], v[14:15]
	v_fma_f64 v[10:11], v[4:5], v[27:28], v[10:11]
	;; [unrolled: 2-line block ×3, first 2 shown]
	s_clause 0x2
	global_store_b128 v[33:34], v[0:3], off
	global_store_b128 v[33:34], v[8:11], off offset:16
	global_store_b128 v[33:34], v[12:15], off offset:32
.LBB136_29:
	s_nop 0
	s_sendmsg sendmsg(MSG_DEALLOC_VGPRS)
	s_endpgm
	.section	.rodata,"a",@progbits
	.p2align	6, 0x0
	.amdhsa_kernel _ZN9rocsparseL19gebsrmvn_3xn_kernelILj128ELj7ELj4E21rocsparse_complex_numIdEEEvi20rocsparse_direction_NS_24const_host_device_scalarIT2_EEPKiS8_PKS5_SA_S6_PS5_21rocsparse_index_base_b
		.amdhsa_group_segment_fixed_size 2048
		.amdhsa_private_segment_fixed_size 0
		.amdhsa_kernarg_size 88
		.amdhsa_user_sgpr_count 15
		.amdhsa_user_sgpr_dispatch_ptr 1
		.amdhsa_user_sgpr_queue_ptr 0
		.amdhsa_user_sgpr_kernarg_segment_ptr 1
		.amdhsa_user_sgpr_dispatch_id 0
		.amdhsa_user_sgpr_private_segment_size 0
		.amdhsa_wavefront_size32 1
		.amdhsa_uses_dynamic_stack 0
		.amdhsa_enable_private_segment 0
		.amdhsa_system_sgpr_workgroup_id_x 1
		.amdhsa_system_sgpr_workgroup_id_y 0
		.amdhsa_system_sgpr_workgroup_id_z 0
		.amdhsa_system_sgpr_workgroup_info 0
		.amdhsa_system_vgpr_workitem_id 2
		.amdhsa_next_free_vgpr 104
		.amdhsa_next_free_sgpr 18
		.amdhsa_reserve_vcc 1
		.amdhsa_float_round_mode_32 0
		.amdhsa_float_round_mode_16_64 0
		.amdhsa_float_denorm_mode_32 3
		.amdhsa_float_denorm_mode_16_64 3
		.amdhsa_dx10_clamp 1
		.amdhsa_ieee_mode 1
		.amdhsa_fp16_overflow 0
		.amdhsa_workgroup_processor_mode 1
		.amdhsa_memory_ordered 1
		.amdhsa_forward_progress 0
		.amdhsa_shared_vgpr_count 0
		.amdhsa_exception_fp_ieee_invalid_op 0
		.amdhsa_exception_fp_denorm_src 0
		.amdhsa_exception_fp_ieee_div_zero 0
		.amdhsa_exception_fp_ieee_overflow 0
		.amdhsa_exception_fp_ieee_underflow 0
		.amdhsa_exception_fp_ieee_inexact 0
		.amdhsa_exception_int_div_zero 0
	.end_amdhsa_kernel
	.section	.text._ZN9rocsparseL19gebsrmvn_3xn_kernelILj128ELj7ELj4E21rocsparse_complex_numIdEEEvi20rocsparse_direction_NS_24const_host_device_scalarIT2_EEPKiS8_PKS5_SA_S6_PS5_21rocsparse_index_base_b,"axG",@progbits,_ZN9rocsparseL19gebsrmvn_3xn_kernelILj128ELj7ELj4E21rocsparse_complex_numIdEEEvi20rocsparse_direction_NS_24const_host_device_scalarIT2_EEPKiS8_PKS5_SA_S6_PS5_21rocsparse_index_base_b,comdat
.Lfunc_end136:
	.size	_ZN9rocsparseL19gebsrmvn_3xn_kernelILj128ELj7ELj4E21rocsparse_complex_numIdEEEvi20rocsparse_direction_NS_24const_host_device_scalarIT2_EEPKiS8_PKS5_SA_S6_PS5_21rocsparse_index_base_b, .Lfunc_end136-_ZN9rocsparseL19gebsrmvn_3xn_kernelILj128ELj7ELj4E21rocsparse_complex_numIdEEEvi20rocsparse_direction_NS_24const_host_device_scalarIT2_EEPKiS8_PKS5_SA_S6_PS5_21rocsparse_index_base_b
                                        ; -- End function
	.section	.AMDGPU.csdata,"",@progbits
; Kernel info:
; codeLenInByte = 4216
; NumSgprs: 20
; NumVgprs: 104
; ScratchSize: 0
; MemoryBound: 0
; FloatMode: 240
; IeeeMode: 1
; LDSByteSize: 2048 bytes/workgroup (compile time only)
; SGPRBlocks: 2
; VGPRBlocks: 12
; NumSGPRsForWavesPerEU: 20
; NumVGPRsForWavesPerEU: 104
; Occupancy: 12
; WaveLimiterHint : 1
; COMPUTE_PGM_RSRC2:SCRATCH_EN: 0
; COMPUTE_PGM_RSRC2:USER_SGPR: 15
; COMPUTE_PGM_RSRC2:TRAP_HANDLER: 0
; COMPUTE_PGM_RSRC2:TGID_X_EN: 1
; COMPUTE_PGM_RSRC2:TGID_Y_EN: 0
; COMPUTE_PGM_RSRC2:TGID_Z_EN: 0
; COMPUTE_PGM_RSRC2:TIDIG_COMP_CNT: 2
	.section	.text._ZN9rocsparseL19gebsrmvn_3xn_kernelILj128ELj7ELj8E21rocsparse_complex_numIdEEEvi20rocsparse_direction_NS_24const_host_device_scalarIT2_EEPKiS8_PKS5_SA_S6_PS5_21rocsparse_index_base_b,"axG",@progbits,_ZN9rocsparseL19gebsrmvn_3xn_kernelILj128ELj7ELj8E21rocsparse_complex_numIdEEEvi20rocsparse_direction_NS_24const_host_device_scalarIT2_EEPKiS8_PKS5_SA_S6_PS5_21rocsparse_index_base_b,comdat
	.globl	_ZN9rocsparseL19gebsrmvn_3xn_kernelILj128ELj7ELj8E21rocsparse_complex_numIdEEEvi20rocsparse_direction_NS_24const_host_device_scalarIT2_EEPKiS8_PKS5_SA_S6_PS5_21rocsparse_index_base_b ; -- Begin function _ZN9rocsparseL19gebsrmvn_3xn_kernelILj128ELj7ELj8E21rocsparse_complex_numIdEEEvi20rocsparse_direction_NS_24const_host_device_scalarIT2_EEPKiS8_PKS5_SA_S6_PS5_21rocsparse_index_base_b
	.p2align	8
	.type	_ZN9rocsparseL19gebsrmvn_3xn_kernelILj128ELj7ELj8E21rocsparse_complex_numIdEEEvi20rocsparse_direction_NS_24const_host_device_scalarIT2_EEPKiS8_PKS5_SA_S6_PS5_21rocsparse_index_base_b,@function
_ZN9rocsparseL19gebsrmvn_3xn_kernelILj128ELj7ELj8E21rocsparse_complex_numIdEEEvi20rocsparse_direction_NS_24const_host_device_scalarIT2_EEPKiS8_PKS5_SA_S6_PS5_21rocsparse_index_base_b: ; @_ZN9rocsparseL19gebsrmvn_3xn_kernelILj128ELj7ELj8E21rocsparse_complex_numIdEEEvi20rocsparse_direction_NS_24const_host_device_scalarIT2_EEPKiS8_PKS5_SA_S6_PS5_21rocsparse_index_base_b
; %bb.0:
	s_load_b64 s[12:13], s[2:3], 0x50
	s_load_b64 s[16:17], s[0:1], 0x4
	s_load_b128 s[8:11], s[2:3], 0x8
	v_bfe_u32 v1, v0, 10, 10
	s_mov_b64 s[0:1], src_shared_base
	s_load_b128 s[4:7], s[2:3], 0x38
	v_and_b32_e32 v12, 0x3ff, v0
	v_bfe_u32 v0, v0, 20, 10
	s_waitcnt lgkmcnt(0)
	s_bitcmp1_b32 s13, 0
	v_mul_u32_u24_e32 v1, s17, v1
	s_cselect_b32 s0, -1, 0
	s_delay_alu instid0(SALU_CYCLE_1)
	s_and_b32 vcc_lo, s0, exec_lo
	s_cselect_b32 s13, s1, s9
	s_lshr_b32 s14, s16, 16
	v_dual_mov_b32 v2, s4 :: v_dual_mov_b32 v3, s5
	s_mul_i32 s14, s14, s17
	v_mov_b32_e32 v6, s13
	v_mad_u32_u24 v1, s14, v12, v1
	s_delay_alu instid0(VALU_DEP_1) | instskip(SKIP_1) | instid1(VALU_DEP_2)
	v_add_lshl_u32 v4, v1, v0, 3
	v_dual_mov_b32 v0, s8 :: v_dual_mov_b32 v1, s9
	v_add_nc_u32_e32 v5, 0x400, v4
	ds_store_2addr_stride64_b64 v4, v[2:3], v[0:1] offset1:2
	v_dual_mov_b32 v2, s10 :: v_dual_mov_b32 v3, s11
	v_cndmask_b32_e64 v5, s8, v5, s0
	s_xor_b32 s10, s0, -1
	flat_load_b64 v[0:1], v[5:6]
	s_cbranch_vccnz .LBB137_2
; %bb.1:
	v_dual_mov_b32 v2, s8 :: v_dual_mov_b32 v3, s9
	flat_load_b64 v[2:3], v[2:3] offset:8
.LBB137_2:
	s_and_b32 s8, s0, exec_lo
	s_cselect_b32 s1, s1, s5
	v_cndmask_b32_e64 v4, s4, v4, s0
	v_dual_mov_b32 v5, s1 :: v_dual_mov_b32 v6, s6
	v_mov_b32_e32 v7, s7
	s_and_not1_b32 vcc_lo, exec_lo, s10
	flat_load_b64 v[4:5], v[4:5]
	s_cbranch_vccnz .LBB137_4
; %bb.3:
	v_dual_mov_b32 v7, s5 :: v_dual_mov_b32 v6, s4
	flat_load_b64 v[6:7], v[6:7] offset:8
.LBB137_4:
	s_waitcnt vmcnt(1) lgkmcnt(1)
	v_cmp_eq_f64_e32 vcc_lo, 0, v[0:1]
	v_cmp_eq_f64_e64 s0, 0, v[2:3]
	s_delay_alu instid0(VALU_DEP_1)
	s_and_b32 s4, vcc_lo, s0
	s_mov_b32 s0, -1
	s_and_saveexec_b32 s1, s4
	s_cbranch_execz .LBB137_6
; %bb.5:
	s_waitcnt vmcnt(0) lgkmcnt(0)
	v_cmp_neq_f64_e32 vcc_lo, 1.0, v[4:5]
	v_cmp_neq_f64_e64 s0, 0, v[6:7]
	s_delay_alu instid0(VALU_DEP_1) | instskip(NEXT) | instid1(SALU_CYCLE_1)
	s_or_b32 s0, vcc_lo, s0
	s_or_not1_b32 s0, s0, exec_lo
.LBB137_6:
	s_or_b32 exec_lo, exec_lo, s1
	s_and_saveexec_b32 s1, s0
	s_cbranch_execz .LBB137_29
; %bb.7:
	s_load_b64 s[0:1], s[2:3], 0x0
	v_lshrrev_b32_e32 v8, 3, v12
	s_delay_alu instid0(VALU_DEP_1) | instskip(SKIP_1) | instid1(VALU_DEP_1)
	v_lshl_or_b32 v8, s15, 4, v8
	s_waitcnt lgkmcnt(0)
	v_cmp_gt_i32_e32 vcc_lo, s0, v8
	s_and_b32 exec_lo, exec_lo, vcc_lo
	s_cbranch_execz .LBB137_29
; %bb.8:
	s_load_b256 s[4:11], s[2:3], 0x18
	v_ashrrev_i32_e32 v9, 31, v8
	v_and_b32_e32 v38, 7, v12
	s_cmp_lg_u32 s1, 0
	s_delay_alu instid0(VALU_DEP_2) | instskip(SKIP_1) | instid1(VALU_DEP_1)
	v_lshlrev_b64 v[9:10], 2, v[8:9]
	s_waitcnt lgkmcnt(0)
	v_add_co_u32 v9, vcc_lo, s4, v9
	s_delay_alu instid0(VALU_DEP_2) | instskip(SKIP_4) | instid1(VALU_DEP_2)
	v_add_co_ci_u32_e32 v10, vcc_lo, s5, v10, vcc_lo
	global_load_b64 v[10:11], v[9:10], off
	s_waitcnt vmcnt(0)
	v_subrev_nc_u32_e32 v9, s12, v10
	v_subrev_nc_u32_e32 v39, s12, v11
	v_add_nc_u32_e32 v9, v9, v38
	s_delay_alu instid0(VALU_DEP_1)
	v_cmp_lt_i32_e64 s0, v9, v39
	s_cbranch_scc0 .LBB137_16
; %bb.9:
	v_mov_b32_e32 v11, 0
	v_mov_b32_e32 v12, 0
	s_delay_alu instid0(VALU_DEP_1)
	v_dual_mov_b32 v20, v12 :: v_dual_mov_b32 v19, v11
	v_dual_mov_b32 v14, v12 :: v_dual_mov_b32 v13, v11
	v_dual_mov_b32 v16, v12 :: v_dual_mov_b32 v15, v11
	v_dual_mov_b32 v18, v12 :: v_dual_mov_b32 v17, v11
	v_dual_mov_b32 v22, v12 :: v_dual_mov_b32 v21, v11
	s_and_saveexec_b32 s1, s0
	s_cbranch_execz .LBB137_18
; %bb.10:
	v_mul_lo_u32 v10, v10, 21
	v_dual_mov_b32 v11, 0 :: v_dual_mov_b32 v24, 0
	v_dual_mov_b32 v12, 0 :: v_dual_mov_b32 v25, v9
	v_mul_lo_u32 v40, v9, 21
	s_mul_i32 s4, s12, 21
	s_delay_alu instid0(VALU_DEP_2) | instskip(SKIP_4) | instid1(VALU_DEP_4)
	v_dual_mov_b32 v20, v12 :: v_dual_mov_b32 v19, v11
	v_mad_u32_u24 v10, v38, 21, v10
	v_dual_mov_b32 v14, v12 :: v_dual_mov_b32 v13, v11
	v_dual_mov_b32 v16, v12 :: v_dual_mov_b32 v15, v11
	;; [unrolled: 1-line block ×3, first 2 shown]
	v_subrev_nc_u32_e32 v41, s4, v10
	v_dual_mov_b32 v22, v12 :: v_dual_mov_b32 v21, v11
	s_mov_b32 s4, 0
	s_branch .LBB137_12
.LBB137_11:                             ;   in Loop: Header=BB137_12 Depth=1
	v_add_nc_u32_e32 v25, 8, v25
	v_add_nc_u32_e32 v40, 0xa8, v40
	;; [unrolled: 1-line block ×3, first 2 shown]
	s_delay_alu instid0(VALU_DEP_3) | instskip(SKIP_1) | instid1(SALU_CYCLE_1)
	v_cmp_ge_i32_e32 vcc_lo, v25, v39
	s_or_b32 s4, vcc_lo, s4
	s_and_not1_b32 exec_lo, exec_lo, s4
	s_cbranch_execz .LBB137_17
.LBB137_12:                             ; =>This Loop Header: Depth=1
                                        ;     Child Loop BB137_14 Depth 2
	v_ashrrev_i32_e32 v26, 31, v25
	v_dual_mov_b32 v31, v12 :: v_dual_mov_b32 v30, v11
	v_dual_mov_b32 v33, v20 :: v_dual_mov_b32 v32, v19
	s_delay_alu instid0(VALU_DEP_3) | instskip(SKIP_3) | instid1(VALU_DEP_4)
	v_lshlrev_b64 v[26:27], 2, v[25:26]
	v_dual_mov_b32 v29, v14 :: v_dual_mov_b32 v28, v13
	v_dual_mov_b32 v35, v18 :: v_dual_mov_b32 v34, v17
	;; [unrolled: 1-line block ×3, first 2 shown]
	v_add_co_u32 v26, vcc_lo, s6, v26
	v_add_co_ci_u32_e32 v27, vcc_lo, s7, v27, vcc_lo
	s_mov_b32 s5, 0
	global_load_b32 v10, v[26:27], off
	v_dual_mov_b32 v27, v16 :: v_dual_mov_b32 v26, v15
	s_waitcnt vmcnt(0)
	v_subrev_nc_u32_e32 v10, s12, v10
	s_delay_alu instid0(VALU_DEP_1)
	v_mul_lo_u32 v10, v10, 7
	s_branch .LBB137_14
.LBB137_13:                             ;   in Loop: Header=BB137_12 Depth=1
                                        ; implicit-def: $vgpr36_vgpr37
                                        ; implicit-def: $vgpr34_vgpr35
                                        ; implicit-def: $vgpr26_vgpr27
                                        ; implicit-def: $vgpr28_vgpr29
                                        ; implicit-def: $vgpr32_vgpr33
                                        ; implicit-def: $vgpr30_vgpr31
                                        ; implicit-def: $sgpr5
                                        ; implicit-def: $vgpr10
	s_branch .LBB137_11
.LBB137_14:                             ;   Parent Loop BB137_12 Depth=1
                                        ; =>  This Inner Loop Header: Depth=2
	v_add_nc_u32_e32 v23, s5, v41
	v_dual_mov_b32 v11, v24 :: v_dual_add_nc_u32 v42, s5, v40
	s_cmp_eq_u32 s5, 18
	s_delay_alu instid0(VALU_DEP_2) | instskip(NEXT) | instid1(VALU_DEP_2)
	v_lshlrev_b64 v[12:13], 4, v[23:24]
	v_add_nc_u32_e32 v23, 1, v42
	s_delay_alu instid0(VALU_DEP_3) | instskip(NEXT) | instid1(VALU_DEP_2)
	v_lshlrev_b64 v[14:15], 4, v[10:11]
	v_lshlrev_b64 v[16:17], 4, v[23:24]
	v_add_nc_u32_e32 v23, 2, v42
	v_add_co_u32 v11, vcc_lo, s8, v12
	v_add_co_ci_u32_e32 v12, vcc_lo, s9, v13, vcc_lo
	v_add_co_u32 v18, vcc_lo, s10, v14
	s_delay_alu instid0(VALU_DEP_4) | instskip(SKIP_3) | instid1(VALU_DEP_4)
	v_lshlrev_b64 v[20:21], 4, v[23:24]
	v_add_co_ci_u32_e32 v19, vcc_lo, s11, v15, vcc_lo
	v_add_co_u32 v15, vcc_lo, s8, v16
	v_add_co_ci_u32_e32 v16, vcc_lo, s9, v17, vcc_lo
	v_add_co_u32 v20, vcc_lo, s8, v20
	v_add_co_ci_u32_e32 v21, vcc_lo, s9, v21, vcc_lo
	global_load_b128 v[11:14], v[11:12], off
	global_load_b128 v[43:46], v[18:19], off
	s_clause 0x1
	global_load_b128 v[15:18], v[15:16], off
	global_load_b128 v[47:50], v[20:21], off
	s_waitcnt vmcnt(2)
	v_fma_f64 v[19:20], v[11:12], v[43:44], v[32:33]
	v_fma_f64 v[21:22], v[13:14], v[43:44], v[30:31]
	s_waitcnt vmcnt(1)
	v_fma_f64 v[30:31], v[15:16], v[43:44], v[34:35]
	v_fma_f64 v[32:33], v[17:18], v[43:44], v[36:37]
	;; [unrolled: 3-line block ×3, first 2 shown]
	v_fma_f64 v[19:20], -v[13:14], v[45:46], v[19:20]
	v_fma_f64 v[11:12], v[11:12], v[45:46], v[21:22]
	v_fma_f64 v[17:18], -v[17:18], v[45:46], v[30:31]
	v_fma_f64 v[21:22], v[15:16], v[45:46], v[32:33]
	;; [unrolled: 2-line block ×3, first 2 shown]
	s_cbranch_scc1 .LBB137_13
; %bb.15:                               ;   in Loop: Header=BB137_14 Depth=2
	v_add_nc_u32_e32 v23, 3, v42
	s_add_i32 s5, s5, 6
	s_delay_alu instid0(VALU_DEP_1) | instskip(SKIP_2) | instid1(VALU_DEP_2)
	v_lshlrev_b64 v[26:27], 4, v[23:24]
	v_add_nc_u32_e32 v23, 1, v10
	v_add_nc_u32_e32 v10, 2, v10
	v_lshlrev_b64 v[30:31], 4, v[23:24]
	v_add_nc_u32_e32 v23, 4, v42
	v_add_co_u32 v26, vcc_lo, s8, v26
	v_add_co_ci_u32_e32 v27, vcc_lo, s9, v27, vcc_lo
	s_delay_alu instid0(VALU_DEP_3) | instskip(SKIP_3) | instid1(VALU_DEP_3)
	v_lshlrev_b64 v[32:33], 4, v[23:24]
	v_add_nc_u32_e32 v23, 5, v42
	v_add_co_u32 v30, vcc_lo, s10, v30
	v_add_co_ci_u32_e32 v31, vcc_lo, s11, v31, vcc_lo
	v_lshlrev_b64 v[34:35], 4, v[23:24]
	v_add_co_u32 v32, vcc_lo, s8, v32
	v_add_co_ci_u32_e32 v33, vcc_lo, s9, v33, vcc_lo
	global_load_b128 v[26:29], v[26:27], off
	v_add_co_u32 v34, vcc_lo, s8, v34
	v_add_co_ci_u32_e32 v35, vcc_lo, s9, v35, vcc_lo
	global_load_b128 v[42:45], v[30:31], off
	s_clause 0x1
	global_load_b128 v[46:49], v[32:33], off
	global_load_b128 v[50:53], v[34:35], off
	s_waitcnt vmcnt(2)
	v_fma_f64 v[30:31], v[26:27], v[42:43], v[19:20]
	v_fma_f64 v[34:35], v[28:29], v[42:43], v[11:12]
	s_waitcnt vmcnt(1)
	v_fma_f64 v[36:37], v[46:47], v[42:43], v[17:18]
	v_fma_f64 v[54:55], v[48:49], v[42:43], v[21:22]
	;; [unrolled: 3-line block ×3, first 2 shown]
	v_fma_f64 v[32:33], -v[28:29], v[44:45], v[30:31]
	v_fma_f64 v[30:31], v[26:27], v[44:45], v[34:35]
	v_fma_f64 v[34:35], -v[48:49], v[44:45], v[36:37]
	v_fma_f64 v[36:37], v[46:47], v[44:45], v[54:55]
	;; [unrolled: 2-line block ×3, first 2 shown]
	s_cbranch_execnz .LBB137_14
	s_branch .LBB137_11
.LBB137_16:
                                        ; implicit-def: $vgpr11_vgpr12
                                        ; implicit-def: $vgpr19_vgpr20
                                        ; implicit-def: $vgpr13_vgpr14
                                        ; implicit-def: $vgpr15_vgpr16
                                        ; implicit-def: $vgpr17_vgpr18
                                        ; implicit-def: $vgpr21_vgpr22
	s_branch .LBB137_19
.LBB137_17:
	s_or_b32 exec_lo, exec_lo, s4
.LBB137_18:
	s_delay_alu instid0(SALU_CYCLE_1)
	s_or_b32 exec_lo, exec_lo, s1
	s_cbranch_execnz .LBB137_24
.LBB137_19:
	v_mov_b32_e32 v11, 0
	v_mov_b32_e32 v12, 0
	s_delay_alu instid0(VALU_DEP_1)
	v_dual_mov_b32 v20, v12 :: v_dual_mov_b32 v19, v11
	v_dual_mov_b32 v14, v12 :: v_dual_mov_b32 v13, v11
	;; [unrolled: 1-line block ×5, first 2 shown]
	s_and_saveexec_b32 s1, s0
	s_cbranch_execz .LBB137_23
; %bb.20:
	v_dual_mov_b32 v11, 0 :: v_dual_mov_b32 v26, 0
	v_mov_b32_e32 v12, 0
	v_mad_u64_u32 v[23:24], null, v9, 21, 20
	s_mov_b32 s0, 0
	s_delay_alu instid0(VALU_DEP_2)
	v_dual_mov_b32 v20, v12 :: v_dual_mov_b32 v19, v11
	v_dual_mov_b32 v14, v12 :: v_dual_mov_b32 v13, v11
	;; [unrolled: 1-line block ×5, first 2 shown]
.LBB137_21:                             ; =>This Inner Loop Header: Depth=1
	v_ashrrev_i32_e32 v10, 31, v9
	v_dual_mov_b32 v36, v26 :: v_dual_add_nc_u32 v27, -13, v23
	v_dual_mov_b32 v28, v26 :: v_dual_add_nc_u32 v29, -6, v23
	s_delay_alu instid0(VALU_DEP_3) | instskip(SKIP_1) | instid1(VALU_DEP_3)
	v_lshlrev_b64 v[24:25], 2, v[9:10]
	v_add_nc_u32_e32 v9, 8, v9
	v_lshlrev_b64 v[27:28], 4, v[27:28]
	s_delay_alu instid0(VALU_DEP_3) | instskip(NEXT) | instid1(VALU_DEP_4)
	v_add_co_u32 v24, vcc_lo, s6, v24
	v_add_co_ci_u32_e32 v25, vcc_lo, s7, v25, vcc_lo
	global_load_b32 v10, v[24:25], off
	v_subrev_nc_u32_e32 v25, 20, v23
	v_mov_b32_e32 v24, v26
	s_delay_alu instid0(VALU_DEP_2) | instskip(SKIP_1) | instid1(VALU_DEP_3)
	v_lshlrev_b64 v[31:32], 4, v[25:26]
	v_subrev_nc_u32_e32 v25, 19, v23
	v_lshlrev_b64 v[33:34], 4, v[23:24]
	s_delay_alu instid0(VALU_DEP_2) | instskip(NEXT) | instid1(VALU_DEP_4)
	v_lshlrev_b64 v[24:25], 4, v[25:26]
	v_add_co_u32 v31, vcc_lo, s8, v31
	v_add_co_ci_u32_e32 v32, vcc_lo, s9, v32, vcc_lo
	v_add_co_u32 v40, vcc_lo, s8, v27
	v_add_co_ci_u32_e32 v41, vcc_lo, s9, v28, vcc_lo
	s_waitcnt vmcnt(0)
	v_subrev_nc_u32_e32 v10, s12, v10
	s_delay_alu instid0(VALU_DEP_1) | instskip(SKIP_1) | instid1(VALU_DEP_1)
	v_mul_lo_u32 v35, v10, 7
	v_mov_b32_e32 v30, v26
	v_lshlrev_b64 v[29:30], 4, v[29:30]
	s_delay_alu instid0(VALU_DEP_3) | instskip(NEXT) | instid1(VALU_DEP_2)
	v_lshlrev_b64 v[36:37], 4, v[35:36]
	v_add_co_u32 v42, vcc_lo, s8, v29
	s_delay_alu instid0(VALU_DEP_3)
	v_add_co_ci_u32_e32 v43, vcc_lo, s9, v30, vcc_lo
	v_add_co_u32 v44, vcc_lo, s8, v33
	v_add_co_ci_u32_e32 v45, vcc_lo, s9, v34, vcc_lo
	v_add_co_u32 v24, vcc_lo, s8, v24
	;; [unrolled: 2-line block ×3, first 2 shown]
	v_add_co_ci_u32_e32 v37, vcc_lo, s11, v37, vcc_lo
	s_clause 0x4
	global_load_b128 v[27:30], v[31:32], off
	global_load_b128 v[31:34], v[40:41], off
	;; [unrolled: 1-line block ×5, first 2 shown]
	v_add_nc_u32_e32 v25, 1, v35
	global_load_b128 v[52:55], v[36:37], off
	v_lshlrev_b64 v[56:57], 4, v[25:26]
	v_add_nc_u32_e32 v25, -12, v23
	s_delay_alu instid0(VALU_DEP_2) | instskip(NEXT) | instid1(VALU_DEP_3)
	v_add_co_u32 v36, vcc_lo, s10, v56
	v_add_co_ci_u32_e32 v37, vcc_lo, s11, v57, vcc_lo
	s_delay_alu instid0(VALU_DEP_3)
	v_lshlrev_b64 v[60:61], 4, v[25:26]
	v_add_nc_u32_e32 v25, -5, v23
	global_load_b128 v[56:59], v[36:37], off
	v_add_co_u32 v36, vcc_lo, s8, v60
	v_add_co_ci_u32_e32 v37, vcc_lo, s9, v61, vcc_lo
	v_lshlrev_b64 v[64:65], 4, v[25:26]
	v_subrev_nc_u32_e32 v25, 18, v23
	global_load_b128 v[60:63], v[36:37], off
	v_add_co_u32 v36, vcc_lo, s8, v64
	v_add_co_ci_u32_e32 v37, vcc_lo, s9, v65, vcc_lo
	v_lshlrev_b64 v[68:69], 4, v[25:26]
	v_add_nc_u32_e32 v25, 2, v35
	global_load_b128 v[64:67], v[36:37], off
	v_add_co_u32 v36, vcc_lo, s8, v68
	v_lshlrev_b64 v[72:73], 4, v[25:26]
	v_add_nc_u32_e32 v25, -11, v23
	v_add_co_ci_u32_e32 v37, vcc_lo, s9, v69, vcc_lo
	s_delay_alu instid0(VALU_DEP_2)
	v_lshlrev_b64 v[74:75], 4, v[25:26]
	global_load_b128 v[68:71], v[36:37], off
	v_add_co_u32 v36, vcc_lo, s10, v72
	v_add_co_ci_u32_e32 v37, vcc_lo, s11, v73, vcc_lo
	v_add_co_u32 v76, vcc_lo, s8, v74
	v_add_co_ci_u32_e32 v77, vcc_lo, s9, v75, vcc_lo
	global_load_b128 v[72:75], v[36:37], off
	v_add_nc_u32_e32 v25, -4, v23
	global_load_b128 v[76:79], v[76:77], off
	v_lshlrev_b64 v[80:81], 4, v[25:26]
	v_subrev_nc_u32_e32 v25, 17, v23
	s_delay_alu instid0(VALU_DEP_2) | instskip(NEXT) | instid1(VALU_DEP_3)
	v_add_co_u32 v80, vcc_lo, s8, v80
	v_add_co_ci_u32_e32 v81, vcc_lo, s9, v81, vcc_lo
	s_delay_alu instid0(VALU_DEP_3)
	v_lshlrev_b64 v[36:37], 4, v[25:26]
	v_add_nc_u32_e32 v25, 3, v35
	global_load_b128 v[80:83], v[80:81], off
	v_lshlrev_b64 v[88:89], 4, v[25:26]
	v_add_nc_u32_e32 v25, -10, v23
	v_add_co_u32 v36, vcc_lo, s8, v36
	v_add_co_ci_u32_e32 v37, vcc_lo, s9, v37, vcc_lo
	s_delay_alu instid0(VALU_DEP_3)
	v_lshlrev_b64 v[90:91], 4, v[25:26]
	v_add_nc_u32_e32 v25, -3, v23
	global_load_b128 v[84:87], v[36:37], off
	v_add_co_u32 v36, vcc_lo, s10, v88
	v_lshlrev_b64 v[92:93], 4, v[25:26]
	v_add_co_ci_u32_e32 v37, vcc_lo, s11, v89, vcc_lo
	v_add_co_u32 v94, vcc_lo, s8, v90
	v_add_co_ci_u32_e32 v95, vcc_lo, s9, v91, vcc_lo
	s_delay_alu instid0(VALU_DEP_4) | instskip(SKIP_4) | instid1(VALU_DEP_1)
	v_add_co_u32 v96, vcc_lo, s8, v92
	v_add_co_ci_u32_e32 v97, vcc_lo, s9, v93, vcc_lo
	global_load_b128 v[88:91], v[36:37], off
	global_load_b128 v[92:95], v[94:95], off
	v_add_nc_u32_e32 v25, -16, v23
	v_lshlrev_b64 v[36:37], 4, v[25:26]
	v_add_nc_u32_e32 v25, 4, v35
	s_delay_alu instid0(VALU_DEP_1) | instskip(SKIP_1) | instid1(VALU_DEP_4)
	v_lshlrev_b64 v[98:99], 4, v[25:26]
	v_add_nc_u32_e32 v25, -9, v23
	v_add_co_u32 v36, vcc_lo, s8, v36
	v_add_co_ci_u32_e32 v37, vcc_lo, s9, v37, vcc_lo
	s_waitcnt vmcnt(10)
	v_fma_f64 v[19:20], v[27:28], v[52:53], v[19:20]
	v_fma_f64 v[10:11], v[29:30], v[52:53], v[11:12]
	;; [unrolled: 1-line block ×5, first 2 shown]
	v_fma_f64 v[100:101], -v[29:30], v[54:55], v[19:20]
	v_fma_f64 v[19:20], v[33:34], v[52:53], v[21:22]
	v_fma_f64 v[102:103], v[27:28], v[54:55], v[10:11]
	global_load_b128 v[27:30], v[96:97], off
	v_lshlrev_b64 v[96:97], 4, v[25:26]
	v_add_nc_u32_e32 v25, -2, v23
	v_fma_f64 v[21:22], -v[33:34], v[54:55], v[17:18]
	v_add_co_u32 v10, vcc_lo, s10, v98
	v_add_co_ci_u32_e32 v11, vcc_lo, s11, v99, vcc_lo
	s_delay_alu instid0(VALU_DEP_4) | instskip(SKIP_2) | instid1(VALU_DEP_2)
	v_lshlrev_b64 v[33:34], 4, v[25:26]
	v_add_nc_u32_e32 v25, -15, v23
	v_fma_f64 v[14:15], v[40:41], v[54:55], v[14:15]
	v_lshlrev_b64 v[40:41], 4, v[25:26]
	v_add_nc_u32_e32 v25, 5, v35
	v_fma_f64 v[98:99], v[31:32], v[54:55], v[19:20]
	v_add_co_u32 v31, vcc_lo, s8, v96
	v_add_co_ci_u32_e32 v32, vcc_lo, s9, v97, vcc_lo
	global_load_b128 v[17:20], v[36:37], off
	v_fma_f64 v[36:37], -v[42:43], v[54:55], v[12:13]
	v_add_co_u32 v42, vcc_lo, s8, v33
	v_add_co_ci_u32_e32 v43, vcc_lo, s9, v34, vcc_lo
	v_add_co_u32 v52, vcc_lo, s8, v40
	v_add_co_ci_u32_e32 v53, vcc_lo, s9, v41, vcc_lo
	s_waitcnt vmcnt(11)
	v_fma_f64 v[40:41], v[48:49], v[56:57], v[100:101]
	v_fma_f64 v[96:97], v[50:51], v[56:57], v[102:103]
	global_load_b128 v[10:13], v[10:11], off
	global_load_b128 v[31:34], v[31:32], off
	s_waitcnt vmcnt(12)
	v_fma_f64 v[21:22], v[60:61], v[56:57], v[21:22]
	s_waitcnt vmcnt(11)
	v_fma_f64 v[14:15], v[66:67], v[56:57], v[14:15]
	v_lshlrev_b64 v[54:55], 4, v[25:26]
	v_add_nc_u32_e32 v25, -8, v23
	s_delay_alu instid0(VALU_DEP_1) | instskip(SKIP_1) | instid1(VALU_DEP_4)
	v_lshlrev_b64 v[102:103], 4, v[25:26]
	v_add_nc_u32_e32 v25, -1, v23
	v_add_co_u32 v54, vcc_lo, s10, v54
	v_add_co_ci_u32_e32 v55, vcc_lo, s11, v55, vcc_lo
	v_fma_f64 v[36:37], v[64:65], v[56:57], v[36:37]
	v_fma_f64 v[100:101], -v[50:51], v[58:59], v[40:41]
	global_load_b128 v[40:43], v[42:43], off
	v_fma_f64 v[96:97], v[48:49], v[58:59], v[96:97]
	v_fma_f64 v[48:49], v[62:63], v[56:57], v[98:99]
	v_fma_f64 v[21:22], -v[62:63], v[58:59], v[21:22]
	v_lshlrev_b64 v[62:63], 4, v[25:26]
	v_fma_f64 v[14:15], v[64:65], v[58:59], v[14:15]
	v_add_nc_u32_e32 v25, -14, v23
	s_delay_alu instid0(VALU_DEP_1) | instskip(SKIP_2) | instid1(VALU_DEP_2)
	v_lshlrev_b64 v[64:65], 4, v[25:26]
	v_add_nc_u32_e32 v25, 6, v35
	v_fma_f64 v[36:37], -v[66:67], v[58:59], v[36:37]
	v_lshlrev_b64 v[66:67], 4, v[25:26]
	v_add_nc_u32_e32 v25, -7, v23
	v_add_nc_u32_e32 v23, 0xa8, v23
	s_delay_alu instid0(VALU_DEP_2)
	v_lshlrev_b64 v[24:25], 4, v[25:26]
	s_waitcnt vmcnt(10)
	v_fma_f64 v[100:101], v[68:69], v[72:73], v[100:101]
	v_fma_f64 v[96:97], v[70:71], v[72:73], v[96:97]
	;; [unrolled: 1-line block ×3, first 2 shown]
	v_add_co_u32 v60, vcc_lo, s8, v102
	v_add_co_ci_u32_e32 v61, vcc_lo, s9, v103, vcc_lo
	v_add_co_u32 v62, vcc_lo, s8, v62
	v_add_co_ci_u32_e32 v63, vcc_lo, s9, v63, vcc_lo
	s_clause 0x1
	global_load_b128 v[48:51], v[52:53], off
	global_load_b128 v[56:59], v[60:61], off
	;; [unrolled: 1-line block ×4, first 2 shown]
	s_waitcnt vmcnt(13)
	v_fma_f64 v[21:22], v[76:77], v[72:73], v[21:22]
	v_add_co_u32 v64, vcc_lo, s8, v64
	v_add_co_ci_u32_e32 v65, vcc_lo, s9, v65, vcc_lo
	s_waitcnt vmcnt(12)
	v_fma_f64 v[14:15], v[82:83], v[72:73], v[14:15]
	v_fma_f64 v[100:101], -v[70:71], v[74:75], v[100:101]
	v_fma_f64 v[96:97], v[68:69], v[74:75], v[96:97]
	v_fma_f64 v[70:71], v[78:79], v[72:73], v[98:99]
	v_add_co_u32 v68, vcc_lo, s10, v66
	v_add_co_ci_u32_e32 v69, vcc_lo, s11, v67, vcc_lo
	global_load_b128 v[64:67], v[64:65], off
	v_add_co_u32 v24, vcc_lo, s8, v24
	v_add_co_ci_u32_e32 v25, vcc_lo, s9, v25, vcc_lo
	v_cmp_ge_i32_e32 vcc_lo, v9, v39
	v_fma_f64 v[21:22], -v[78:79], v[74:75], v[21:22]
	s_or_b32 s0, vcc_lo, s0
	v_fma_f64 v[14:15], v[80:81], v[74:75], v[14:15]
	v_fma_f64 v[98:99], v[76:77], v[74:75], v[70:71]
	global_load_b128 v[68:71], v[68:69], off
	global_load_b128 v[76:79], v[24:25], off
	v_fma_f64 v[24:25], v[80:81], v[72:73], v[36:37]
	s_waitcnt vmcnt(13)
	v_fma_f64 v[35:36], v[84:85], v[88:89], v[100:101]
	v_fma_f64 v[72:73], v[86:87], v[88:89], v[96:97]
	s_waitcnt vmcnt(12)
	v_fma_f64 v[21:22], v[92:93], v[88:89], v[21:22]
	s_delay_alu instid0(VALU_DEP_4) | instskip(SKIP_4) | instid1(VALU_DEP_4)
	v_fma_f64 v[24:25], -v[82:83], v[74:75], v[24:25]
	v_fma_f64 v[74:75], v[94:95], v[88:89], v[98:99]
	v_fma_f64 v[35:36], -v[86:87], v[90:91], v[35:36]
	v_fma_f64 v[72:73], v[84:85], v[90:91], v[72:73]
	;; [unrolled: 2-line block ×3, first 2 shown]
	s_waitcnt vmcnt(11)
	v_fma_f64 v[24:25], v[27:28], v[88:89], v[24:25]
	v_fma_f64 v[14:15], v[29:30], v[88:89], v[14:15]
	s_delay_alu instid0(VALU_DEP_2) | instskip(NEXT) | instid1(VALU_DEP_2)
	v_fma_f64 v[24:25], -v[29:30], v[90:91], v[24:25]
	v_fma_f64 v[14:15], v[27:28], v[90:91], v[14:15]
	s_waitcnt vmcnt(9)
	v_fma_f64 v[27:28], v[17:18], v[10:11], v[35:36]
	v_fma_f64 v[29:30], v[19:20], v[10:11], v[72:73]
	s_waitcnt vmcnt(8)
	v_fma_f64 v[21:22], v[31:32], v[10:11], v[21:22]
	;; [unrolled: 3-line block ×3, first 2 shown]
	v_fma_f64 v[10:11], v[42:43], v[10:11], v[14:15]
	v_fma_f64 v[14:15], -v[19:20], v[12:13], v[27:28]
	v_fma_f64 v[16:17], v[17:18], v[12:13], v[29:30]
	v_fma_f64 v[18:19], -v[33:34], v[12:13], v[21:22]
	;; [unrolled: 2-line block ×3, first 2 shown]
	v_fma_f64 v[10:11], v[40:41], v[12:13], v[10:11]
	s_waitcnt vmcnt(4)
	v_fma_f64 v[12:13], v[48:49], v[52:53], v[14:15]
	v_fma_f64 v[14:15], v[50:51], v[52:53], v[16:17]
	;; [unrolled: 1-line block ×4, first 2 shown]
	s_waitcnt vmcnt(3)
	v_fma_f64 v[20:21], v[60:61], v[52:53], v[24:25]
	v_fma_f64 v[10:11], v[62:63], v[52:53], v[10:11]
	v_fma_f64 v[12:13], -v[50:51], v[54:55], v[12:13]
	v_fma_f64 v[14:15], v[48:49], v[54:55], v[14:15]
	v_fma_f64 v[16:17], -v[58:59], v[54:55], v[16:17]
	;; [unrolled: 2-line block ×3, first 2 shown]
	v_fma_f64 v[10:11], v[60:61], v[54:55], v[10:11]
	s_waitcnt vmcnt(1)
	v_fma_f64 v[12:13], v[64:65], v[68:69], v[12:13]
	v_fma_f64 v[14:15], v[66:67], v[68:69], v[14:15]
	s_waitcnt vmcnt(0)
	v_fma_f64 v[16:17], v[76:77], v[68:69], v[16:17]
	v_fma_f64 v[24:25], v[78:79], v[68:69], v[18:19]
	;; [unrolled: 1-line block ×4, first 2 shown]
	v_fma_f64 v[19:20], -v[66:67], v[70:71], v[12:13]
	v_fma_f64 v[11:12], v[64:65], v[70:71], v[14:15]
	v_fma_f64 v[17:18], -v[78:79], v[70:71], v[16:17]
	v_fma_f64 v[21:22], v[76:77], v[70:71], v[24:25]
	;; [unrolled: 2-line block ×3, first 2 shown]
	s_and_not1_b32 exec_lo, exec_lo, s0
	s_cbranch_execnz .LBB137_21
; %bb.22:
	s_or_b32 exec_lo, exec_lo, s0
.LBB137_23:
	s_delay_alu instid0(SALU_CYCLE_1)
	s_or_b32 exec_lo, exec_lo, s1
.LBB137_24:
	v_mbcnt_lo_u32_b32 v33, -1, 0
	s_delay_alu instid0(VALU_DEP_1) | instskip(NEXT) | instid1(VALU_DEP_1)
	v_xor_b32_e32 v9, 4, v33
	v_cmp_gt_i32_e32 vcc_lo, 32, v9
	v_cndmask_b32_e32 v9, v33, v9, vcc_lo
	s_delay_alu instid0(VALU_DEP_1)
	v_lshlrev_b32_e32 v32, 2, v9
	ds_bpermute_b32 v9, v32, v19
	ds_bpermute_b32 v10, v32, v20
	s_waitcnt lgkmcnt(0)
	v_add_f64 v[9:10], v[19:20], v[9:10]
	v_xor_b32_e32 v19, 2, v33
	s_delay_alu instid0(VALU_DEP_1)
	v_cmp_gt_i32_e32 vcc_lo, 32, v19
	v_cndmask_b32_e32 v19, v33, v19, vcc_lo
	ds_bpermute_b32 v23, v32, v11
	ds_bpermute_b32 v24, v32, v12
	;; [unrolled: 1-line block ×10, first 2 shown]
	s_waitcnt lgkmcnt(8)
	v_add_f64 v[11:12], v[11:12], v[23:24]
	s_waitcnt lgkmcnt(6)
	v_add_f64 v[17:18], v[17:18], v[25:26]
	;; [unrolled: 2-line block ×5, first 2 shown]
	v_lshlrev_b32_e32 v32, 2, v19
	ds_bpermute_b32 v19, v32, v9
	ds_bpermute_b32 v20, v32, v10
	s_waitcnt lgkmcnt(0)
	v_add_f64 v[9:10], v[9:10], v[19:20]
	ds_bpermute_b32 v23, v32, v11
	ds_bpermute_b32 v24, v32, v12
	;; [unrolled: 1-line block ×10, first 2 shown]
	s_waitcnt lgkmcnt(8)
	v_add_f64 v[19:20], v[11:12], v[23:24]
	s_waitcnt lgkmcnt(6)
	v_add_f64 v[11:12], v[17:18], v[25:26]
	;; [unrolled: 2-line block ×3, first 2 shown]
	v_xor_b32_e32 v21, 1, v33
	s_waitcnt lgkmcnt(2)
	v_add_f64 v[13:14], v[13:14], v[29:30]
	s_waitcnt lgkmcnt(0)
	v_add_f64 v[15:16], v[15:16], v[31:32]
	v_cmp_gt_i32_e32 vcc_lo, 32, v21
	v_cndmask_b32_e32 v21, v33, v21, vcc_lo
	v_cmp_eq_u32_e32 vcc_lo, 7, v38
	s_delay_alu instid0(VALU_DEP_2)
	v_lshlrev_b32_e32 v24, 2, v21
	ds_bpermute_b32 v31, v24, v9
	ds_bpermute_b32 v32, v24, v10
	;; [unrolled: 1-line block ×12, first 2 shown]
	s_and_b32 exec_lo, exec_lo, vcc_lo
	s_cbranch_execz .LBB137_29
; %bb.25:
	v_cmp_eq_f64_e32 vcc_lo, 0, v[4:5]
	v_cmp_eq_f64_e64 s0, 0, v[6:7]
	s_waitcnt lgkmcnt(10)
	v_add_f64 v[9:10], v[9:10], v[31:32]
	s_waitcnt lgkmcnt(8)
	v_add_f64 v[19:20], v[19:20], v[29:30]
	;; [unrolled: 2-line block ×6, first 2 shown]
	s_load_b64 s[2:3], s[2:3], 0x48
	s_and_b32 s0, vcc_lo, s0
	s_delay_alu instid0(SALU_CYCLE_1) | instskip(NEXT) | instid1(SALU_CYCLE_1)
	s_and_saveexec_b32 s1, s0
	s_xor_b32 s0, exec_lo, s1
	s_cbranch_execz .LBB137_27
; %bb.26:
	v_mul_f64 v[4:5], v[19:20], -v[2:3]
	v_mul_f64 v[6:7], v[0:1], v[19:20]
	v_mul_f64 v[19:20], v[17:18], -v[2:3]
	v_mul_f64 v[17:18], v[0:1], v[17:18]
	v_mul_f64 v[21:22], v[15:16], -v[2:3]
	v_mul_f64 v[15:16], v[0:1], v[15:16]
	v_fma_f64 v[4:5], v[0:1], v[9:10], v[4:5]
	v_fma_f64 v[6:7], v[2:3], v[9:10], v[6:7]
	v_fma_f64 v[9:10], v[0:1], v[11:12], v[19:20]
	v_fma_f64 v[11:12], v[2:3], v[11:12], v[17:18]
	v_fma_f64 v[0:1], v[0:1], v[13:14], v[21:22]
	v_fma_f64 v[2:3], v[2:3], v[13:14], v[15:16]
	v_lshl_add_u32 v13, v8, 1, v8
                                        ; implicit-def: $vgpr8
                                        ; implicit-def: $vgpr19_vgpr20
                                        ; implicit-def: $vgpr17_vgpr18
                                        ; implicit-def: $vgpr15_vgpr16
	s_delay_alu instid0(VALU_DEP_1) | instskip(NEXT) | instid1(VALU_DEP_1)
	v_ashrrev_i32_e32 v14, 31, v13
	v_lshlrev_b64 v[13:14], 4, v[13:14]
	s_waitcnt lgkmcnt(0)
	s_delay_alu instid0(VALU_DEP_1) | instskip(NEXT) | instid1(VALU_DEP_2)
	v_add_co_u32 v13, vcc_lo, s2, v13
	v_add_co_ci_u32_e32 v14, vcc_lo, s3, v14, vcc_lo
	s_clause 0x2
	global_store_b128 v[13:14], v[4:7], off
	global_store_b128 v[13:14], v[9:12], off offset:16
	global_store_b128 v[13:14], v[0:3], off offset:32
                                        ; implicit-def: $vgpr0_vgpr1
                                        ; implicit-def: $vgpr2_vgpr3
                                        ; implicit-def: $vgpr4_vgpr5
                                        ; implicit-def: $vgpr6_vgpr7
                                        ; implicit-def: $vgpr9_vgpr10
                                        ; implicit-def: $vgpr11_vgpr12
                                        ; implicit-def: $vgpr13_vgpr14
.LBB137_27:
	s_and_not1_saveexec_b32 s0, s0
	s_cbranch_execz .LBB137_29
; %bb.28:
	v_lshl_add_u32 v21, v8, 1, v8
	v_mul_f64 v[35:36], v[19:20], -v[2:3]
	v_mul_f64 v[19:20], v[0:1], v[19:20]
	v_mul_f64 v[37:38], v[17:18], -v[2:3]
	v_mul_f64 v[17:18], v[0:1], v[17:18]
	v_ashrrev_i32_e32 v22, 31, v21
	v_mul_f64 v[39:40], v[15:16], -v[2:3]
	v_mul_f64 v[15:16], v[0:1], v[15:16]
	s_delay_alu instid0(VALU_DEP_3) | instskip(SKIP_1) | instid1(VALU_DEP_1)
	v_lshlrev_b64 v[21:22], 4, v[21:22]
	s_waitcnt lgkmcnt(0)
	v_add_co_u32 v33, vcc_lo, s2, v21
	s_delay_alu instid0(VALU_DEP_2)
	v_add_co_ci_u32_e32 v34, vcc_lo, s3, v22, vcc_lo
	s_clause 0x2
	global_load_b128 v[21:24], v[33:34], off
	global_load_b128 v[25:28], v[33:34], off offset:16
	global_load_b128 v[29:32], v[33:34], off offset:32
	v_fma_f64 v[35:36], v[0:1], v[9:10], v[35:36]
	v_fma_f64 v[8:9], v[2:3], v[9:10], v[19:20]
	;; [unrolled: 1-line block ×6, first 2 shown]
	s_waitcnt vmcnt(2)
	v_fma_f64 v[12:13], v[4:5], v[21:22], v[35:36]
	v_fma_f64 v[8:9], v[6:7], v[21:22], v[8:9]
	s_waitcnt vmcnt(1)
	v_fma_f64 v[14:15], v[4:5], v[25:26], v[19:20]
	v_fma_f64 v[10:11], v[6:7], v[25:26], v[10:11]
	;; [unrolled: 3-line block ×3, first 2 shown]
	v_fma_f64 v[0:1], -v[6:7], v[23:24], v[12:13]
	v_fma_f64 v[2:3], v[4:5], v[23:24], v[8:9]
	v_fma_f64 v[8:9], -v[6:7], v[27:28], v[14:15]
	v_fma_f64 v[10:11], v[4:5], v[27:28], v[10:11]
	;; [unrolled: 2-line block ×3, first 2 shown]
	s_clause 0x2
	global_store_b128 v[33:34], v[0:3], off
	global_store_b128 v[33:34], v[8:11], off offset:16
	global_store_b128 v[33:34], v[12:15], off offset:32
.LBB137_29:
	s_nop 0
	s_sendmsg sendmsg(MSG_DEALLOC_VGPRS)
	s_endpgm
	.section	.rodata,"a",@progbits
	.p2align	6, 0x0
	.amdhsa_kernel _ZN9rocsparseL19gebsrmvn_3xn_kernelILj128ELj7ELj8E21rocsparse_complex_numIdEEEvi20rocsparse_direction_NS_24const_host_device_scalarIT2_EEPKiS8_PKS5_SA_S6_PS5_21rocsparse_index_base_b
		.amdhsa_group_segment_fixed_size 2048
		.amdhsa_private_segment_fixed_size 0
		.amdhsa_kernarg_size 88
		.amdhsa_user_sgpr_count 15
		.amdhsa_user_sgpr_dispatch_ptr 1
		.amdhsa_user_sgpr_queue_ptr 0
		.amdhsa_user_sgpr_kernarg_segment_ptr 1
		.amdhsa_user_sgpr_dispatch_id 0
		.amdhsa_user_sgpr_private_segment_size 0
		.amdhsa_wavefront_size32 1
		.amdhsa_uses_dynamic_stack 0
		.amdhsa_enable_private_segment 0
		.amdhsa_system_sgpr_workgroup_id_x 1
		.amdhsa_system_sgpr_workgroup_id_y 0
		.amdhsa_system_sgpr_workgroup_id_z 0
		.amdhsa_system_sgpr_workgroup_info 0
		.amdhsa_system_vgpr_workitem_id 2
		.amdhsa_next_free_vgpr 104
		.amdhsa_next_free_sgpr 18
		.amdhsa_reserve_vcc 1
		.amdhsa_float_round_mode_32 0
		.amdhsa_float_round_mode_16_64 0
		.amdhsa_float_denorm_mode_32 3
		.amdhsa_float_denorm_mode_16_64 3
		.amdhsa_dx10_clamp 1
		.amdhsa_ieee_mode 1
		.amdhsa_fp16_overflow 0
		.amdhsa_workgroup_processor_mode 1
		.amdhsa_memory_ordered 1
		.amdhsa_forward_progress 0
		.amdhsa_shared_vgpr_count 0
		.amdhsa_exception_fp_ieee_invalid_op 0
		.amdhsa_exception_fp_denorm_src 0
		.amdhsa_exception_fp_ieee_div_zero 0
		.amdhsa_exception_fp_ieee_overflow 0
		.amdhsa_exception_fp_ieee_underflow 0
		.amdhsa_exception_fp_ieee_inexact 0
		.amdhsa_exception_int_div_zero 0
	.end_amdhsa_kernel
	.section	.text._ZN9rocsparseL19gebsrmvn_3xn_kernelILj128ELj7ELj8E21rocsparse_complex_numIdEEEvi20rocsparse_direction_NS_24const_host_device_scalarIT2_EEPKiS8_PKS5_SA_S6_PS5_21rocsparse_index_base_b,"axG",@progbits,_ZN9rocsparseL19gebsrmvn_3xn_kernelILj128ELj7ELj8E21rocsparse_complex_numIdEEEvi20rocsparse_direction_NS_24const_host_device_scalarIT2_EEPKiS8_PKS5_SA_S6_PS5_21rocsparse_index_base_b,comdat
.Lfunc_end137:
	.size	_ZN9rocsparseL19gebsrmvn_3xn_kernelILj128ELj7ELj8E21rocsparse_complex_numIdEEEvi20rocsparse_direction_NS_24const_host_device_scalarIT2_EEPKiS8_PKS5_SA_S6_PS5_21rocsparse_index_base_b, .Lfunc_end137-_ZN9rocsparseL19gebsrmvn_3xn_kernelILj128ELj7ELj8E21rocsparse_complex_numIdEEEvi20rocsparse_direction_NS_24const_host_device_scalarIT2_EEPKiS8_PKS5_SA_S6_PS5_21rocsparse_index_base_b
                                        ; -- End function
	.section	.AMDGPU.csdata,"",@progbits
; Kernel info:
; codeLenInByte = 4404
; NumSgprs: 20
; NumVgprs: 104
; ScratchSize: 0
; MemoryBound: 0
; FloatMode: 240
; IeeeMode: 1
; LDSByteSize: 2048 bytes/workgroup (compile time only)
; SGPRBlocks: 2
; VGPRBlocks: 12
; NumSGPRsForWavesPerEU: 20
; NumVGPRsForWavesPerEU: 104
; Occupancy: 12
; WaveLimiterHint : 1
; COMPUTE_PGM_RSRC2:SCRATCH_EN: 0
; COMPUTE_PGM_RSRC2:USER_SGPR: 15
; COMPUTE_PGM_RSRC2:TRAP_HANDLER: 0
; COMPUTE_PGM_RSRC2:TGID_X_EN: 1
; COMPUTE_PGM_RSRC2:TGID_Y_EN: 0
; COMPUTE_PGM_RSRC2:TGID_Z_EN: 0
; COMPUTE_PGM_RSRC2:TIDIG_COMP_CNT: 2
	.section	.text._ZN9rocsparseL19gebsrmvn_3xn_kernelILj128ELj7ELj16E21rocsparse_complex_numIdEEEvi20rocsparse_direction_NS_24const_host_device_scalarIT2_EEPKiS8_PKS5_SA_S6_PS5_21rocsparse_index_base_b,"axG",@progbits,_ZN9rocsparseL19gebsrmvn_3xn_kernelILj128ELj7ELj16E21rocsparse_complex_numIdEEEvi20rocsparse_direction_NS_24const_host_device_scalarIT2_EEPKiS8_PKS5_SA_S6_PS5_21rocsparse_index_base_b,comdat
	.globl	_ZN9rocsparseL19gebsrmvn_3xn_kernelILj128ELj7ELj16E21rocsparse_complex_numIdEEEvi20rocsparse_direction_NS_24const_host_device_scalarIT2_EEPKiS8_PKS5_SA_S6_PS5_21rocsparse_index_base_b ; -- Begin function _ZN9rocsparseL19gebsrmvn_3xn_kernelILj128ELj7ELj16E21rocsparse_complex_numIdEEEvi20rocsparse_direction_NS_24const_host_device_scalarIT2_EEPKiS8_PKS5_SA_S6_PS5_21rocsparse_index_base_b
	.p2align	8
	.type	_ZN9rocsparseL19gebsrmvn_3xn_kernelILj128ELj7ELj16E21rocsparse_complex_numIdEEEvi20rocsparse_direction_NS_24const_host_device_scalarIT2_EEPKiS8_PKS5_SA_S6_PS5_21rocsparse_index_base_b,@function
_ZN9rocsparseL19gebsrmvn_3xn_kernelILj128ELj7ELj16E21rocsparse_complex_numIdEEEvi20rocsparse_direction_NS_24const_host_device_scalarIT2_EEPKiS8_PKS5_SA_S6_PS5_21rocsparse_index_base_b: ; @_ZN9rocsparseL19gebsrmvn_3xn_kernelILj128ELj7ELj16E21rocsparse_complex_numIdEEEvi20rocsparse_direction_NS_24const_host_device_scalarIT2_EEPKiS8_PKS5_SA_S6_PS5_21rocsparse_index_base_b
; %bb.0:
	s_load_b64 s[12:13], s[2:3], 0x50
	s_load_b64 s[16:17], s[0:1], 0x4
	s_load_b128 s[8:11], s[2:3], 0x8
	v_bfe_u32 v1, v0, 10, 10
	s_mov_b64 s[0:1], src_shared_base
	s_load_b128 s[4:7], s[2:3], 0x38
	v_and_b32_e32 v12, 0x3ff, v0
	v_bfe_u32 v0, v0, 20, 10
	s_waitcnt lgkmcnt(0)
	s_bitcmp1_b32 s13, 0
	v_mul_u32_u24_e32 v1, s17, v1
	s_cselect_b32 s0, -1, 0
	s_delay_alu instid0(SALU_CYCLE_1)
	s_and_b32 vcc_lo, s0, exec_lo
	s_cselect_b32 s13, s1, s9
	s_lshr_b32 s14, s16, 16
	v_dual_mov_b32 v2, s4 :: v_dual_mov_b32 v3, s5
	s_mul_i32 s14, s14, s17
	v_mov_b32_e32 v6, s13
	v_mad_u32_u24 v1, s14, v12, v1
	s_delay_alu instid0(VALU_DEP_1) | instskip(SKIP_1) | instid1(VALU_DEP_2)
	v_add_lshl_u32 v4, v1, v0, 3
	v_dual_mov_b32 v0, s8 :: v_dual_mov_b32 v1, s9
	v_add_nc_u32_e32 v5, 0x400, v4
	ds_store_2addr_stride64_b64 v4, v[2:3], v[0:1] offset1:2
	v_dual_mov_b32 v2, s10 :: v_dual_mov_b32 v3, s11
	v_cndmask_b32_e64 v5, s8, v5, s0
	s_xor_b32 s10, s0, -1
	flat_load_b64 v[0:1], v[5:6]
	s_cbranch_vccnz .LBB138_2
; %bb.1:
	v_dual_mov_b32 v2, s8 :: v_dual_mov_b32 v3, s9
	flat_load_b64 v[2:3], v[2:3] offset:8
.LBB138_2:
	s_and_b32 s8, s0, exec_lo
	s_cselect_b32 s1, s1, s5
	v_cndmask_b32_e64 v4, s4, v4, s0
	v_dual_mov_b32 v5, s1 :: v_dual_mov_b32 v6, s6
	v_mov_b32_e32 v7, s7
	s_and_not1_b32 vcc_lo, exec_lo, s10
	flat_load_b64 v[4:5], v[4:5]
	s_cbranch_vccnz .LBB138_4
; %bb.3:
	v_dual_mov_b32 v7, s5 :: v_dual_mov_b32 v6, s4
	flat_load_b64 v[6:7], v[6:7] offset:8
.LBB138_4:
	s_waitcnt vmcnt(1) lgkmcnt(1)
	v_cmp_eq_f64_e32 vcc_lo, 0, v[0:1]
	v_cmp_eq_f64_e64 s0, 0, v[2:3]
	s_delay_alu instid0(VALU_DEP_1)
	s_and_b32 s4, vcc_lo, s0
	s_mov_b32 s0, -1
	s_and_saveexec_b32 s1, s4
	s_cbranch_execz .LBB138_6
; %bb.5:
	s_waitcnt vmcnt(0) lgkmcnt(0)
	v_cmp_neq_f64_e32 vcc_lo, 1.0, v[4:5]
	v_cmp_neq_f64_e64 s0, 0, v[6:7]
	s_delay_alu instid0(VALU_DEP_1) | instskip(NEXT) | instid1(SALU_CYCLE_1)
	s_or_b32 s0, vcc_lo, s0
	s_or_not1_b32 s0, s0, exec_lo
.LBB138_6:
	s_or_b32 exec_lo, exec_lo, s1
	s_and_saveexec_b32 s1, s0
	s_cbranch_execz .LBB138_29
; %bb.7:
	s_load_b64 s[0:1], s[2:3], 0x0
	v_lshrrev_b32_e32 v8, 4, v12
	s_delay_alu instid0(VALU_DEP_1) | instskip(SKIP_1) | instid1(VALU_DEP_1)
	v_lshl_or_b32 v8, s15, 3, v8
	s_waitcnt lgkmcnt(0)
	v_cmp_gt_i32_e32 vcc_lo, s0, v8
	s_and_b32 exec_lo, exec_lo, vcc_lo
	s_cbranch_execz .LBB138_29
; %bb.8:
	s_load_b256 s[4:11], s[2:3], 0x18
	v_ashrrev_i32_e32 v9, 31, v8
	v_and_b32_e32 v38, 15, v12
	s_cmp_lg_u32 s1, 0
	s_delay_alu instid0(VALU_DEP_2) | instskip(SKIP_1) | instid1(VALU_DEP_1)
	v_lshlrev_b64 v[9:10], 2, v[8:9]
	s_waitcnt lgkmcnt(0)
	v_add_co_u32 v9, vcc_lo, s4, v9
	s_delay_alu instid0(VALU_DEP_2) | instskip(SKIP_4) | instid1(VALU_DEP_2)
	v_add_co_ci_u32_e32 v10, vcc_lo, s5, v10, vcc_lo
	global_load_b64 v[10:11], v[9:10], off
	s_waitcnt vmcnt(0)
	v_subrev_nc_u32_e32 v9, s12, v10
	v_subrev_nc_u32_e32 v39, s12, v11
	v_add_nc_u32_e32 v9, v9, v38
	s_delay_alu instid0(VALU_DEP_1)
	v_cmp_lt_i32_e64 s0, v9, v39
	s_cbranch_scc0 .LBB138_16
; %bb.9:
	v_mov_b32_e32 v11, 0
	v_mov_b32_e32 v12, 0
	s_delay_alu instid0(VALU_DEP_1)
	v_dual_mov_b32 v20, v12 :: v_dual_mov_b32 v19, v11
	v_dual_mov_b32 v14, v12 :: v_dual_mov_b32 v13, v11
	;; [unrolled: 1-line block ×5, first 2 shown]
	s_and_saveexec_b32 s1, s0
	s_cbranch_execz .LBB138_18
; %bb.10:
	v_mul_lo_u32 v10, v10, 21
	v_dual_mov_b32 v11, 0 :: v_dual_mov_b32 v24, 0
	v_dual_mov_b32 v12, 0 :: v_dual_mov_b32 v25, v9
	v_mul_lo_u32 v40, v9, 21
	s_mul_i32 s4, s12, 21
	s_delay_alu instid0(VALU_DEP_2) | instskip(SKIP_4) | instid1(VALU_DEP_4)
	v_dual_mov_b32 v20, v12 :: v_dual_mov_b32 v19, v11
	v_mad_u32_u24 v10, v38, 21, v10
	v_dual_mov_b32 v14, v12 :: v_dual_mov_b32 v13, v11
	v_dual_mov_b32 v16, v12 :: v_dual_mov_b32 v15, v11
	v_dual_mov_b32 v18, v12 :: v_dual_mov_b32 v17, v11
	v_subrev_nc_u32_e32 v41, s4, v10
	v_dual_mov_b32 v22, v12 :: v_dual_mov_b32 v21, v11
	s_mov_b32 s4, 0
	s_branch .LBB138_12
.LBB138_11:                             ;   in Loop: Header=BB138_12 Depth=1
	v_add_nc_u32_e32 v25, 16, v25
	v_add_nc_u32_e32 v40, 0x150, v40
	;; [unrolled: 1-line block ×3, first 2 shown]
	s_delay_alu instid0(VALU_DEP_3) | instskip(SKIP_1) | instid1(SALU_CYCLE_1)
	v_cmp_ge_i32_e32 vcc_lo, v25, v39
	s_or_b32 s4, vcc_lo, s4
	s_and_not1_b32 exec_lo, exec_lo, s4
	s_cbranch_execz .LBB138_17
.LBB138_12:                             ; =>This Loop Header: Depth=1
                                        ;     Child Loop BB138_14 Depth 2
	v_ashrrev_i32_e32 v26, 31, v25
	v_dual_mov_b32 v31, v12 :: v_dual_mov_b32 v30, v11
	v_dual_mov_b32 v33, v20 :: v_dual_mov_b32 v32, v19
	s_delay_alu instid0(VALU_DEP_3) | instskip(SKIP_3) | instid1(VALU_DEP_4)
	v_lshlrev_b64 v[26:27], 2, v[25:26]
	v_dual_mov_b32 v29, v14 :: v_dual_mov_b32 v28, v13
	v_dual_mov_b32 v35, v18 :: v_dual_mov_b32 v34, v17
	;; [unrolled: 1-line block ×3, first 2 shown]
	v_add_co_u32 v26, vcc_lo, s6, v26
	v_add_co_ci_u32_e32 v27, vcc_lo, s7, v27, vcc_lo
	s_mov_b32 s5, 0
	global_load_b32 v10, v[26:27], off
	v_dual_mov_b32 v27, v16 :: v_dual_mov_b32 v26, v15
	s_waitcnt vmcnt(0)
	v_subrev_nc_u32_e32 v10, s12, v10
	s_delay_alu instid0(VALU_DEP_1)
	v_mul_lo_u32 v10, v10, 7
	s_branch .LBB138_14
.LBB138_13:                             ;   in Loop: Header=BB138_12 Depth=1
                                        ; implicit-def: $vgpr36_vgpr37
                                        ; implicit-def: $vgpr34_vgpr35
                                        ; implicit-def: $vgpr26_vgpr27
                                        ; implicit-def: $vgpr28_vgpr29
                                        ; implicit-def: $vgpr32_vgpr33
                                        ; implicit-def: $vgpr30_vgpr31
                                        ; implicit-def: $sgpr5
                                        ; implicit-def: $vgpr10
	s_branch .LBB138_11
.LBB138_14:                             ;   Parent Loop BB138_12 Depth=1
                                        ; =>  This Inner Loop Header: Depth=2
	v_add_nc_u32_e32 v23, s5, v41
	v_dual_mov_b32 v11, v24 :: v_dual_add_nc_u32 v42, s5, v40
	s_cmp_eq_u32 s5, 18
	s_delay_alu instid0(VALU_DEP_2) | instskip(NEXT) | instid1(VALU_DEP_2)
	v_lshlrev_b64 v[12:13], 4, v[23:24]
	v_add_nc_u32_e32 v23, 1, v42
	s_delay_alu instid0(VALU_DEP_3) | instskip(NEXT) | instid1(VALU_DEP_2)
	v_lshlrev_b64 v[14:15], 4, v[10:11]
	v_lshlrev_b64 v[16:17], 4, v[23:24]
	v_add_nc_u32_e32 v23, 2, v42
	v_add_co_u32 v11, vcc_lo, s8, v12
	v_add_co_ci_u32_e32 v12, vcc_lo, s9, v13, vcc_lo
	v_add_co_u32 v18, vcc_lo, s10, v14
	s_delay_alu instid0(VALU_DEP_4) | instskip(SKIP_3) | instid1(VALU_DEP_4)
	v_lshlrev_b64 v[20:21], 4, v[23:24]
	v_add_co_ci_u32_e32 v19, vcc_lo, s11, v15, vcc_lo
	v_add_co_u32 v15, vcc_lo, s8, v16
	v_add_co_ci_u32_e32 v16, vcc_lo, s9, v17, vcc_lo
	v_add_co_u32 v20, vcc_lo, s8, v20
	v_add_co_ci_u32_e32 v21, vcc_lo, s9, v21, vcc_lo
	global_load_b128 v[11:14], v[11:12], off
	global_load_b128 v[43:46], v[18:19], off
	s_clause 0x1
	global_load_b128 v[15:18], v[15:16], off
	global_load_b128 v[47:50], v[20:21], off
	s_waitcnt vmcnt(2)
	v_fma_f64 v[19:20], v[11:12], v[43:44], v[32:33]
	v_fma_f64 v[21:22], v[13:14], v[43:44], v[30:31]
	s_waitcnt vmcnt(1)
	v_fma_f64 v[30:31], v[15:16], v[43:44], v[34:35]
	v_fma_f64 v[32:33], v[17:18], v[43:44], v[36:37]
	;; [unrolled: 3-line block ×3, first 2 shown]
	v_fma_f64 v[19:20], -v[13:14], v[45:46], v[19:20]
	v_fma_f64 v[11:12], v[11:12], v[45:46], v[21:22]
	v_fma_f64 v[17:18], -v[17:18], v[45:46], v[30:31]
	v_fma_f64 v[21:22], v[15:16], v[45:46], v[32:33]
	;; [unrolled: 2-line block ×3, first 2 shown]
	s_cbranch_scc1 .LBB138_13
; %bb.15:                               ;   in Loop: Header=BB138_14 Depth=2
	v_add_nc_u32_e32 v23, 3, v42
	s_add_i32 s5, s5, 6
	s_delay_alu instid0(VALU_DEP_1) | instskip(SKIP_2) | instid1(VALU_DEP_2)
	v_lshlrev_b64 v[26:27], 4, v[23:24]
	v_add_nc_u32_e32 v23, 1, v10
	v_add_nc_u32_e32 v10, 2, v10
	v_lshlrev_b64 v[30:31], 4, v[23:24]
	v_add_nc_u32_e32 v23, 4, v42
	v_add_co_u32 v26, vcc_lo, s8, v26
	v_add_co_ci_u32_e32 v27, vcc_lo, s9, v27, vcc_lo
	s_delay_alu instid0(VALU_DEP_3) | instskip(SKIP_3) | instid1(VALU_DEP_3)
	v_lshlrev_b64 v[32:33], 4, v[23:24]
	v_add_nc_u32_e32 v23, 5, v42
	v_add_co_u32 v30, vcc_lo, s10, v30
	v_add_co_ci_u32_e32 v31, vcc_lo, s11, v31, vcc_lo
	v_lshlrev_b64 v[34:35], 4, v[23:24]
	v_add_co_u32 v32, vcc_lo, s8, v32
	v_add_co_ci_u32_e32 v33, vcc_lo, s9, v33, vcc_lo
	global_load_b128 v[26:29], v[26:27], off
	v_add_co_u32 v34, vcc_lo, s8, v34
	v_add_co_ci_u32_e32 v35, vcc_lo, s9, v35, vcc_lo
	global_load_b128 v[42:45], v[30:31], off
	s_clause 0x1
	global_load_b128 v[46:49], v[32:33], off
	global_load_b128 v[50:53], v[34:35], off
	s_waitcnt vmcnt(2)
	v_fma_f64 v[30:31], v[26:27], v[42:43], v[19:20]
	v_fma_f64 v[34:35], v[28:29], v[42:43], v[11:12]
	s_waitcnt vmcnt(1)
	v_fma_f64 v[36:37], v[46:47], v[42:43], v[17:18]
	v_fma_f64 v[54:55], v[48:49], v[42:43], v[21:22]
	;; [unrolled: 3-line block ×3, first 2 shown]
	v_fma_f64 v[32:33], -v[28:29], v[44:45], v[30:31]
	v_fma_f64 v[30:31], v[26:27], v[44:45], v[34:35]
	v_fma_f64 v[34:35], -v[48:49], v[44:45], v[36:37]
	v_fma_f64 v[36:37], v[46:47], v[44:45], v[54:55]
	;; [unrolled: 2-line block ×3, first 2 shown]
	s_cbranch_execnz .LBB138_14
	s_branch .LBB138_11
.LBB138_16:
                                        ; implicit-def: $vgpr11_vgpr12
                                        ; implicit-def: $vgpr19_vgpr20
                                        ; implicit-def: $vgpr13_vgpr14
                                        ; implicit-def: $vgpr15_vgpr16
                                        ; implicit-def: $vgpr17_vgpr18
                                        ; implicit-def: $vgpr21_vgpr22
	s_branch .LBB138_19
.LBB138_17:
	s_or_b32 exec_lo, exec_lo, s4
.LBB138_18:
	s_delay_alu instid0(SALU_CYCLE_1)
	s_or_b32 exec_lo, exec_lo, s1
	s_cbranch_execnz .LBB138_24
.LBB138_19:
	v_mov_b32_e32 v11, 0
	v_mov_b32_e32 v12, 0
	s_delay_alu instid0(VALU_DEP_1)
	v_dual_mov_b32 v20, v12 :: v_dual_mov_b32 v19, v11
	v_dual_mov_b32 v14, v12 :: v_dual_mov_b32 v13, v11
	;; [unrolled: 1-line block ×5, first 2 shown]
	s_and_saveexec_b32 s1, s0
	s_cbranch_execz .LBB138_23
; %bb.20:
	v_dual_mov_b32 v11, 0 :: v_dual_mov_b32 v26, 0
	v_mov_b32_e32 v12, 0
	v_mad_u64_u32 v[23:24], null, v9, 21, 20
	s_mov_b32 s0, 0
	s_delay_alu instid0(VALU_DEP_2)
	v_dual_mov_b32 v20, v12 :: v_dual_mov_b32 v19, v11
	v_dual_mov_b32 v14, v12 :: v_dual_mov_b32 v13, v11
	;; [unrolled: 1-line block ×5, first 2 shown]
.LBB138_21:                             ; =>This Inner Loop Header: Depth=1
	v_ashrrev_i32_e32 v10, 31, v9
	v_dual_mov_b32 v36, v26 :: v_dual_add_nc_u32 v27, -13, v23
	v_dual_mov_b32 v28, v26 :: v_dual_add_nc_u32 v29, -6, v23
	s_delay_alu instid0(VALU_DEP_3) | instskip(SKIP_1) | instid1(VALU_DEP_3)
	v_lshlrev_b64 v[24:25], 2, v[9:10]
	v_add_nc_u32_e32 v9, 16, v9
	v_lshlrev_b64 v[27:28], 4, v[27:28]
	s_delay_alu instid0(VALU_DEP_3) | instskip(NEXT) | instid1(VALU_DEP_4)
	v_add_co_u32 v24, vcc_lo, s6, v24
	v_add_co_ci_u32_e32 v25, vcc_lo, s7, v25, vcc_lo
	global_load_b32 v10, v[24:25], off
	v_subrev_nc_u32_e32 v25, 20, v23
	v_mov_b32_e32 v24, v26
	s_delay_alu instid0(VALU_DEP_2) | instskip(SKIP_1) | instid1(VALU_DEP_3)
	v_lshlrev_b64 v[31:32], 4, v[25:26]
	v_subrev_nc_u32_e32 v25, 19, v23
	v_lshlrev_b64 v[33:34], 4, v[23:24]
	s_delay_alu instid0(VALU_DEP_2) | instskip(NEXT) | instid1(VALU_DEP_4)
	v_lshlrev_b64 v[24:25], 4, v[25:26]
	v_add_co_u32 v31, vcc_lo, s8, v31
	v_add_co_ci_u32_e32 v32, vcc_lo, s9, v32, vcc_lo
	v_add_co_u32 v40, vcc_lo, s8, v27
	v_add_co_ci_u32_e32 v41, vcc_lo, s9, v28, vcc_lo
	s_waitcnt vmcnt(0)
	v_subrev_nc_u32_e32 v10, s12, v10
	s_delay_alu instid0(VALU_DEP_1) | instskip(SKIP_1) | instid1(VALU_DEP_1)
	v_mul_lo_u32 v35, v10, 7
	v_mov_b32_e32 v30, v26
	v_lshlrev_b64 v[29:30], 4, v[29:30]
	s_delay_alu instid0(VALU_DEP_3) | instskip(NEXT) | instid1(VALU_DEP_2)
	v_lshlrev_b64 v[36:37], 4, v[35:36]
	v_add_co_u32 v42, vcc_lo, s8, v29
	s_delay_alu instid0(VALU_DEP_3)
	v_add_co_ci_u32_e32 v43, vcc_lo, s9, v30, vcc_lo
	v_add_co_u32 v44, vcc_lo, s8, v33
	v_add_co_ci_u32_e32 v45, vcc_lo, s9, v34, vcc_lo
	v_add_co_u32 v24, vcc_lo, s8, v24
	;; [unrolled: 2-line block ×3, first 2 shown]
	v_add_co_ci_u32_e32 v37, vcc_lo, s11, v37, vcc_lo
	s_clause 0x4
	global_load_b128 v[27:30], v[31:32], off
	global_load_b128 v[31:34], v[40:41], off
	;; [unrolled: 1-line block ×5, first 2 shown]
	v_add_nc_u32_e32 v25, 1, v35
	global_load_b128 v[52:55], v[36:37], off
	v_lshlrev_b64 v[56:57], 4, v[25:26]
	v_add_nc_u32_e32 v25, -12, v23
	s_delay_alu instid0(VALU_DEP_2) | instskip(NEXT) | instid1(VALU_DEP_3)
	v_add_co_u32 v36, vcc_lo, s10, v56
	v_add_co_ci_u32_e32 v37, vcc_lo, s11, v57, vcc_lo
	s_delay_alu instid0(VALU_DEP_3)
	v_lshlrev_b64 v[60:61], 4, v[25:26]
	v_add_nc_u32_e32 v25, -5, v23
	global_load_b128 v[56:59], v[36:37], off
	v_add_co_u32 v36, vcc_lo, s8, v60
	v_add_co_ci_u32_e32 v37, vcc_lo, s9, v61, vcc_lo
	v_lshlrev_b64 v[64:65], 4, v[25:26]
	v_subrev_nc_u32_e32 v25, 18, v23
	global_load_b128 v[60:63], v[36:37], off
	v_add_co_u32 v36, vcc_lo, s8, v64
	v_add_co_ci_u32_e32 v37, vcc_lo, s9, v65, vcc_lo
	v_lshlrev_b64 v[68:69], 4, v[25:26]
	v_add_nc_u32_e32 v25, 2, v35
	global_load_b128 v[64:67], v[36:37], off
	v_add_co_u32 v36, vcc_lo, s8, v68
	v_lshlrev_b64 v[72:73], 4, v[25:26]
	v_add_nc_u32_e32 v25, -11, v23
	v_add_co_ci_u32_e32 v37, vcc_lo, s9, v69, vcc_lo
	s_delay_alu instid0(VALU_DEP_2)
	v_lshlrev_b64 v[74:75], 4, v[25:26]
	global_load_b128 v[68:71], v[36:37], off
	v_add_co_u32 v36, vcc_lo, s10, v72
	v_add_co_ci_u32_e32 v37, vcc_lo, s11, v73, vcc_lo
	v_add_co_u32 v76, vcc_lo, s8, v74
	v_add_co_ci_u32_e32 v77, vcc_lo, s9, v75, vcc_lo
	global_load_b128 v[72:75], v[36:37], off
	v_add_nc_u32_e32 v25, -4, v23
	global_load_b128 v[76:79], v[76:77], off
	v_lshlrev_b64 v[80:81], 4, v[25:26]
	v_subrev_nc_u32_e32 v25, 17, v23
	s_delay_alu instid0(VALU_DEP_2) | instskip(NEXT) | instid1(VALU_DEP_3)
	v_add_co_u32 v80, vcc_lo, s8, v80
	v_add_co_ci_u32_e32 v81, vcc_lo, s9, v81, vcc_lo
	s_delay_alu instid0(VALU_DEP_3)
	v_lshlrev_b64 v[36:37], 4, v[25:26]
	v_add_nc_u32_e32 v25, 3, v35
	global_load_b128 v[80:83], v[80:81], off
	v_lshlrev_b64 v[88:89], 4, v[25:26]
	v_add_nc_u32_e32 v25, -10, v23
	v_add_co_u32 v36, vcc_lo, s8, v36
	v_add_co_ci_u32_e32 v37, vcc_lo, s9, v37, vcc_lo
	s_delay_alu instid0(VALU_DEP_3)
	v_lshlrev_b64 v[90:91], 4, v[25:26]
	v_add_nc_u32_e32 v25, -3, v23
	global_load_b128 v[84:87], v[36:37], off
	v_add_co_u32 v36, vcc_lo, s10, v88
	v_lshlrev_b64 v[92:93], 4, v[25:26]
	v_add_co_ci_u32_e32 v37, vcc_lo, s11, v89, vcc_lo
	v_add_co_u32 v94, vcc_lo, s8, v90
	v_add_co_ci_u32_e32 v95, vcc_lo, s9, v91, vcc_lo
	s_delay_alu instid0(VALU_DEP_4) | instskip(SKIP_4) | instid1(VALU_DEP_1)
	v_add_co_u32 v96, vcc_lo, s8, v92
	v_add_co_ci_u32_e32 v97, vcc_lo, s9, v93, vcc_lo
	global_load_b128 v[88:91], v[36:37], off
	global_load_b128 v[92:95], v[94:95], off
	v_add_nc_u32_e32 v25, -16, v23
	v_lshlrev_b64 v[36:37], 4, v[25:26]
	v_add_nc_u32_e32 v25, 4, v35
	s_delay_alu instid0(VALU_DEP_1) | instskip(SKIP_1) | instid1(VALU_DEP_4)
	v_lshlrev_b64 v[98:99], 4, v[25:26]
	v_add_nc_u32_e32 v25, -9, v23
	v_add_co_u32 v36, vcc_lo, s8, v36
	v_add_co_ci_u32_e32 v37, vcc_lo, s9, v37, vcc_lo
	s_waitcnt vmcnt(10)
	v_fma_f64 v[19:20], v[27:28], v[52:53], v[19:20]
	v_fma_f64 v[10:11], v[29:30], v[52:53], v[11:12]
	;; [unrolled: 1-line block ×5, first 2 shown]
	v_fma_f64 v[100:101], -v[29:30], v[54:55], v[19:20]
	v_fma_f64 v[19:20], v[33:34], v[52:53], v[21:22]
	v_fma_f64 v[102:103], v[27:28], v[54:55], v[10:11]
	global_load_b128 v[27:30], v[96:97], off
	v_lshlrev_b64 v[96:97], 4, v[25:26]
	v_add_nc_u32_e32 v25, -2, v23
	v_fma_f64 v[21:22], -v[33:34], v[54:55], v[17:18]
	v_add_co_u32 v10, vcc_lo, s10, v98
	v_add_co_ci_u32_e32 v11, vcc_lo, s11, v99, vcc_lo
	s_delay_alu instid0(VALU_DEP_4) | instskip(SKIP_2) | instid1(VALU_DEP_2)
	v_lshlrev_b64 v[33:34], 4, v[25:26]
	v_add_nc_u32_e32 v25, -15, v23
	v_fma_f64 v[14:15], v[40:41], v[54:55], v[14:15]
	v_lshlrev_b64 v[40:41], 4, v[25:26]
	v_add_nc_u32_e32 v25, 5, v35
	v_fma_f64 v[98:99], v[31:32], v[54:55], v[19:20]
	v_add_co_u32 v31, vcc_lo, s8, v96
	v_add_co_ci_u32_e32 v32, vcc_lo, s9, v97, vcc_lo
	global_load_b128 v[17:20], v[36:37], off
	v_fma_f64 v[36:37], -v[42:43], v[54:55], v[12:13]
	v_add_co_u32 v42, vcc_lo, s8, v33
	v_add_co_ci_u32_e32 v43, vcc_lo, s9, v34, vcc_lo
	v_add_co_u32 v52, vcc_lo, s8, v40
	v_add_co_ci_u32_e32 v53, vcc_lo, s9, v41, vcc_lo
	s_waitcnt vmcnt(11)
	v_fma_f64 v[40:41], v[48:49], v[56:57], v[100:101]
	v_fma_f64 v[96:97], v[50:51], v[56:57], v[102:103]
	global_load_b128 v[10:13], v[10:11], off
	global_load_b128 v[31:34], v[31:32], off
	s_waitcnt vmcnt(12)
	v_fma_f64 v[21:22], v[60:61], v[56:57], v[21:22]
	s_waitcnt vmcnt(11)
	v_fma_f64 v[14:15], v[66:67], v[56:57], v[14:15]
	v_lshlrev_b64 v[54:55], 4, v[25:26]
	v_add_nc_u32_e32 v25, -8, v23
	s_delay_alu instid0(VALU_DEP_1) | instskip(SKIP_1) | instid1(VALU_DEP_4)
	v_lshlrev_b64 v[102:103], 4, v[25:26]
	v_add_nc_u32_e32 v25, -1, v23
	v_add_co_u32 v54, vcc_lo, s10, v54
	v_add_co_ci_u32_e32 v55, vcc_lo, s11, v55, vcc_lo
	v_fma_f64 v[36:37], v[64:65], v[56:57], v[36:37]
	v_fma_f64 v[100:101], -v[50:51], v[58:59], v[40:41]
	global_load_b128 v[40:43], v[42:43], off
	v_fma_f64 v[96:97], v[48:49], v[58:59], v[96:97]
	v_fma_f64 v[48:49], v[62:63], v[56:57], v[98:99]
	v_fma_f64 v[21:22], -v[62:63], v[58:59], v[21:22]
	v_lshlrev_b64 v[62:63], 4, v[25:26]
	v_fma_f64 v[14:15], v[64:65], v[58:59], v[14:15]
	v_add_nc_u32_e32 v25, -14, v23
	s_delay_alu instid0(VALU_DEP_1) | instskip(SKIP_2) | instid1(VALU_DEP_2)
	v_lshlrev_b64 v[64:65], 4, v[25:26]
	v_add_nc_u32_e32 v25, 6, v35
	v_fma_f64 v[36:37], -v[66:67], v[58:59], v[36:37]
	v_lshlrev_b64 v[66:67], 4, v[25:26]
	v_add_nc_u32_e32 v25, -7, v23
	v_add_nc_u32_e32 v23, 0x150, v23
	s_delay_alu instid0(VALU_DEP_2)
	v_lshlrev_b64 v[24:25], 4, v[25:26]
	s_waitcnt vmcnt(10)
	v_fma_f64 v[100:101], v[68:69], v[72:73], v[100:101]
	v_fma_f64 v[96:97], v[70:71], v[72:73], v[96:97]
	;; [unrolled: 1-line block ×3, first 2 shown]
	v_add_co_u32 v60, vcc_lo, s8, v102
	v_add_co_ci_u32_e32 v61, vcc_lo, s9, v103, vcc_lo
	v_add_co_u32 v62, vcc_lo, s8, v62
	v_add_co_ci_u32_e32 v63, vcc_lo, s9, v63, vcc_lo
	s_clause 0x1
	global_load_b128 v[48:51], v[52:53], off
	global_load_b128 v[56:59], v[60:61], off
	;; [unrolled: 1-line block ×4, first 2 shown]
	s_waitcnt vmcnt(13)
	v_fma_f64 v[21:22], v[76:77], v[72:73], v[21:22]
	v_add_co_u32 v64, vcc_lo, s8, v64
	v_add_co_ci_u32_e32 v65, vcc_lo, s9, v65, vcc_lo
	s_waitcnt vmcnt(12)
	v_fma_f64 v[14:15], v[82:83], v[72:73], v[14:15]
	v_fma_f64 v[100:101], -v[70:71], v[74:75], v[100:101]
	v_fma_f64 v[96:97], v[68:69], v[74:75], v[96:97]
	v_fma_f64 v[70:71], v[78:79], v[72:73], v[98:99]
	v_add_co_u32 v68, vcc_lo, s10, v66
	v_add_co_ci_u32_e32 v69, vcc_lo, s11, v67, vcc_lo
	global_load_b128 v[64:67], v[64:65], off
	v_add_co_u32 v24, vcc_lo, s8, v24
	v_add_co_ci_u32_e32 v25, vcc_lo, s9, v25, vcc_lo
	v_cmp_ge_i32_e32 vcc_lo, v9, v39
	v_fma_f64 v[21:22], -v[78:79], v[74:75], v[21:22]
	s_or_b32 s0, vcc_lo, s0
	v_fma_f64 v[14:15], v[80:81], v[74:75], v[14:15]
	v_fma_f64 v[98:99], v[76:77], v[74:75], v[70:71]
	global_load_b128 v[68:71], v[68:69], off
	global_load_b128 v[76:79], v[24:25], off
	v_fma_f64 v[24:25], v[80:81], v[72:73], v[36:37]
	s_waitcnt vmcnt(13)
	v_fma_f64 v[35:36], v[84:85], v[88:89], v[100:101]
	v_fma_f64 v[72:73], v[86:87], v[88:89], v[96:97]
	s_waitcnt vmcnt(12)
	v_fma_f64 v[21:22], v[92:93], v[88:89], v[21:22]
	s_delay_alu instid0(VALU_DEP_4) | instskip(SKIP_4) | instid1(VALU_DEP_4)
	v_fma_f64 v[24:25], -v[82:83], v[74:75], v[24:25]
	v_fma_f64 v[74:75], v[94:95], v[88:89], v[98:99]
	v_fma_f64 v[35:36], -v[86:87], v[90:91], v[35:36]
	v_fma_f64 v[72:73], v[84:85], v[90:91], v[72:73]
	;; [unrolled: 2-line block ×3, first 2 shown]
	s_waitcnt vmcnt(11)
	v_fma_f64 v[24:25], v[27:28], v[88:89], v[24:25]
	v_fma_f64 v[14:15], v[29:30], v[88:89], v[14:15]
	s_delay_alu instid0(VALU_DEP_2) | instskip(NEXT) | instid1(VALU_DEP_2)
	v_fma_f64 v[24:25], -v[29:30], v[90:91], v[24:25]
	v_fma_f64 v[14:15], v[27:28], v[90:91], v[14:15]
	s_waitcnt vmcnt(9)
	v_fma_f64 v[27:28], v[17:18], v[10:11], v[35:36]
	v_fma_f64 v[29:30], v[19:20], v[10:11], v[72:73]
	s_waitcnt vmcnt(8)
	v_fma_f64 v[21:22], v[31:32], v[10:11], v[21:22]
	;; [unrolled: 3-line block ×3, first 2 shown]
	v_fma_f64 v[10:11], v[42:43], v[10:11], v[14:15]
	v_fma_f64 v[14:15], -v[19:20], v[12:13], v[27:28]
	v_fma_f64 v[16:17], v[17:18], v[12:13], v[29:30]
	v_fma_f64 v[18:19], -v[33:34], v[12:13], v[21:22]
	v_fma_f64 v[20:21], v[31:32], v[12:13], v[35:36]
	v_fma_f64 v[24:25], -v[42:43], v[12:13], v[24:25]
	v_fma_f64 v[10:11], v[40:41], v[12:13], v[10:11]
	s_waitcnt vmcnt(4)
	v_fma_f64 v[12:13], v[48:49], v[52:53], v[14:15]
	v_fma_f64 v[14:15], v[50:51], v[52:53], v[16:17]
	;; [unrolled: 1-line block ×4, first 2 shown]
	s_waitcnt vmcnt(3)
	v_fma_f64 v[20:21], v[60:61], v[52:53], v[24:25]
	v_fma_f64 v[10:11], v[62:63], v[52:53], v[10:11]
	v_fma_f64 v[12:13], -v[50:51], v[54:55], v[12:13]
	v_fma_f64 v[14:15], v[48:49], v[54:55], v[14:15]
	v_fma_f64 v[16:17], -v[58:59], v[54:55], v[16:17]
	;; [unrolled: 2-line block ×3, first 2 shown]
	v_fma_f64 v[10:11], v[60:61], v[54:55], v[10:11]
	s_waitcnt vmcnt(1)
	v_fma_f64 v[12:13], v[64:65], v[68:69], v[12:13]
	v_fma_f64 v[14:15], v[66:67], v[68:69], v[14:15]
	s_waitcnt vmcnt(0)
	v_fma_f64 v[16:17], v[76:77], v[68:69], v[16:17]
	v_fma_f64 v[24:25], v[78:79], v[68:69], v[18:19]
	;; [unrolled: 1-line block ×4, first 2 shown]
	v_fma_f64 v[19:20], -v[66:67], v[70:71], v[12:13]
	v_fma_f64 v[11:12], v[64:65], v[70:71], v[14:15]
	v_fma_f64 v[17:18], -v[78:79], v[70:71], v[16:17]
	v_fma_f64 v[21:22], v[76:77], v[70:71], v[24:25]
	;; [unrolled: 2-line block ×3, first 2 shown]
	s_and_not1_b32 exec_lo, exec_lo, s0
	s_cbranch_execnz .LBB138_21
; %bb.22:
	s_or_b32 exec_lo, exec_lo, s0
.LBB138_23:
	s_delay_alu instid0(SALU_CYCLE_1)
	s_or_b32 exec_lo, exec_lo, s1
.LBB138_24:
	v_mbcnt_lo_u32_b32 v33, -1, 0
	s_delay_alu instid0(VALU_DEP_1) | instskip(NEXT) | instid1(VALU_DEP_1)
	v_xor_b32_e32 v9, 8, v33
	v_cmp_gt_i32_e32 vcc_lo, 32, v9
	v_cndmask_b32_e32 v9, v33, v9, vcc_lo
	s_delay_alu instid0(VALU_DEP_1)
	v_lshlrev_b32_e32 v32, 2, v9
	ds_bpermute_b32 v9, v32, v19
	ds_bpermute_b32 v10, v32, v20
	ds_bpermute_b32 v23, v32, v11
	ds_bpermute_b32 v24, v32, v12
	ds_bpermute_b32 v25, v32, v17
	ds_bpermute_b32 v26, v32, v18
	ds_bpermute_b32 v27, v32, v21
	ds_bpermute_b32 v28, v32, v22
	ds_bpermute_b32 v29, v32, v13
	ds_bpermute_b32 v30, v32, v14
	ds_bpermute_b32 v31, v32, v15
	ds_bpermute_b32 v32, v32, v16
	s_waitcnt lgkmcnt(10)
	v_add_f64 v[9:10], v[19:20], v[9:10]
	s_waitcnt lgkmcnt(8)
	v_add_f64 v[11:12], v[11:12], v[23:24]
	s_waitcnt lgkmcnt(6)
	v_add_f64 v[17:18], v[17:18], v[25:26]
	s_waitcnt lgkmcnt(4)
	v_add_f64 v[19:20], v[21:22], v[27:28]
	v_xor_b32_e32 v21, 4, v33
	s_waitcnt lgkmcnt(2)
	v_add_f64 v[13:14], v[13:14], v[29:30]
	s_waitcnt lgkmcnt(0)
	v_add_f64 v[15:16], v[15:16], v[31:32]
	v_cmp_gt_i32_e32 vcc_lo, 32, v21
	v_cndmask_b32_e32 v21, v33, v21, vcc_lo
	s_delay_alu instid0(VALU_DEP_1)
	v_lshlrev_b32_e32 v32, 2, v21
	ds_bpermute_b32 v21, v32, v9
	ds_bpermute_b32 v22, v32, v10
	ds_bpermute_b32 v23, v32, v11
	ds_bpermute_b32 v24, v32, v12
	ds_bpermute_b32 v25, v32, v17
	ds_bpermute_b32 v26, v32, v18
	ds_bpermute_b32 v27, v32, v19
	ds_bpermute_b32 v28, v32, v20
	ds_bpermute_b32 v29, v32, v13
	ds_bpermute_b32 v30, v32, v14
	ds_bpermute_b32 v31, v32, v15
	ds_bpermute_b32 v32, v32, v16
	s_waitcnt lgkmcnt(10)
	v_add_f64 v[9:10], v[9:10], v[21:22]
	s_waitcnt lgkmcnt(8)
	v_add_f64 v[11:12], v[11:12], v[23:24]
	s_waitcnt lgkmcnt(6)
	v_add_f64 v[17:18], v[17:18], v[25:26]
	s_waitcnt lgkmcnt(4)
	v_add_f64 v[21:22], v[19:20], v[27:28]
	v_xor_b32_e32 v19, 2, v33
	s_waitcnt lgkmcnt(2)
	v_add_f64 v[13:14], v[13:14], v[29:30]
	s_waitcnt lgkmcnt(0)
	v_add_f64 v[15:16], v[15:16], v[31:32]
	;; [unrolled: 29-line block ×3, first 2 shown]
	v_cmp_gt_i32_e32 vcc_lo, 32, v21
	v_cndmask_b32_e32 v21, v33, v21, vcc_lo
	v_cmp_eq_u32_e32 vcc_lo, 15, v38
	s_delay_alu instid0(VALU_DEP_2)
	v_lshlrev_b32_e32 v24, 2, v21
	ds_bpermute_b32 v31, v24, v9
	ds_bpermute_b32 v32, v24, v10
	;; [unrolled: 1-line block ×12, first 2 shown]
	s_and_b32 exec_lo, exec_lo, vcc_lo
	s_cbranch_execz .LBB138_29
; %bb.25:
	v_cmp_eq_f64_e32 vcc_lo, 0, v[4:5]
	v_cmp_eq_f64_e64 s0, 0, v[6:7]
	s_waitcnt lgkmcnt(10)
	v_add_f64 v[9:10], v[9:10], v[31:32]
	s_waitcnt lgkmcnt(8)
	v_add_f64 v[19:20], v[19:20], v[29:30]
	;; [unrolled: 2-line block ×6, first 2 shown]
	s_load_b64 s[2:3], s[2:3], 0x48
	s_and_b32 s0, vcc_lo, s0
	s_delay_alu instid0(SALU_CYCLE_1) | instskip(NEXT) | instid1(SALU_CYCLE_1)
	s_and_saveexec_b32 s1, s0
	s_xor_b32 s0, exec_lo, s1
	s_cbranch_execz .LBB138_27
; %bb.26:
	v_mul_f64 v[4:5], v[19:20], -v[2:3]
	v_mul_f64 v[6:7], v[0:1], v[19:20]
	v_mul_f64 v[19:20], v[17:18], -v[2:3]
	v_mul_f64 v[17:18], v[0:1], v[17:18]
	v_mul_f64 v[21:22], v[15:16], -v[2:3]
	v_mul_f64 v[15:16], v[0:1], v[15:16]
	v_fma_f64 v[4:5], v[0:1], v[9:10], v[4:5]
	v_fma_f64 v[6:7], v[2:3], v[9:10], v[6:7]
	;; [unrolled: 1-line block ×6, first 2 shown]
	v_lshl_add_u32 v13, v8, 1, v8
                                        ; implicit-def: $vgpr8
                                        ; implicit-def: $vgpr19_vgpr20
                                        ; implicit-def: $vgpr17_vgpr18
                                        ; implicit-def: $vgpr15_vgpr16
	s_delay_alu instid0(VALU_DEP_1) | instskip(NEXT) | instid1(VALU_DEP_1)
	v_ashrrev_i32_e32 v14, 31, v13
	v_lshlrev_b64 v[13:14], 4, v[13:14]
	s_waitcnt lgkmcnt(0)
	s_delay_alu instid0(VALU_DEP_1) | instskip(NEXT) | instid1(VALU_DEP_2)
	v_add_co_u32 v13, vcc_lo, s2, v13
	v_add_co_ci_u32_e32 v14, vcc_lo, s3, v14, vcc_lo
	s_clause 0x2
	global_store_b128 v[13:14], v[4:7], off
	global_store_b128 v[13:14], v[9:12], off offset:16
	global_store_b128 v[13:14], v[0:3], off offset:32
                                        ; implicit-def: $vgpr0_vgpr1
                                        ; implicit-def: $vgpr2_vgpr3
                                        ; implicit-def: $vgpr4_vgpr5
                                        ; implicit-def: $vgpr6_vgpr7
                                        ; implicit-def: $vgpr9_vgpr10
                                        ; implicit-def: $vgpr11_vgpr12
                                        ; implicit-def: $vgpr13_vgpr14
.LBB138_27:
	s_and_not1_saveexec_b32 s0, s0
	s_cbranch_execz .LBB138_29
; %bb.28:
	v_lshl_add_u32 v21, v8, 1, v8
	v_mul_f64 v[35:36], v[19:20], -v[2:3]
	v_mul_f64 v[19:20], v[0:1], v[19:20]
	v_mul_f64 v[37:38], v[17:18], -v[2:3]
	v_mul_f64 v[17:18], v[0:1], v[17:18]
	v_ashrrev_i32_e32 v22, 31, v21
	v_mul_f64 v[39:40], v[15:16], -v[2:3]
	v_mul_f64 v[15:16], v[0:1], v[15:16]
	s_delay_alu instid0(VALU_DEP_3) | instskip(SKIP_1) | instid1(VALU_DEP_1)
	v_lshlrev_b64 v[21:22], 4, v[21:22]
	s_waitcnt lgkmcnt(0)
	v_add_co_u32 v33, vcc_lo, s2, v21
	s_delay_alu instid0(VALU_DEP_2)
	v_add_co_ci_u32_e32 v34, vcc_lo, s3, v22, vcc_lo
	s_clause 0x2
	global_load_b128 v[21:24], v[33:34], off
	global_load_b128 v[25:28], v[33:34], off offset:16
	global_load_b128 v[29:32], v[33:34], off offset:32
	v_fma_f64 v[35:36], v[0:1], v[9:10], v[35:36]
	v_fma_f64 v[8:9], v[2:3], v[9:10], v[19:20]
	;; [unrolled: 1-line block ×6, first 2 shown]
	s_waitcnt vmcnt(2)
	v_fma_f64 v[12:13], v[4:5], v[21:22], v[35:36]
	v_fma_f64 v[8:9], v[6:7], v[21:22], v[8:9]
	s_waitcnt vmcnt(1)
	v_fma_f64 v[14:15], v[4:5], v[25:26], v[19:20]
	v_fma_f64 v[10:11], v[6:7], v[25:26], v[10:11]
	s_waitcnt vmcnt(0)
	v_fma_f64 v[16:17], v[4:5], v[29:30], v[0:1]
	v_fma_f64 v[18:19], v[6:7], v[29:30], v[2:3]
	v_fma_f64 v[0:1], -v[6:7], v[23:24], v[12:13]
	v_fma_f64 v[2:3], v[4:5], v[23:24], v[8:9]
	v_fma_f64 v[8:9], -v[6:7], v[27:28], v[14:15]
	v_fma_f64 v[10:11], v[4:5], v[27:28], v[10:11]
	;; [unrolled: 2-line block ×3, first 2 shown]
	s_clause 0x2
	global_store_b128 v[33:34], v[0:3], off
	global_store_b128 v[33:34], v[8:11], off offset:16
	global_store_b128 v[33:34], v[12:15], off offset:32
.LBB138_29:
	s_nop 0
	s_sendmsg sendmsg(MSG_DEALLOC_VGPRS)
	s_endpgm
	.section	.rodata,"a",@progbits
	.p2align	6, 0x0
	.amdhsa_kernel _ZN9rocsparseL19gebsrmvn_3xn_kernelILj128ELj7ELj16E21rocsparse_complex_numIdEEEvi20rocsparse_direction_NS_24const_host_device_scalarIT2_EEPKiS8_PKS5_SA_S6_PS5_21rocsparse_index_base_b
		.amdhsa_group_segment_fixed_size 2048
		.amdhsa_private_segment_fixed_size 0
		.amdhsa_kernarg_size 88
		.amdhsa_user_sgpr_count 15
		.amdhsa_user_sgpr_dispatch_ptr 1
		.amdhsa_user_sgpr_queue_ptr 0
		.amdhsa_user_sgpr_kernarg_segment_ptr 1
		.amdhsa_user_sgpr_dispatch_id 0
		.amdhsa_user_sgpr_private_segment_size 0
		.amdhsa_wavefront_size32 1
		.amdhsa_uses_dynamic_stack 0
		.amdhsa_enable_private_segment 0
		.amdhsa_system_sgpr_workgroup_id_x 1
		.amdhsa_system_sgpr_workgroup_id_y 0
		.amdhsa_system_sgpr_workgroup_id_z 0
		.amdhsa_system_sgpr_workgroup_info 0
		.amdhsa_system_vgpr_workitem_id 2
		.amdhsa_next_free_vgpr 104
		.amdhsa_next_free_sgpr 18
		.amdhsa_reserve_vcc 1
		.amdhsa_float_round_mode_32 0
		.amdhsa_float_round_mode_16_64 0
		.amdhsa_float_denorm_mode_32 3
		.amdhsa_float_denorm_mode_16_64 3
		.amdhsa_dx10_clamp 1
		.amdhsa_ieee_mode 1
		.amdhsa_fp16_overflow 0
		.amdhsa_workgroup_processor_mode 1
		.amdhsa_memory_ordered 1
		.amdhsa_forward_progress 0
		.amdhsa_shared_vgpr_count 0
		.amdhsa_exception_fp_ieee_invalid_op 0
		.amdhsa_exception_fp_denorm_src 0
		.amdhsa_exception_fp_ieee_div_zero 0
		.amdhsa_exception_fp_ieee_overflow 0
		.amdhsa_exception_fp_ieee_underflow 0
		.amdhsa_exception_fp_ieee_inexact 0
		.amdhsa_exception_int_div_zero 0
	.end_amdhsa_kernel
	.section	.text._ZN9rocsparseL19gebsrmvn_3xn_kernelILj128ELj7ELj16E21rocsparse_complex_numIdEEEvi20rocsparse_direction_NS_24const_host_device_scalarIT2_EEPKiS8_PKS5_SA_S6_PS5_21rocsparse_index_base_b,"axG",@progbits,_ZN9rocsparseL19gebsrmvn_3xn_kernelILj128ELj7ELj16E21rocsparse_complex_numIdEEEvi20rocsparse_direction_NS_24const_host_device_scalarIT2_EEPKiS8_PKS5_SA_S6_PS5_21rocsparse_index_base_b,comdat
.Lfunc_end138:
	.size	_ZN9rocsparseL19gebsrmvn_3xn_kernelILj128ELj7ELj16E21rocsparse_complex_numIdEEEvi20rocsparse_direction_NS_24const_host_device_scalarIT2_EEPKiS8_PKS5_SA_S6_PS5_21rocsparse_index_base_b, .Lfunc_end138-_ZN9rocsparseL19gebsrmvn_3xn_kernelILj128ELj7ELj16E21rocsparse_complex_numIdEEEvi20rocsparse_direction_NS_24const_host_device_scalarIT2_EEPKiS8_PKS5_SA_S6_PS5_21rocsparse_index_base_b
                                        ; -- End function
	.section	.AMDGPU.csdata,"",@progbits
; Kernel info:
; codeLenInByte = 4592
; NumSgprs: 20
; NumVgprs: 104
; ScratchSize: 0
; MemoryBound: 0
; FloatMode: 240
; IeeeMode: 1
; LDSByteSize: 2048 bytes/workgroup (compile time only)
; SGPRBlocks: 2
; VGPRBlocks: 12
; NumSGPRsForWavesPerEU: 20
; NumVGPRsForWavesPerEU: 104
; Occupancy: 12
; WaveLimiterHint : 1
; COMPUTE_PGM_RSRC2:SCRATCH_EN: 0
; COMPUTE_PGM_RSRC2:USER_SGPR: 15
; COMPUTE_PGM_RSRC2:TRAP_HANDLER: 0
; COMPUTE_PGM_RSRC2:TGID_X_EN: 1
; COMPUTE_PGM_RSRC2:TGID_Y_EN: 0
; COMPUTE_PGM_RSRC2:TGID_Z_EN: 0
; COMPUTE_PGM_RSRC2:TIDIG_COMP_CNT: 2
	.section	.text._ZN9rocsparseL19gebsrmvn_3xn_kernelILj128ELj7ELj32E21rocsparse_complex_numIdEEEvi20rocsparse_direction_NS_24const_host_device_scalarIT2_EEPKiS8_PKS5_SA_S6_PS5_21rocsparse_index_base_b,"axG",@progbits,_ZN9rocsparseL19gebsrmvn_3xn_kernelILj128ELj7ELj32E21rocsparse_complex_numIdEEEvi20rocsparse_direction_NS_24const_host_device_scalarIT2_EEPKiS8_PKS5_SA_S6_PS5_21rocsparse_index_base_b,comdat
	.globl	_ZN9rocsparseL19gebsrmvn_3xn_kernelILj128ELj7ELj32E21rocsparse_complex_numIdEEEvi20rocsparse_direction_NS_24const_host_device_scalarIT2_EEPKiS8_PKS5_SA_S6_PS5_21rocsparse_index_base_b ; -- Begin function _ZN9rocsparseL19gebsrmvn_3xn_kernelILj128ELj7ELj32E21rocsparse_complex_numIdEEEvi20rocsparse_direction_NS_24const_host_device_scalarIT2_EEPKiS8_PKS5_SA_S6_PS5_21rocsparse_index_base_b
	.p2align	8
	.type	_ZN9rocsparseL19gebsrmvn_3xn_kernelILj128ELj7ELj32E21rocsparse_complex_numIdEEEvi20rocsparse_direction_NS_24const_host_device_scalarIT2_EEPKiS8_PKS5_SA_S6_PS5_21rocsparse_index_base_b,@function
_ZN9rocsparseL19gebsrmvn_3xn_kernelILj128ELj7ELj32E21rocsparse_complex_numIdEEEvi20rocsparse_direction_NS_24const_host_device_scalarIT2_EEPKiS8_PKS5_SA_S6_PS5_21rocsparse_index_base_b: ; @_ZN9rocsparseL19gebsrmvn_3xn_kernelILj128ELj7ELj32E21rocsparse_complex_numIdEEEvi20rocsparse_direction_NS_24const_host_device_scalarIT2_EEPKiS8_PKS5_SA_S6_PS5_21rocsparse_index_base_b
; %bb.0:
	s_load_b64 s[12:13], s[2:3], 0x50
	s_load_b64 s[16:17], s[0:1], 0x4
	s_load_b128 s[8:11], s[2:3], 0x8
	v_bfe_u32 v1, v0, 10, 10
	s_mov_b64 s[0:1], src_shared_base
	s_load_b128 s[4:7], s[2:3], 0x38
	v_and_b32_e32 v12, 0x3ff, v0
	v_bfe_u32 v0, v0, 20, 10
	s_waitcnt lgkmcnt(0)
	s_bitcmp1_b32 s13, 0
	v_mul_u32_u24_e32 v1, s17, v1
	s_cselect_b32 s0, -1, 0
	s_delay_alu instid0(SALU_CYCLE_1)
	s_and_b32 vcc_lo, s0, exec_lo
	s_cselect_b32 s13, s1, s9
	s_lshr_b32 s14, s16, 16
	v_dual_mov_b32 v2, s4 :: v_dual_mov_b32 v3, s5
	s_mul_i32 s14, s14, s17
	v_mov_b32_e32 v6, s13
	v_mad_u32_u24 v1, s14, v12, v1
	s_delay_alu instid0(VALU_DEP_1) | instskip(SKIP_1) | instid1(VALU_DEP_2)
	v_add_lshl_u32 v4, v1, v0, 3
	v_dual_mov_b32 v0, s8 :: v_dual_mov_b32 v1, s9
	v_add_nc_u32_e32 v5, 0x400, v4
	ds_store_2addr_stride64_b64 v4, v[2:3], v[0:1] offset1:2
	v_dual_mov_b32 v2, s10 :: v_dual_mov_b32 v3, s11
	v_cndmask_b32_e64 v5, s8, v5, s0
	s_xor_b32 s10, s0, -1
	flat_load_b64 v[0:1], v[5:6]
	s_cbranch_vccnz .LBB139_2
; %bb.1:
	v_dual_mov_b32 v2, s8 :: v_dual_mov_b32 v3, s9
	flat_load_b64 v[2:3], v[2:3] offset:8
.LBB139_2:
	s_and_b32 s8, s0, exec_lo
	s_cselect_b32 s1, s1, s5
	v_cndmask_b32_e64 v4, s4, v4, s0
	v_dual_mov_b32 v5, s1 :: v_dual_mov_b32 v6, s6
	v_mov_b32_e32 v7, s7
	s_and_not1_b32 vcc_lo, exec_lo, s10
	flat_load_b64 v[4:5], v[4:5]
	s_cbranch_vccnz .LBB139_4
; %bb.3:
	v_dual_mov_b32 v7, s5 :: v_dual_mov_b32 v6, s4
	flat_load_b64 v[6:7], v[6:7] offset:8
.LBB139_4:
	s_waitcnt vmcnt(1) lgkmcnt(1)
	v_cmp_eq_f64_e32 vcc_lo, 0, v[0:1]
	v_cmp_eq_f64_e64 s0, 0, v[2:3]
	s_delay_alu instid0(VALU_DEP_1)
	s_and_b32 s4, vcc_lo, s0
	s_mov_b32 s0, -1
	s_and_saveexec_b32 s1, s4
	s_cbranch_execz .LBB139_6
; %bb.5:
	s_waitcnt vmcnt(0) lgkmcnt(0)
	v_cmp_neq_f64_e32 vcc_lo, 1.0, v[4:5]
	v_cmp_neq_f64_e64 s0, 0, v[6:7]
	s_delay_alu instid0(VALU_DEP_1) | instskip(NEXT) | instid1(SALU_CYCLE_1)
	s_or_b32 s0, vcc_lo, s0
	s_or_not1_b32 s0, s0, exec_lo
.LBB139_6:
	s_or_b32 exec_lo, exec_lo, s1
	s_and_saveexec_b32 s1, s0
	s_cbranch_execz .LBB139_29
; %bb.7:
	s_load_b64 s[0:1], s[2:3], 0x0
	v_lshrrev_b32_e32 v8, 5, v12
	s_delay_alu instid0(VALU_DEP_1) | instskip(SKIP_1) | instid1(VALU_DEP_1)
	v_lshl_or_b32 v8, s15, 2, v8
	s_waitcnt lgkmcnt(0)
	v_cmp_gt_i32_e32 vcc_lo, s0, v8
	s_and_b32 exec_lo, exec_lo, vcc_lo
	s_cbranch_execz .LBB139_29
; %bb.8:
	s_load_b256 s[4:11], s[2:3], 0x18
	v_ashrrev_i32_e32 v9, 31, v8
	v_and_b32_e32 v38, 31, v12
	s_cmp_lg_u32 s1, 0
	s_delay_alu instid0(VALU_DEP_2) | instskip(SKIP_1) | instid1(VALU_DEP_1)
	v_lshlrev_b64 v[9:10], 2, v[8:9]
	s_waitcnt lgkmcnt(0)
	v_add_co_u32 v9, vcc_lo, s4, v9
	s_delay_alu instid0(VALU_DEP_2) | instskip(SKIP_4) | instid1(VALU_DEP_2)
	v_add_co_ci_u32_e32 v10, vcc_lo, s5, v10, vcc_lo
	global_load_b64 v[10:11], v[9:10], off
	s_waitcnt vmcnt(0)
	v_subrev_nc_u32_e32 v9, s12, v10
	v_subrev_nc_u32_e32 v39, s12, v11
	v_add_nc_u32_e32 v9, v9, v38
	s_delay_alu instid0(VALU_DEP_1)
	v_cmp_lt_i32_e64 s0, v9, v39
	s_cbranch_scc0 .LBB139_16
; %bb.9:
	v_mov_b32_e32 v11, 0
	v_mov_b32_e32 v12, 0
	s_delay_alu instid0(VALU_DEP_1)
	v_dual_mov_b32 v20, v12 :: v_dual_mov_b32 v19, v11
	v_dual_mov_b32 v14, v12 :: v_dual_mov_b32 v13, v11
	;; [unrolled: 1-line block ×5, first 2 shown]
	s_and_saveexec_b32 s1, s0
	s_cbranch_execz .LBB139_18
; %bb.10:
	v_mul_lo_u32 v10, v10, 21
	v_dual_mov_b32 v11, 0 :: v_dual_mov_b32 v24, 0
	v_dual_mov_b32 v12, 0 :: v_dual_mov_b32 v25, v9
	v_mul_lo_u32 v40, v9, 21
	s_mul_i32 s4, s12, 21
	s_delay_alu instid0(VALU_DEP_2) | instskip(SKIP_4) | instid1(VALU_DEP_4)
	v_dual_mov_b32 v20, v12 :: v_dual_mov_b32 v19, v11
	v_mad_u32_u24 v10, v38, 21, v10
	v_dual_mov_b32 v14, v12 :: v_dual_mov_b32 v13, v11
	v_dual_mov_b32 v16, v12 :: v_dual_mov_b32 v15, v11
	v_dual_mov_b32 v18, v12 :: v_dual_mov_b32 v17, v11
	v_subrev_nc_u32_e32 v41, s4, v10
	v_dual_mov_b32 v22, v12 :: v_dual_mov_b32 v21, v11
	s_mov_b32 s4, 0
	s_branch .LBB139_12
.LBB139_11:                             ;   in Loop: Header=BB139_12 Depth=1
	v_add_nc_u32_e32 v25, 32, v25
	v_add_nc_u32_e32 v40, 0x2a0, v40
	;; [unrolled: 1-line block ×3, first 2 shown]
	s_delay_alu instid0(VALU_DEP_3) | instskip(SKIP_1) | instid1(SALU_CYCLE_1)
	v_cmp_ge_i32_e32 vcc_lo, v25, v39
	s_or_b32 s4, vcc_lo, s4
	s_and_not1_b32 exec_lo, exec_lo, s4
	s_cbranch_execz .LBB139_17
.LBB139_12:                             ; =>This Loop Header: Depth=1
                                        ;     Child Loop BB139_14 Depth 2
	v_ashrrev_i32_e32 v26, 31, v25
	v_dual_mov_b32 v31, v12 :: v_dual_mov_b32 v30, v11
	v_dual_mov_b32 v33, v20 :: v_dual_mov_b32 v32, v19
	s_delay_alu instid0(VALU_DEP_3) | instskip(SKIP_3) | instid1(VALU_DEP_4)
	v_lshlrev_b64 v[26:27], 2, v[25:26]
	v_dual_mov_b32 v29, v14 :: v_dual_mov_b32 v28, v13
	v_dual_mov_b32 v35, v18 :: v_dual_mov_b32 v34, v17
	;; [unrolled: 1-line block ×3, first 2 shown]
	v_add_co_u32 v26, vcc_lo, s6, v26
	v_add_co_ci_u32_e32 v27, vcc_lo, s7, v27, vcc_lo
	s_mov_b32 s5, 0
	global_load_b32 v10, v[26:27], off
	v_dual_mov_b32 v27, v16 :: v_dual_mov_b32 v26, v15
	s_waitcnt vmcnt(0)
	v_subrev_nc_u32_e32 v10, s12, v10
	s_delay_alu instid0(VALU_DEP_1)
	v_mul_lo_u32 v10, v10, 7
	s_branch .LBB139_14
.LBB139_13:                             ;   in Loop: Header=BB139_12 Depth=1
                                        ; implicit-def: $vgpr36_vgpr37
                                        ; implicit-def: $vgpr34_vgpr35
                                        ; implicit-def: $vgpr26_vgpr27
                                        ; implicit-def: $vgpr28_vgpr29
                                        ; implicit-def: $vgpr32_vgpr33
                                        ; implicit-def: $vgpr30_vgpr31
                                        ; implicit-def: $sgpr5
                                        ; implicit-def: $vgpr10
	s_branch .LBB139_11
.LBB139_14:                             ;   Parent Loop BB139_12 Depth=1
                                        ; =>  This Inner Loop Header: Depth=2
	v_add_nc_u32_e32 v23, s5, v41
	v_dual_mov_b32 v11, v24 :: v_dual_add_nc_u32 v42, s5, v40
	s_cmp_eq_u32 s5, 18
	s_delay_alu instid0(VALU_DEP_2) | instskip(NEXT) | instid1(VALU_DEP_2)
	v_lshlrev_b64 v[12:13], 4, v[23:24]
	v_add_nc_u32_e32 v23, 1, v42
	s_delay_alu instid0(VALU_DEP_3) | instskip(NEXT) | instid1(VALU_DEP_2)
	v_lshlrev_b64 v[14:15], 4, v[10:11]
	v_lshlrev_b64 v[16:17], 4, v[23:24]
	v_add_nc_u32_e32 v23, 2, v42
	v_add_co_u32 v11, vcc_lo, s8, v12
	v_add_co_ci_u32_e32 v12, vcc_lo, s9, v13, vcc_lo
	v_add_co_u32 v18, vcc_lo, s10, v14
	s_delay_alu instid0(VALU_DEP_4) | instskip(SKIP_3) | instid1(VALU_DEP_4)
	v_lshlrev_b64 v[20:21], 4, v[23:24]
	v_add_co_ci_u32_e32 v19, vcc_lo, s11, v15, vcc_lo
	v_add_co_u32 v15, vcc_lo, s8, v16
	v_add_co_ci_u32_e32 v16, vcc_lo, s9, v17, vcc_lo
	v_add_co_u32 v20, vcc_lo, s8, v20
	v_add_co_ci_u32_e32 v21, vcc_lo, s9, v21, vcc_lo
	global_load_b128 v[11:14], v[11:12], off
	global_load_b128 v[43:46], v[18:19], off
	s_clause 0x1
	global_load_b128 v[15:18], v[15:16], off
	global_load_b128 v[47:50], v[20:21], off
	s_waitcnt vmcnt(2)
	v_fma_f64 v[19:20], v[11:12], v[43:44], v[32:33]
	v_fma_f64 v[21:22], v[13:14], v[43:44], v[30:31]
	s_waitcnt vmcnt(1)
	v_fma_f64 v[30:31], v[15:16], v[43:44], v[34:35]
	v_fma_f64 v[32:33], v[17:18], v[43:44], v[36:37]
	;; [unrolled: 3-line block ×3, first 2 shown]
	v_fma_f64 v[19:20], -v[13:14], v[45:46], v[19:20]
	v_fma_f64 v[11:12], v[11:12], v[45:46], v[21:22]
	v_fma_f64 v[17:18], -v[17:18], v[45:46], v[30:31]
	v_fma_f64 v[21:22], v[15:16], v[45:46], v[32:33]
	;; [unrolled: 2-line block ×3, first 2 shown]
	s_cbranch_scc1 .LBB139_13
; %bb.15:                               ;   in Loop: Header=BB139_14 Depth=2
	v_add_nc_u32_e32 v23, 3, v42
	s_add_i32 s5, s5, 6
	s_delay_alu instid0(VALU_DEP_1) | instskip(SKIP_2) | instid1(VALU_DEP_2)
	v_lshlrev_b64 v[26:27], 4, v[23:24]
	v_add_nc_u32_e32 v23, 1, v10
	v_add_nc_u32_e32 v10, 2, v10
	v_lshlrev_b64 v[30:31], 4, v[23:24]
	v_add_nc_u32_e32 v23, 4, v42
	v_add_co_u32 v26, vcc_lo, s8, v26
	v_add_co_ci_u32_e32 v27, vcc_lo, s9, v27, vcc_lo
	s_delay_alu instid0(VALU_DEP_3) | instskip(SKIP_3) | instid1(VALU_DEP_3)
	v_lshlrev_b64 v[32:33], 4, v[23:24]
	v_add_nc_u32_e32 v23, 5, v42
	v_add_co_u32 v30, vcc_lo, s10, v30
	v_add_co_ci_u32_e32 v31, vcc_lo, s11, v31, vcc_lo
	v_lshlrev_b64 v[34:35], 4, v[23:24]
	v_add_co_u32 v32, vcc_lo, s8, v32
	v_add_co_ci_u32_e32 v33, vcc_lo, s9, v33, vcc_lo
	global_load_b128 v[26:29], v[26:27], off
	v_add_co_u32 v34, vcc_lo, s8, v34
	v_add_co_ci_u32_e32 v35, vcc_lo, s9, v35, vcc_lo
	global_load_b128 v[42:45], v[30:31], off
	s_clause 0x1
	global_load_b128 v[46:49], v[32:33], off
	global_load_b128 v[50:53], v[34:35], off
	s_waitcnt vmcnt(2)
	v_fma_f64 v[30:31], v[26:27], v[42:43], v[19:20]
	v_fma_f64 v[34:35], v[28:29], v[42:43], v[11:12]
	s_waitcnt vmcnt(1)
	v_fma_f64 v[36:37], v[46:47], v[42:43], v[17:18]
	v_fma_f64 v[54:55], v[48:49], v[42:43], v[21:22]
	;; [unrolled: 3-line block ×3, first 2 shown]
	v_fma_f64 v[32:33], -v[28:29], v[44:45], v[30:31]
	v_fma_f64 v[30:31], v[26:27], v[44:45], v[34:35]
	v_fma_f64 v[34:35], -v[48:49], v[44:45], v[36:37]
	v_fma_f64 v[36:37], v[46:47], v[44:45], v[54:55]
	;; [unrolled: 2-line block ×3, first 2 shown]
	s_cbranch_execnz .LBB139_14
	s_branch .LBB139_11
.LBB139_16:
                                        ; implicit-def: $vgpr11_vgpr12
                                        ; implicit-def: $vgpr19_vgpr20
                                        ; implicit-def: $vgpr13_vgpr14
                                        ; implicit-def: $vgpr15_vgpr16
                                        ; implicit-def: $vgpr17_vgpr18
                                        ; implicit-def: $vgpr21_vgpr22
	s_branch .LBB139_19
.LBB139_17:
	s_or_b32 exec_lo, exec_lo, s4
.LBB139_18:
	s_delay_alu instid0(SALU_CYCLE_1)
	s_or_b32 exec_lo, exec_lo, s1
	s_cbranch_execnz .LBB139_24
.LBB139_19:
	v_mov_b32_e32 v11, 0
	v_mov_b32_e32 v12, 0
	s_delay_alu instid0(VALU_DEP_1)
	v_dual_mov_b32 v20, v12 :: v_dual_mov_b32 v19, v11
	v_dual_mov_b32 v14, v12 :: v_dual_mov_b32 v13, v11
	;; [unrolled: 1-line block ×5, first 2 shown]
	s_and_saveexec_b32 s1, s0
	s_cbranch_execz .LBB139_23
; %bb.20:
	v_dual_mov_b32 v11, 0 :: v_dual_mov_b32 v26, 0
	v_mov_b32_e32 v12, 0
	v_mad_u64_u32 v[23:24], null, v9, 21, 20
	s_mov_b32 s0, 0
	s_delay_alu instid0(VALU_DEP_2)
	v_dual_mov_b32 v20, v12 :: v_dual_mov_b32 v19, v11
	v_dual_mov_b32 v14, v12 :: v_dual_mov_b32 v13, v11
	;; [unrolled: 1-line block ×5, first 2 shown]
.LBB139_21:                             ; =>This Inner Loop Header: Depth=1
	v_ashrrev_i32_e32 v10, 31, v9
	v_dual_mov_b32 v36, v26 :: v_dual_add_nc_u32 v27, -13, v23
	v_dual_mov_b32 v28, v26 :: v_dual_add_nc_u32 v29, -6, v23
	s_delay_alu instid0(VALU_DEP_3) | instskip(SKIP_1) | instid1(VALU_DEP_3)
	v_lshlrev_b64 v[24:25], 2, v[9:10]
	v_add_nc_u32_e32 v9, 32, v9
	v_lshlrev_b64 v[27:28], 4, v[27:28]
	s_delay_alu instid0(VALU_DEP_3) | instskip(NEXT) | instid1(VALU_DEP_4)
	v_add_co_u32 v24, vcc_lo, s6, v24
	v_add_co_ci_u32_e32 v25, vcc_lo, s7, v25, vcc_lo
	global_load_b32 v10, v[24:25], off
	v_subrev_nc_u32_e32 v25, 20, v23
	v_mov_b32_e32 v24, v26
	s_delay_alu instid0(VALU_DEP_2) | instskip(SKIP_1) | instid1(VALU_DEP_3)
	v_lshlrev_b64 v[31:32], 4, v[25:26]
	v_subrev_nc_u32_e32 v25, 19, v23
	v_lshlrev_b64 v[33:34], 4, v[23:24]
	s_delay_alu instid0(VALU_DEP_2) | instskip(NEXT) | instid1(VALU_DEP_4)
	v_lshlrev_b64 v[24:25], 4, v[25:26]
	v_add_co_u32 v31, vcc_lo, s8, v31
	v_add_co_ci_u32_e32 v32, vcc_lo, s9, v32, vcc_lo
	v_add_co_u32 v40, vcc_lo, s8, v27
	v_add_co_ci_u32_e32 v41, vcc_lo, s9, v28, vcc_lo
	s_waitcnt vmcnt(0)
	v_subrev_nc_u32_e32 v10, s12, v10
	s_delay_alu instid0(VALU_DEP_1) | instskip(SKIP_1) | instid1(VALU_DEP_1)
	v_mul_lo_u32 v35, v10, 7
	v_mov_b32_e32 v30, v26
	v_lshlrev_b64 v[29:30], 4, v[29:30]
	s_delay_alu instid0(VALU_DEP_3) | instskip(NEXT) | instid1(VALU_DEP_2)
	v_lshlrev_b64 v[36:37], 4, v[35:36]
	v_add_co_u32 v42, vcc_lo, s8, v29
	s_delay_alu instid0(VALU_DEP_3)
	v_add_co_ci_u32_e32 v43, vcc_lo, s9, v30, vcc_lo
	v_add_co_u32 v44, vcc_lo, s8, v33
	v_add_co_ci_u32_e32 v45, vcc_lo, s9, v34, vcc_lo
	v_add_co_u32 v24, vcc_lo, s8, v24
	;; [unrolled: 2-line block ×3, first 2 shown]
	v_add_co_ci_u32_e32 v37, vcc_lo, s11, v37, vcc_lo
	s_clause 0x4
	global_load_b128 v[27:30], v[31:32], off
	global_load_b128 v[31:34], v[40:41], off
	;; [unrolled: 1-line block ×5, first 2 shown]
	v_add_nc_u32_e32 v25, 1, v35
	global_load_b128 v[52:55], v[36:37], off
	v_lshlrev_b64 v[56:57], 4, v[25:26]
	v_add_nc_u32_e32 v25, -12, v23
	s_delay_alu instid0(VALU_DEP_2) | instskip(NEXT) | instid1(VALU_DEP_3)
	v_add_co_u32 v36, vcc_lo, s10, v56
	v_add_co_ci_u32_e32 v37, vcc_lo, s11, v57, vcc_lo
	s_delay_alu instid0(VALU_DEP_3)
	v_lshlrev_b64 v[60:61], 4, v[25:26]
	v_add_nc_u32_e32 v25, -5, v23
	global_load_b128 v[56:59], v[36:37], off
	v_add_co_u32 v36, vcc_lo, s8, v60
	v_add_co_ci_u32_e32 v37, vcc_lo, s9, v61, vcc_lo
	v_lshlrev_b64 v[64:65], 4, v[25:26]
	v_subrev_nc_u32_e32 v25, 18, v23
	global_load_b128 v[60:63], v[36:37], off
	v_add_co_u32 v36, vcc_lo, s8, v64
	v_add_co_ci_u32_e32 v37, vcc_lo, s9, v65, vcc_lo
	v_lshlrev_b64 v[68:69], 4, v[25:26]
	v_add_nc_u32_e32 v25, 2, v35
	global_load_b128 v[64:67], v[36:37], off
	v_add_co_u32 v36, vcc_lo, s8, v68
	v_lshlrev_b64 v[72:73], 4, v[25:26]
	v_add_nc_u32_e32 v25, -11, v23
	v_add_co_ci_u32_e32 v37, vcc_lo, s9, v69, vcc_lo
	s_delay_alu instid0(VALU_DEP_2)
	v_lshlrev_b64 v[74:75], 4, v[25:26]
	global_load_b128 v[68:71], v[36:37], off
	v_add_co_u32 v36, vcc_lo, s10, v72
	v_add_co_ci_u32_e32 v37, vcc_lo, s11, v73, vcc_lo
	v_add_co_u32 v76, vcc_lo, s8, v74
	v_add_co_ci_u32_e32 v77, vcc_lo, s9, v75, vcc_lo
	global_load_b128 v[72:75], v[36:37], off
	v_add_nc_u32_e32 v25, -4, v23
	global_load_b128 v[76:79], v[76:77], off
	v_lshlrev_b64 v[80:81], 4, v[25:26]
	v_subrev_nc_u32_e32 v25, 17, v23
	s_delay_alu instid0(VALU_DEP_2) | instskip(NEXT) | instid1(VALU_DEP_3)
	v_add_co_u32 v80, vcc_lo, s8, v80
	v_add_co_ci_u32_e32 v81, vcc_lo, s9, v81, vcc_lo
	s_delay_alu instid0(VALU_DEP_3)
	v_lshlrev_b64 v[36:37], 4, v[25:26]
	v_add_nc_u32_e32 v25, 3, v35
	global_load_b128 v[80:83], v[80:81], off
	v_lshlrev_b64 v[88:89], 4, v[25:26]
	v_add_nc_u32_e32 v25, -10, v23
	v_add_co_u32 v36, vcc_lo, s8, v36
	v_add_co_ci_u32_e32 v37, vcc_lo, s9, v37, vcc_lo
	s_delay_alu instid0(VALU_DEP_3)
	v_lshlrev_b64 v[90:91], 4, v[25:26]
	v_add_nc_u32_e32 v25, -3, v23
	global_load_b128 v[84:87], v[36:37], off
	v_add_co_u32 v36, vcc_lo, s10, v88
	v_lshlrev_b64 v[92:93], 4, v[25:26]
	v_add_co_ci_u32_e32 v37, vcc_lo, s11, v89, vcc_lo
	v_add_co_u32 v94, vcc_lo, s8, v90
	v_add_co_ci_u32_e32 v95, vcc_lo, s9, v91, vcc_lo
	s_delay_alu instid0(VALU_DEP_4) | instskip(SKIP_4) | instid1(VALU_DEP_1)
	v_add_co_u32 v96, vcc_lo, s8, v92
	v_add_co_ci_u32_e32 v97, vcc_lo, s9, v93, vcc_lo
	global_load_b128 v[88:91], v[36:37], off
	global_load_b128 v[92:95], v[94:95], off
	v_add_nc_u32_e32 v25, -16, v23
	v_lshlrev_b64 v[36:37], 4, v[25:26]
	v_add_nc_u32_e32 v25, 4, v35
	s_delay_alu instid0(VALU_DEP_1) | instskip(SKIP_1) | instid1(VALU_DEP_4)
	v_lshlrev_b64 v[98:99], 4, v[25:26]
	v_add_nc_u32_e32 v25, -9, v23
	v_add_co_u32 v36, vcc_lo, s8, v36
	v_add_co_ci_u32_e32 v37, vcc_lo, s9, v37, vcc_lo
	s_waitcnt vmcnt(10)
	v_fma_f64 v[19:20], v[27:28], v[52:53], v[19:20]
	v_fma_f64 v[10:11], v[29:30], v[52:53], v[11:12]
	;; [unrolled: 1-line block ×5, first 2 shown]
	v_fma_f64 v[100:101], -v[29:30], v[54:55], v[19:20]
	v_fma_f64 v[19:20], v[33:34], v[52:53], v[21:22]
	v_fma_f64 v[102:103], v[27:28], v[54:55], v[10:11]
	global_load_b128 v[27:30], v[96:97], off
	v_lshlrev_b64 v[96:97], 4, v[25:26]
	v_add_nc_u32_e32 v25, -2, v23
	v_fma_f64 v[21:22], -v[33:34], v[54:55], v[17:18]
	v_add_co_u32 v10, vcc_lo, s10, v98
	v_add_co_ci_u32_e32 v11, vcc_lo, s11, v99, vcc_lo
	s_delay_alu instid0(VALU_DEP_4) | instskip(SKIP_2) | instid1(VALU_DEP_2)
	v_lshlrev_b64 v[33:34], 4, v[25:26]
	v_add_nc_u32_e32 v25, -15, v23
	v_fma_f64 v[14:15], v[40:41], v[54:55], v[14:15]
	v_lshlrev_b64 v[40:41], 4, v[25:26]
	v_add_nc_u32_e32 v25, 5, v35
	v_fma_f64 v[98:99], v[31:32], v[54:55], v[19:20]
	v_add_co_u32 v31, vcc_lo, s8, v96
	v_add_co_ci_u32_e32 v32, vcc_lo, s9, v97, vcc_lo
	global_load_b128 v[17:20], v[36:37], off
	v_fma_f64 v[36:37], -v[42:43], v[54:55], v[12:13]
	v_add_co_u32 v42, vcc_lo, s8, v33
	v_add_co_ci_u32_e32 v43, vcc_lo, s9, v34, vcc_lo
	v_add_co_u32 v52, vcc_lo, s8, v40
	v_add_co_ci_u32_e32 v53, vcc_lo, s9, v41, vcc_lo
	s_waitcnt vmcnt(11)
	v_fma_f64 v[40:41], v[48:49], v[56:57], v[100:101]
	v_fma_f64 v[96:97], v[50:51], v[56:57], v[102:103]
	global_load_b128 v[10:13], v[10:11], off
	global_load_b128 v[31:34], v[31:32], off
	s_waitcnt vmcnt(12)
	v_fma_f64 v[21:22], v[60:61], v[56:57], v[21:22]
	s_waitcnt vmcnt(11)
	v_fma_f64 v[14:15], v[66:67], v[56:57], v[14:15]
	v_lshlrev_b64 v[54:55], 4, v[25:26]
	v_add_nc_u32_e32 v25, -8, v23
	s_delay_alu instid0(VALU_DEP_1) | instskip(SKIP_1) | instid1(VALU_DEP_4)
	v_lshlrev_b64 v[102:103], 4, v[25:26]
	v_add_nc_u32_e32 v25, -1, v23
	v_add_co_u32 v54, vcc_lo, s10, v54
	v_add_co_ci_u32_e32 v55, vcc_lo, s11, v55, vcc_lo
	v_fma_f64 v[36:37], v[64:65], v[56:57], v[36:37]
	v_fma_f64 v[100:101], -v[50:51], v[58:59], v[40:41]
	global_load_b128 v[40:43], v[42:43], off
	v_fma_f64 v[96:97], v[48:49], v[58:59], v[96:97]
	v_fma_f64 v[48:49], v[62:63], v[56:57], v[98:99]
	v_fma_f64 v[21:22], -v[62:63], v[58:59], v[21:22]
	v_lshlrev_b64 v[62:63], 4, v[25:26]
	v_fma_f64 v[14:15], v[64:65], v[58:59], v[14:15]
	v_add_nc_u32_e32 v25, -14, v23
	s_delay_alu instid0(VALU_DEP_1) | instskip(SKIP_2) | instid1(VALU_DEP_2)
	v_lshlrev_b64 v[64:65], 4, v[25:26]
	v_add_nc_u32_e32 v25, 6, v35
	v_fma_f64 v[36:37], -v[66:67], v[58:59], v[36:37]
	v_lshlrev_b64 v[66:67], 4, v[25:26]
	v_add_nc_u32_e32 v25, -7, v23
	v_add_nc_u32_e32 v23, 0x2a0, v23
	s_delay_alu instid0(VALU_DEP_2)
	v_lshlrev_b64 v[24:25], 4, v[25:26]
	s_waitcnt vmcnt(10)
	v_fma_f64 v[100:101], v[68:69], v[72:73], v[100:101]
	v_fma_f64 v[96:97], v[70:71], v[72:73], v[96:97]
	;; [unrolled: 1-line block ×3, first 2 shown]
	v_add_co_u32 v60, vcc_lo, s8, v102
	v_add_co_ci_u32_e32 v61, vcc_lo, s9, v103, vcc_lo
	v_add_co_u32 v62, vcc_lo, s8, v62
	v_add_co_ci_u32_e32 v63, vcc_lo, s9, v63, vcc_lo
	s_clause 0x1
	global_load_b128 v[48:51], v[52:53], off
	global_load_b128 v[56:59], v[60:61], off
	;; [unrolled: 1-line block ×4, first 2 shown]
	s_waitcnt vmcnt(13)
	v_fma_f64 v[21:22], v[76:77], v[72:73], v[21:22]
	v_add_co_u32 v64, vcc_lo, s8, v64
	v_add_co_ci_u32_e32 v65, vcc_lo, s9, v65, vcc_lo
	s_waitcnt vmcnt(12)
	v_fma_f64 v[14:15], v[82:83], v[72:73], v[14:15]
	v_fma_f64 v[100:101], -v[70:71], v[74:75], v[100:101]
	v_fma_f64 v[96:97], v[68:69], v[74:75], v[96:97]
	v_fma_f64 v[70:71], v[78:79], v[72:73], v[98:99]
	v_add_co_u32 v68, vcc_lo, s10, v66
	v_add_co_ci_u32_e32 v69, vcc_lo, s11, v67, vcc_lo
	global_load_b128 v[64:67], v[64:65], off
	v_add_co_u32 v24, vcc_lo, s8, v24
	v_add_co_ci_u32_e32 v25, vcc_lo, s9, v25, vcc_lo
	v_cmp_ge_i32_e32 vcc_lo, v9, v39
	v_fma_f64 v[21:22], -v[78:79], v[74:75], v[21:22]
	s_or_b32 s0, vcc_lo, s0
	v_fma_f64 v[14:15], v[80:81], v[74:75], v[14:15]
	v_fma_f64 v[98:99], v[76:77], v[74:75], v[70:71]
	global_load_b128 v[68:71], v[68:69], off
	global_load_b128 v[76:79], v[24:25], off
	v_fma_f64 v[24:25], v[80:81], v[72:73], v[36:37]
	s_waitcnt vmcnt(13)
	v_fma_f64 v[35:36], v[84:85], v[88:89], v[100:101]
	v_fma_f64 v[72:73], v[86:87], v[88:89], v[96:97]
	s_waitcnt vmcnt(12)
	v_fma_f64 v[21:22], v[92:93], v[88:89], v[21:22]
	s_delay_alu instid0(VALU_DEP_4) | instskip(SKIP_4) | instid1(VALU_DEP_4)
	v_fma_f64 v[24:25], -v[82:83], v[74:75], v[24:25]
	v_fma_f64 v[74:75], v[94:95], v[88:89], v[98:99]
	v_fma_f64 v[35:36], -v[86:87], v[90:91], v[35:36]
	v_fma_f64 v[72:73], v[84:85], v[90:91], v[72:73]
	;; [unrolled: 2-line block ×3, first 2 shown]
	s_waitcnt vmcnt(11)
	v_fma_f64 v[24:25], v[27:28], v[88:89], v[24:25]
	v_fma_f64 v[14:15], v[29:30], v[88:89], v[14:15]
	s_delay_alu instid0(VALU_DEP_2) | instskip(NEXT) | instid1(VALU_DEP_2)
	v_fma_f64 v[24:25], -v[29:30], v[90:91], v[24:25]
	v_fma_f64 v[14:15], v[27:28], v[90:91], v[14:15]
	s_waitcnt vmcnt(9)
	v_fma_f64 v[27:28], v[17:18], v[10:11], v[35:36]
	v_fma_f64 v[29:30], v[19:20], v[10:11], v[72:73]
	s_waitcnt vmcnt(8)
	v_fma_f64 v[21:22], v[31:32], v[10:11], v[21:22]
	;; [unrolled: 3-line block ×3, first 2 shown]
	v_fma_f64 v[10:11], v[42:43], v[10:11], v[14:15]
	v_fma_f64 v[14:15], -v[19:20], v[12:13], v[27:28]
	v_fma_f64 v[16:17], v[17:18], v[12:13], v[29:30]
	v_fma_f64 v[18:19], -v[33:34], v[12:13], v[21:22]
	;; [unrolled: 2-line block ×3, first 2 shown]
	v_fma_f64 v[10:11], v[40:41], v[12:13], v[10:11]
	s_waitcnt vmcnt(4)
	v_fma_f64 v[12:13], v[48:49], v[52:53], v[14:15]
	v_fma_f64 v[14:15], v[50:51], v[52:53], v[16:17]
	;; [unrolled: 1-line block ×4, first 2 shown]
	s_waitcnt vmcnt(3)
	v_fma_f64 v[20:21], v[60:61], v[52:53], v[24:25]
	v_fma_f64 v[10:11], v[62:63], v[52:53], v[10:11]
	v_fma_f64 v[12:13], -v[50:51], v[54:55], v[12:13]
	v_fma_f64 v[14:15], v[48:49], v[54:55], v[14:15]
	v_fma_f64 v[16:17], -v[58:59], v[54:55], v[16:17]
	;; [unrolled: 2-line block ×3, first 2 shown]
	v_fma_f64 v[10:11], v[60:61], v[54:55], v[10:11]
	s_waitcnt vmcnt(1)
	v_fma_f64 v[12:13], v[64:65], v[68:69], v[12:13]
	v_fma_f64 v[14:15], v[66:67], v[68:69], v[14:15]
	s_waitcnt vmcnt(0)
	v_fma_f64 v[16:17], v[76:77], v[68:69], v[16:17]
	v_fma_f64 v[24:25], v[78:79], v[68:69], v[18:19]
	;; [unrolled: 1-line block ×4, first 2 shown]
	v_fma_f64 v[19:20], -v[66:67], v[70:71], v[12:13]
	v_fma_f64 v[11:12], v[64:65], v[70:71], v[14:15]
	v_fma_f64 v[17:18], -v[78:79], v[70:71], v[16:17]
	v_fma_f64 v[21:22], v[76:77], v[70:71], v[24:25]
	;; [unrolled: 2-line block ×3, first 2 shown]
	s_and_not1_b32 exec_lo, exec_lo, s0
	s_cbranch_execnz .LBB139_21
; %bb.22:
	s_or_b32 exec_lo, exec_lo, s0
.LBB139_23:
	s_delay_alu instid0(SALU_CYCLE_1)
	s_or_b32 exec_lo, exec_lo, s1
.LBB139_24:
	v_mbcnt_lo_u32_b32 v33, -1, 0
	s_delay_alu instid0(VALU_DEP_1) | instskip(NEXT) | instid1(VALU_DEP_1)
	v_xor_b32_e32 v9, 16, v33
	v_cmp_gt_i32_e32 vcc_lo, 32, v9
	v_cndmask_b32_e32 v9, v33, v9, vcc_lo
	s_delay_alu instid0(VALU_DEP_1)
	v_lshlrev_b32_e32 v32, 2, v9
	ds_bpermute_b32 v9, v32, v19
	ds_bpermute_b32 v10, v32, v20
	ds_bpermute_b32 v23, v32, v11
	ds_bpermute_b32 v24, v32, v12
	ds_bpermute_b32 v25, v32, v17
	ds_bpermute_b32 v26, v32, v18
	ds_bpermute_b32 v27, v32, v21
	ds_bpermute_b32 v28, v32, v22
	ds_bpermute_b32 v29, v32, v13
	ds_bpermute_b32 v30, v32, v14
	ds_bpermute_b32 v31, v32, v15
	ds_bpermute_b32 v32, v32, v16
	s_waitcnt lgkmcnt(10)
	v_add_f64 v[9:10], v[19:20], v[9:10]
	s_waitcnt lgkmcnt(8)
	v_add_f64 v[11:12], v[11:12], v[23:24]
	;; [unrolled: 2-line block ×4, first 2 shown]
	v_xor_b32_e32 v21, 8, v33
	s_waitcnt lgkmcnt(2)
	v_add_f64 v[13:14], v[13:14], v[29:30]
	s_waitcnt lgkmcnt(0)
	v_add_f64 v[15:16], v[15:16], v[31:32]
	v_cmp_gt_i32_e32 vcc_lo, 32, v21
	v_cndmask_b32_e32 v21, v33, v21, vcc_lo
	s_delay_alu instid0(VALU_DEP_1)
	v_lshlrev_b32_e32 v32, 2, v21
	ds_bpermute_b32 v21, v32, v9
	ds_bpermute_b32 v22, v32, v10
	;; [unrolled: 1-line block ×12, first 2 shown]
	s_waitcnt lgkmcnt(10)
	v_add_f64 v[9:10], v[9:10], v[21:22]
	v_xor_b32_e32 v21, 4, v33
	s_waitcnt lgkmcnt(8)
	v_add_f64 v[11:12], v[11:12], v[23:24]
	s_waitcnt lgkmcnt(6)
	v_add_f64 v[17:18], v[17:18], v[25:26]
	;; [unrolled: 2-line block ×3, first 2 shown]
	v_cmp_gt_i32_e32 vcc_lo, 32, v21
	s_waitcnt lgkmcnt(2)
	v_add_f64 v[13:14], v[13:14], v[29:30]
	s_waitcnt lgkmcnt(0)
	v_add_f64 v[15:16], v[15:16], v[31:32]
	v_cndmask_b32_e32 v21, v33, v21, vcc_lo
	s_delay_alu instid0(VALU_DEP_1)
	v_lshlrev_b32_e32 v32, 2, v21
	ds_bpermute_b32 v21, v32, v9
	ds_bpermute_b32 v22, v32, v10
	;; [unrolled: 1-line block ×12, first 2 shown]
	s_waitcnt lgkmcnt(10)
	v_add_f64 v[9:10], v[9:10], v[21:22]
	s_waitcnt lgkmcnt(8)
	v_add_f64 v[11:12], v[11:12], v[23:24]
	;; [unrolled: 2-line block ×4, first 2 shown]
	v_xor_b32_e32 v19, 2, v33
	s_waitcnt lgkmcnt(2)
	v_add_f64 v[13:14], v[13:14], v[29:30]
	s_waitcnt lgkmcnt(0)
	v_add_f64 v[15:16], v[15:16], v[31:32]
	v_cmp_gt_i32_e32 vcc_lo, 32, v19
	v_cndmask_b32_e32 v19, v33, v19, vcc_lo
	s_delay_alu instid0(VALU_DEP_1)
	v_lshlrev_b32_e32 v32, 2, v19
	ds_bpermute_b32 v19, v32, v9
	ds_bpermute_b32 v20, v32, v10
	;; [unrolled: 1-line block ×12, first 2 shown]
	s_waitcnt lgkmcnt(10)
	v_add_f64 v[9:10], v[9:10], v[19:20]
	s_waitcnt lgkmcnt(8)
	v_add_f64 v[19:20], v[11:12], v[23:24]
	;; [unrolled: 2-line block ×4, first 2 shown]
	v_xor_b32_e32 v21, 1, v33
	s_waitcnt lgkmcnt(2)
	v_add_f64 v[13:14], v[13:14], v[29:30]
	s_waitcnt lgkmcnt(0)
	v_add_f64 v[15:16], v[15:16], v[31:32]
	v_cmp_gt_i32_e32 vcc_lo, 32, v21
	v_cndmask_b32_e32 v21, v33, v21, vcc_lo
	v_cmp_eq_u32_e32 vcc_lo, 31, v38
	s_delay_alu instid0(VALU_DEP_2)
	v_lshlrev_b32_e32 v24, 2, v21
	ds_bpermute_b32 v31, v24, v9
	ds_bpermute_b32 v32, v24, v10
	;; [unrolled: 1-line block ×12, first 2 shown]
	s_and_b32 exec_lo, exec_lo, vcc_lo
	s_cbranch_execz .LBB139_29
; %bb.25:
	v_cmp_eq_f64_e32 vcc_lo, 0, v[4:5]
	v_cmp_eq_f64_e64 s0, 0, v[6:7]
	s_waitcnt lgkmcnt(10)
	v_add_f64 v[9:10], v[9:10], v[31:32]
	s_waitcnt lgkmcnt(8)
	v_add_f64 v[19:20], v[19:20], v[29:30]
	;; [unrolled: 2-line block ×6, first 2 shown]
	s_load_b64 s[2:3], s[2:3], 0x48
	s_and_b32 s0, vcc_lo, s0
	s_delay_alu instid0(SALU_CYCLE_1) | instskip(NEXT) | instid1(SALU_CYCLE_1)
	s_and_saveexec_b32 s1, s0
	s_xor_b32 s0, exec_lo, s1
	s_cbranch_execz .LBB139_27
; %bb.26:
	v_mul_f64 v[4:5], v[19:20], -v[2:3]
	v_mul_f64 v[6:7], v[0:1], v[19:20]
	v_mul_f64 v[19:20], v[17:18], -v[2:3]
	v_mul_f64 v[17:18], v[0:1], v[17:18]
	;; [unrolled: 2-line block ×3, first 2 shown]
	v_fma_f64 v[4:5], v[0:1], v[9:10], v[4:5]
	v_fma_f64 v[6:7], v[2:3], v[9:10], v[6:7]
	;; [unrolled: 1-line block ×6, first 2 shown]
	v_lshl_add_u32 v13, v8, 1, v8
                                        ; implicit-def: $vgpr8
                                        ; implicit-def: $vgpr19_vgpr20
                                        ; implicit-def: $vgpr17_vgpr18
                                        ; implicit-def: $vgpr15_vgpr16
	s_delay_alu instid0(VALU_DEP_1) | instskip(NEXT) | instid1(VALU_DEP_1)
	v_ashrrev_i32_e32 v14, 31, v13
	v_lshlrev_b64 v[13:14], 4, v[13:14]
	s_waitcnt lgkmcnt(0)
	s_delay_alu instid0(VALU_DEP_1) | instskip(NEXT) | instid1(VALU_DEP_2)
	v_add_co_u32 v13, vcc_lo, s2, v13
	v_add_co_ci_u32_e32 v14, vcc_lo, s3, v14, vcc_lo
	s_clause 0x2
	global_store_b128 v[13:14], v[4:7], off
	global_store_b128 v[13:14], v[9:12], off offset:16
	global_store_b128 v[13:14], v[0:3], off offset:32
                                        ; implicit-def: $vgpr0_vgpr1
                                        ; implicit-def: $vgpr2_vgpr3
                                        ; implicit-def: $vgpr4_vgpr5
                                        ; implicit-def: $vgpr6_vgpr7
                                        ; implicit-def: $vgpr9_vgpr10
                                        ; implicit-def: $vgpr11_vgpr12
                                        ; implicit-def: $vgpr13_vgpr14
.LBB139_27:
	s_and_not1_saveexec_b32 s0, s0
	s_cbranch_execz .LBB139_29
; %bb.28:
	v_lshl_add_u32 v21, v8, 1, v8
	v_mul_f64 v[35:36], v[19:20], -v[2:3]
	v_mul_f64 v[19:20], v[0:1], v[19:20]
	v_mul_f64 v[37:38], v[17:18], -v[2:3]
	v_mul_f64 v[17:18], v[0:1], v[17:18]
	v_ashrrev_i32_e32 v22, 31, v21
	v_mul_f64 v[39:40], v[15:16], -v[2:3]
	v_mul_f64 v[15:16], v[0:1], v[15:16]
	s_delay_alu instid0(VALU_DEP_3) | instskip(SKIP_1) | instid1(VALU_DEP_1)
	v_lshlrev_b64 v[21:22], 4, v[21:22]
	s_waitcnt lgkmcnt(0)
	v_add_co_u32 v33, vcc_lo, s2, v21
	s_delay_alu instid0(VALU_DEP_2)
	v_add_co_ci_u32_e32 v34, vcc_lo, s3, v22, vcc_lo
	s_clause 0x2
	global_load_b128 v[21:24], v[33:34], off
	global_load_b128 v[25:28], v[33:34], off offset:16
	global_load_b128 v[29:32], v[33:34], off offset:32
	v_fma_f64 v[35:36], v[0:1], v[9:10], v[35:36]
	v_fma_f64 v[8:9], v[2:3], v[9:10], v[19:20]
	;; [unrolled: 1-line block ×6, first 2 shown]
	s_waitcnt vmcnt(2)
	v_fma_f64 v[12:13], v[4:5], v[21:22], v[35:36]
	v_fma_f64 v[8:9], v[6:7], v[21:22], v[8:9]
	s_waitcnt vmcnt(1)
	v_fma_f64 v[14:15], v[4:5], v[25:26], v[19:20]
	v_fma_f64 v[10:11], v[6:7], v[25:26], v[10:11]
	;; [unrolled: 3-line block ×3, first 2 shown]
	v_fma_f64 v[0:1], -v[6:7], v[23:24], v[12:13]
	v_fma_f64 v[2:3], v[4:5], v[23:24], v[8:9]
	v_fma_f64 v[8:9], -v[6:7], v[27:28], v[14:15]
	v_fma_f64 v[10:11], v[4:5], v[27:28], v[10:11]
	;; [unrolled: 2-line block ×3, first 2 shown]
	s_clause 0x2
	global_store_b128 v[33:34], v[0:3], off
	global_store_b128 v[33:34], v[8:11], off offset:16
	global_store_b128 v[33:34], v[12:15], off offset:32
.LBB139_29:
	s_nop 0
	s_sendmsg sendmsg(MSG_DEALLOC_VGPRS)
	s_endpgm
	.section	.rodata,"a",@progbits
	.p2align	6, 0x0
	.amdhsa_kernel _ZN9rocsparseL19gebsrmvn_3xn_kernelILj128ELj7ELj32E21rocsparse_complex_numIdEEEvi20rocsparse_direction_NS_24const_host_device_scalarIT2_EEPKiS8_PKS5_SA_S6_PS5_21rocsparse_index_base_b
		.amdhsa_group_segment_fixed_size 2048
		.amdhsa_private_segment_fixed_size 0
		.amdhsa_kernarg_size 88
		.amdhsa_user_sgpr_count 15
		.amdhsa_user_sgpr_dispatch_ptr 1
		.amdhsa_user_sgpr_queue_ptr 0
		.amdhsa_user_sgpr_kernarg_segment_ptr 1
		.amdhsa_user_sgpr_dispatch_id 0
		.amdhsa_user_sgpr_private_segment_size 0
		.amdhsa_wavefront_size32 1
		.amdhsa_uses_dynamic_stack 0
		.amdhsa_enable_private_segment 0
		.amdhsa_system_sgpr_workgroup_id_x 1
		.amdhsa_system_sgpr_workgroup_id_y 0
		.amdhsa_system_sgpr_workgroup_id_z 0
		.amdhsa_system_sgpr_workgroup_info 0
		.amdhsa_system_vgpr_workitem_id 2
		.amdhsa_next_free_vgpr 104
		.amdhsa_next_free_sgpr 18
		.amdhsa_reserve_vcc 1
		.amdhsa_float_round_mode_32 0
		.amdhsa_float_round_mode_16_64 0
		.amdhsa_float_denorm_mode_32 3
		.amdhsa_float_denorm_mode_16_64 3
		.amdhsa_dx10_clamp 1
		.amdhsa_ieee_mode 1
		.amdhsa_fp16_overflow 0
		.amdhsa_workgroup_processor_mode 1
		.amdhsa_memory_ordered 1
		.amdhsa_forward_progress 0
		.amdhsa_shared_vgpr_count 0
		.amdhsa_exception_fp_ieee_invalid_op 0
		.amdhsa_exception_fp_denorm_src 0
		.amdhsa_exception_fp_ieee_div_zero 0
		.amdhsa_exception_fp_ieee_overflow 0
		.amdhsa_exception_fp_ieee_underflow 0
		.amdhsa_exception_fp_ieee_inexact 0
		.amdhsa_exception_int_div_zero 0
	.end_amdhsa_kernel
	.section	.text._ZN9rocsparseL19gebsrmvn_3xn_kernelILj128ELj7ELj32E21rocsparse_complex_numIdEEEvi20rocsparse_direction_NS_24const_host_device_scalarIT2_EEPKiS8_PKS5_SA_S6_PS5_21rocsparse_index_base_b,"axG",@progbits,_ZN9rocsparseL19gebsrmvn_3xn_kernelILj128ELj7ELj32E21rocsparse_complex_numIdEEEvi20rocsparse_direction_NS_24const_host_device_scalarIT2_EEPKiS8_PKS5_SA_S6_PS5_21rocsparse_index_base_b,comdat
.Lfunc_end139:
	.size	_ZN9rocsparseL19gebsrmvn_3xn_kernelILj128ELj7ELj32E21rocsparse_complex_numIdEEEvi20rocsparse_direction_NS_24const_host_device_scalarIT2_EEPKiS8_PKS5_SA_S6_PS5_21rocsparse_index_base_b, .Lfunc_end139-_ZN9rocsparseL19gebsrmvn_3xn_kernelILj128ELj7ELj32E21rocsparse_complex_numIdEEEvi20rocsparse_direction_NS_24const_host_device_scalarIT2_EEPKiS8_PKS5_SA_S6_PS5_21rocsparse_index_base_b
                                        ; -- End function
	.section	.AMDGPU.csdata,"",@progbits
; Kernel info:
; codeLenInByte = 4780
; NumSgprs: 20
; NumVgprs: 104
; ScratchSize: 0
; MemoryBound: 0
; FloatMode: 240
; IeeeMode: 1
; LDSByteSize: 2048 bytes/workgroup (compile time only)
; SGPRBlocks: 2
; VGPRBlocks: 12
; NumSGPRsForWavesPerEU: 20
; NumVGPRsForWavesPerEU: 104
; Occupancy: 12
; WaveLimiterHint : 1
; COMPUTE_PGM_RSRC2:SCRATCH_EN: 0
; COMPUTE_PGM_RSRC2:USER_SGPR: 15
; COMPUTE_PGM_RSRC2:TRAP_HANDLER: 0
; COMPUTE_PGM_RSRC2:TGID_X_EN: 1
; COMPUTE_PGM_RSRC2:TGID_Y_EN: 0
; COMPUTE_PGM_RSRC2:TGID_Z_EN: 0
; COMPUTE_PGM_RSRC2:TIDIG_COMP_CNT: 2
	.section	.text._ZN9rocsparseL19gebsrmvn_3xn_kernelILj128ELj7ELj64E21rocsparse_complex_numIdEEEvi20rocsparse_direction_NS_24const_host_device_scalarIT2_EEPKiS8_PKS5_SA_S6_PS5_21rocsparse_index_base_b,"axG",@progbits,_ZN9rocsparseL19gebsrmvn_3xn_kernelILj128ELj7ELj64E21rocsparse_complex_numIdEEEvi20rocsparse_direction_NS_24const_host_device_scalarIT2_EEPKiS8_PKS5_SA_S6_PS5_21rocsparse_index_base_b,comdat
	.globl	_ZN9rocsparseL19gebsrmvn_3xn_kernelILj128ELj7ELj64E21rocsparse_complex_numIdEEEvi20rocsparse_direction_NS_24const_host_device_scalarIT2_EEPKiS8_PKS5_SA_S6_PS5_21rocsparse_index_base_b ; -- Begin function _ZN9rocsparseL19gebsrmvn_3xn_kernelILj128ELj7ELj64E21rocsparse_complex_numIdEEEvi20rocsparse_direction_NS_24const_host_device_scalarIT2_EEPKiS8_PKS5_SA_S6_PS5_21rocsparse_index_base_b
	.p2align	8
	.type	_ZN9rocsparseL19gebsrmvn_3xn_kernelILj128ELj7ELj64E21rocsparse_complex_numIdEEEvi20rocsparse_direction_NS_24const_host_device_scalarIT2_EEPKiS8_PKS5_SA_S6_PS5_21rocsparse_index_base_b,@function
_ZN9rocsparseL19gebsrmvn_3xn_kernelILj128ELj7ELj64E21rocsparse_complex_numIdEEEvi20rocsparse_direction_NS_24const_host_device_scalarIT2_EEPKiS8_PKS5_SA_S6_PS5_21rocsparse_index_base_b: ; @_ZN9rocsparseL19gebsrmvn_3xn_kernelILj128ELj7ELj64E21rocsparse_complex_numIdEEEvi20rocsparse_direction_NS_24const_host_device_scalarIT2_EEPKiS8_PKS5_SA_S6_PS5_21rocsparse_index_base_b
; %bb.0:
	s_load_b64 s[12:13], s[2:3], 0x50
	s_load_b64 s[16:17], s[0:1], 0x4
	s_load_b128 s[8:11], s[2:3], 0x8
	v_bfe_u32 v1, v0, 10, 10
	s_mov_b64 s[0:1], src_shared_base
	s_load_b128 s[4:7], s[2:3], 0x38
	v_and_b32_e32 v12, 0x3ff, v0
	v_bfe_u32 v0, v0, 20, 10
	s_waitcnt lgkmcnt(0)
	s_bitcmp1_b32 s13, 0
	v_mul_u32_u24_e32 v1, s17, v1
	s_cselect_b32 s0, -1, 0
	s_delay_alu instid0(SALU_CYCLE_1)
	s_and_b32 vcc_lo, s0, exec_lo
	s_cselect_b32 s13, s1, s9
	s_lshr_b32 s14, s16, 16
	v_dual_mov_b32 v2, s4 :: v_dual_mov_b32 v3, s5
	s_mul_i32 s14, s14, s17
	v_mov_b32_e32 v6, s13
	v_mad_u32_u24 v1, s14, v12, v1
	s_delay_alu instid0(VALU_DEP_1) | instskip(SKIP_1) | instid1(VALU_DEP_2)
	v_add_lshl_u32 v4, v1, v0, 3
	v_dual_mov_b32 v0, s8 :: v_dual_mov_b32 v1, s9
	v_add_nc_u32_e32 v5, 0x400, v4
	ds_store_2addr_stride64_b64 v4, v[2:3], v[0:1] offset1:2
	v_dual_mov_b32 v2, s10 :: v_dual_mov_b32 v3, s11
	v_cndmask_b32_e64 v5, s8, v5, s0
	s_xor_b32 s10, s0, -1
	flat_load_b64 v[0:1], v[5:6]
	s_cbranch_vccnz .LBB140_2
; %bb.1:
	v_dual_mov_b32 v2, s8 :: v_dual_mov_b32 v3, s9
	flat_load_b64 v[2:3], v[2:3] offset:8
.LBB140_2:
	s_and_b32 s8, s0, exec_lo
	s_cselect_b32 s1, s1, s5
	v_cndmask_b32_e64 v4, s4, v4, s0
	v_dual_mov_b32 v5, s1 :: v_dual_mov_b32 v6, s6
	v_mov_b32_e32 v7, s7
	s_and_not1_b32 vcc_lo, exec_lo, s10
	flat_load_b64 v[4:5], v[4:5]
	s_cbranch_vccnz .LBB140_4
; %bb.3:
	v_dual_mov_b32 v7, s5 :: v_dual_mov_b32 v6, s4
	flat_load_b64 v[6:7], v[6:7] offset:8
.LBB140_4:
	s_waitcnt vmcnt(1) lgkmcnt(1)
	v_cmp_eq_f64_e32 vcc_lo, 0, v[0:1]
	v_cmp_eq_f64_e64 s0, 0, v[2:3]
	s_delay_alu instid0(VALU_DEP_1)
	s_and_b32 s4, vcc_lo, s0
	s_mov_b32 s0, -1
	s_and_saveexec_b32 s1, s4
	s_cbranch_execz .LBB140_6
; %bb.5:
	s_waitcnt vmcnt(0) lgkmcnt(0)
	v_cmp_neq_f64_e32 vcc_lo, 1.0, v[4:5]
	v_cmp_neq_f64_e64 s0, 0, v[6:7]
	s_delay_alu instid0(VALU_DEP_1) | instskip(NEXT) | instid1(SALU_CYCLE_1)
	s_or_b32 s0, vcc_lo, s0
	s_or_not1_b32 s0, s0, exec_lo
.LBB140_6:
	s_or_b32 exec_lo, exec_lo, s1
	s_and_saveexec_b32 s1, s0
	s_cbranch_execz .LBB140_29
; %bb.7:
	s_load_b64 s[0:1], s[2:3], 0x0
	v_lshrrev_b32_e32 v8, 6, v12
	s_delay_alu instid0(VALU_DEP_1) | instskip(SKIP_1) | instid1(VALU_DEP_1)
	v_lshl_or_b32 v8, s15, 1, v8
	s_waitcnt lgkmcnt(0)
	v_cmp_gt_i32_e32 vcc_lo, s0, v8
	s_and_b32 exec_lo, exec_lo, vcc_lo
	s_cbranch_execz .LBB140_29
; %bb.8:
	s_load_b256 s[4:11], s[2:3], 0x18
	v_ashrrev_i32_e32 v9, 31, v8
	v_and_b32_e32 v38, 63, v12
	s_cmp_lg_u32 s1, 0
	s_delay_alu instid0(VALU_DEP_2) | instskip(SKIP_1) | instid1(VALU_DEP_1)
	v_lshlrev_b64 v[9:10], 2, v[8:9]
	s_waitcnt lgkmcnt(0)
	v_add_co_u32 v9, vcc_lo, s4, v9
	s_delay_alu instid0(VALU_DEP_2) | instskip(SKIP_4) | instid1(VALU_DEP_2)
	v_add_co_ci_u32_e32 v10, vcc_lo, s5, v10, vcc_lo
	global_load_b64 v[10:11], v[9:10], off
	s_waitcnt vmcnt(0)
	v_subrev_nc_u32_e32 v9, s12, v10
	v_subrev_nc_u32_e32 v39, s12, v11
	v_add_nc_u32_e32 v9, v9, v38
	s_delay_alu instid0(VALU_DEP_1)
	v_cmp_lt_i32_e64 s0, v9, v39
	s_cbranch_scc0 .LBB140_16
; %bb.9:
	v_mov_b32_e32 v11, 0
	v_mov_b32_e32 v12, 0
	s_delay_alu instid0(VALU_DEP_1)
	v_dual_mov_b32 v20, v12 :: v_dual_mov_b32 v19, v11
	v_dual_mov_b32 v14, v12 :: v_dual_mov_b32 v13, v11
	;; [unrolled: 1-line block ×5, first 2 shown]
	s_and_saveexec_b32 s1, s0
	s_cbranch_execz .LBB140_18
; %bb.10:
	v_mul_lo_u32 v10, v10, 21
	v_dual_mov_b32 v11, 0 :: v_dual_mov_b32 v24, 0
	v_dual_mov_b32 v12, 0 :: v_dual_mov_b32 v25, v9
	v_mul_lo_u32 v40, v9, 21
	s_mul_i32 s4, s12, 21
	s_delay_alu instid0(VALU_DEP_2) | instskip(SKIP_4) | instid1(VALU_DEP_4)
	v_dual_mov_b32 v20, v12 :: v_dual_mov_b32 v19, v11
	v_mad_u32_u24 v10, v38, 21, v10
	v_dual_mov_b32 v14, v12 :: v_dual_mov_b32 v13, v11
	v_dual_mov_b32 v16, v12 :: v_dual_mov_b32 v15, v11
	;; [unrolled: 1-line block ×3, first 2 shown]
	v_subrev_nc_u32_e32 v41, s4, v10
	v_dual_mov_b32 v22, v12 :: v_dual_mov_b32 v21, v11
	s_mov_b32 s4, 0
	s_branch .LBB140_12
.LBB140_11:                             ;   in Loop: Header=BB140_12 Depth=1
	v_add_nc_u32_e32 v25, 64, v25
	v_add_nc_u32_e32 v40, 0x540, v40
	;; [unrolled: 1-line block ×3, first 2 shown]
	s_delay_alu instid0(VALU_DEP_3) | instskip(SKIP_1) | instid1(SALU_CYCLE_1)
	v_cmp_ge_i32_e32 vcc_lo, v25, v39
	s_or_b32 s4, vcc_lo, s4
	s_and_not1_b32 exec_lo, exec_lo, s4
	s_cbranch_execz .LBB140_17
.LBB140_12:                             ; =>This Loop Header: Depth=1
                                        ;     Child Loop BB140_14 Depth 2
	v_ashrrev_i32_e32 v26, 31, v25
	v_dual_mov_b32 v31, v12 :: v_dual_mov_b32 v30, v11
	v_dual_mov_b32 v33, v20 :: v_dual_mov_b32 v32, v19
	s_delay_alu instid0(VALU_DEP_3) | instskip(SKIP_3) | instid1(VALU_DEP_4)
	v_lshlrev_b64 v[26:27], 2, v[25:26]
	v_dual_mov_b32 v29, v14 :: v_dual_mov_b32 v28, v13
	v_dual_mov_b32 v35, v18 :: v_dual_mov_b32 v34, v17
	v_dual_mov_b32 v37, v22 :: v_dual_mov_b32 v36, v21
	v_add_co_u32 v26, vcc_lo, s6, v26
	v_add_co_ci_u32_e32 v27, vcc_lo, s7, v27, vcc_lo
	s_mov_b32 s5, 0
	global_load_b32 v10, v[26:27], off
	v_dual_mov_b32 v27, v16 :: v_dual_mov_b32 v26, v15
	s_waitcnt vmcnt(0)
	v_subrev_nc_u32_e32 v10, s12, v10
	s_delay_alu instid0(VALU_DEP_1)
	v_mul_lo_u32 v10, v10, 7
	s_branch .LBB140_14
.LBB140_13:                             ;   in Loop: Header=BB140_12 Depth=1
                                        ; implicit-def: $vgpr36_vgpr37
                                        ; implicit-def: $vgpr34_vgpr35
                                        ; implicit-def: $vgpr26_vgpr27
                                        ; implicit-def: $vgpr28_vgpr29
                                        ; implicit-def: $vgpr32_vgpr33
                                        ; implicit-def: $vgpr30_vgpr31
                                        ; implicit-def: $sgpr5
                                        ; implicit-def: $vgpr10
	s_branch .LBB140_11
.LBB140_14:                             ;   Parent Loop BB140_12 Depth=1
                                        ; =>  This Inner Loop Header: Depth=2
	v_add_nc_u32_e32 v23, s5, v41
	v_dual_mov_b32 v11, v24 :: v_dual_add_nc_u32 v42, s5, v40
	s_cmp_eq_u32 s5, 18
	s_delay_alu instid0(VALU_DEP_2) | instskip(NEXT) | instid1(VALU_DEP_2)
	v_lshlrev_b64 v[12:13], 4, v[23:24]
	v_add_nc_u32_e32 v23, 1, v42
	s_delay_alu instid0(VALU_DEP_3) | instskip(NEXT) | instid1(VALU_DEP_2)
	v_lshlrev_b64 v[14:15], 4, v[10:11]
	v_lshlrev_b64 v[16:17], 4, v[23:24]
	v_add_nc_u32_e32 v23, 2, v42
	v_add_co_u32 v11, vcc_lo, s8, v12
	v_add_co_ci_u32_e32 v12, vcc_lo, s9, v13, vcc_lo
	v_add_co_u32 v18, vcc_lo, s10, v14
	s_delay_alu instid0(VALU_DEP_4) | instskip(SKIP_3) | instid1(VALU_DEP_4)
	v_lshlrev_b64 v[20:21], 4, v[23:24]
	v_add_co_ci_u32_e32 v19, vcc_lo, s11, v15, vcc_lo
	v_add_co_u32 v15, vcc_lo, s8, v16
	v_add_co_ci_u32_e32 v16, vcc_lo, s9, v17, vcc_lo
	v_add_co_u32 v20, vcc_lo, s8, v20
	v_add_co_ci_u32_e32 v21, vcc_lo, s9, v21, vcc_lo
	global_load_b128 v[11:14], v[11:12], off
	global_load_b128 v[43:46], v[18:19], off
	s_clause 0x1
	global_load_b128 v[15:18], v[15:16], off
	global_load_b128 v[47:50], v[20:21], off
	s_waitcnt vmcnt(2)
	v_fma_f64 v[19:20], v[11:12], v[43:44], v[32:33]
	v_fma_f64 v[21:22], v[13:14], v[43:44], v[30:31]
	s_waitcnt vmcnt(1)
	v_fma_f64 v[30:31], v[15:16], v[43:44], v[34:35]
	v_fma_f64 v[32:33], v[17:18], v[43:44], v[36:37]
	;; [unrolled: 3-line block ×3, first 2 shown]
	v_fma_f64 v[19:20], -v[13:14], v[45:46], v[19:20]
	v_fma_f64 v[11:12], v[11:12], v[45:46], v[21:22]
	v_fma_f64 v[17:18], -v[17:18], v[45:46], v[30:31]
	v_fma_f64 v[21:22], v[15:16], v[45:46], v[32:33]
	;; [unrolled: 2-line block ×3, first 2 shown]
	s_cbranch_scc1 .LBB140_13
; %bb.15:                               ;   in Loop: Header=BB140_14 Depth=2
	v_add_nc_u32_e32 v23, 3, v42
	s_add_i32 s5, s5, 6
	s_delay_alu instid0(VALU_DEP_1) | instskip(SKIP_2) | instid1(VALU_DEP_2)
	v_lshlrev_b64 v[26:27], 4, v[23:24]
	v_add_nc_u32_e32 v23, 1, v10
	v_add_nc_u32_e32 v10, 2, v10
	v_lshlrev_b64 v[30:31], 4, v[23:24]
	v_add_nc_u32_e32 v23, 4, v42
	v_add_co_u32 v26, vcc_lo, s8, v26
	v_add_co_ci_u32_e32 v27, vcc_lo, s9, v27, vcc_lo
	s_delay_alu instid0(VALU_DEP_3) | instskip(SKIP_3) | instid1(VALU_DEP_3)
	v_lshlrev_b64 v[32:33], 4, v[23:24]
	v_add_nc_u32_e32 v23, 5, v42
	v_add_co_u32 v30, vcc_lo, s10, v30
	v_add_co_ci_u32_e32 v31, vcc_lo, s11, v31, vcc_lo
	v_lshlrev_b64 v[34:35], 4, v[23:24]
	v_add_co_u32 v32, vcc_lo, s8, v32
	v_add_co_ci_u32_e32 v33, vcc_lo, s9, v33, vcc_lo
	global_load_b128 v[26:29], v[26:27], off
	v_add_co_u32 v34, vcc_lo, s8, v34
	v_add_co_ci_u32_e32 v35, vcc_lo, s9, v35, vcc_lo
	global_load_b128 v[42:45], v[30:31], off
	s_clause 0x1
	global_load_b128 v[46:49], v[32:33], off
	global_load_b128 v[50:53], v[34:35], off
	s_waitcnt vmcnt(2)
	v_fma_f64 v[30:31], v[26:27], v[42:43], v[19:20]
	v_fma_f64 v[34:35], v[28:29], v[42:43], v[11:12]
	s_waitcnt vmcnt(1)
	v_fma_f64 v[36:37], v[46:47], v[42:43], v[17:18]
	v_fma_f64 v[54:55], v[48:49], v[42:43], v[21:22]
	;; [unrolled: 3-line block ×3, first 2 shown]
	v_fma_f64 v[32:33], -v[28:29], v[44:45], v[30:31]
	v_fma_f64 v[30:31], v[26:27], v[44:45], v[34:35]
	v_fma_f64 v[34:35], -v[48:49], v[44:45], v[36:37]
	v_fma_f64 v[36:37], v[46:47], v[44:45], v[54:55]
	;; [unrolled: 2-line block ×3, first 2 shown]
	s_cbranch_execnz .LBB140_14
	s_branch .LBB140_11
.LBB140_16:
                                        ; implicit-def: $vgpr11_vgpr12
                                        ; implicit-def: $vgpr19_vgpr20
                                        ; implicit-def: $vgpr13_vgpr14
                                        ; implicit-def: $vgpr15_vgpr16
                                        ; implicit-def: $vgpr17_vgpr18
                                        ; implicit-def: $vgpr21_vgpr22
	s_branch .LBB140_19
.LBB140_17:
	s_or_b32 exec_lo, exec_lo, s4
.LBB140_18:
	s_delay_alu instid0(SALU_CYCLE_1)
	s_or_b32 exec_lo, exec_lo, s1
	s_cbranch_execnz .LBB140_24
.LBB140_19:
	v_mov_b32_e32 v11, 0
	v_mov_b32_e32 v12, 0
	s_delay_alu instid0(VALU_DEP_1)
	v_dual_mov_b32 v20, v12 :: v_dual_mov_b32 v19, v11
	v_dual_mov_b32 v14, v12 :: v_dual_mov_b32 v13, v11
	;; [unrolled: 1-line block ×5, first 2 shown]
	s_and_saveexec_b32 s1, s0
	s_cbranch_execz .LBB140_23
; %bb.20:
	v_dual_mov_b32 v11, 0 :: v_dual_mov_b32 v26, 0
	v_mov_b32_e32 v12, 0
	v_mad_u64_u32 v[23:24], null, v9, 21, 20
	s_mov_b32 s0, 0
	s_delay_alu instid0(VALU_DEP_2)
	v_dual_mov_b32 v20, v12 :: v_dual_mov_b32 v19, v11
	v_dual_mov_b32 v14, v12 :: v_dual_mov_b32 v13, v11
	;; [unrolled: 1-line block ×5, first 2 shown]
.LBB140_21:                             ; =>This Inner Loop Header: Depth=1
	v_ashrrev_i32_e32 v10, 31, v9
	v_dual_mov_b32 v36, v26 :: v_dual_add_nc_u32 v27, -13, v23
	v_dual_mov_b32 v28, v26 :: v_dual_add_nc_u32 v29, -6, v23
	s_delay_alu instid0(VALU_DEP_3) | instskip(SKIP_1) | instid1(VALU_DEP_3)
	v_lshlrev_b64 v[24:25], 2, v[9:10]
	v_add_nc_u32_e32 v9, 64, v9
	v_lshlrev_b64 v[27:28], 4, v[27:28]
	s_delay_alu instid0(VALU_DEP_3) | instskip(NEXT) | instid1(VALU_DEP_4)
	v_add_co_u32 v24, vcc_lo, s6, v24
	v_add_co_ci_u32_e32 v25, vcc_lo, s7, v25, vcc_lo
	global_load_b32 v10, v[24:25], off
	v_subrev_nc_u32_e32 v25, 20, v23
	v_mov_b32_e32 v24, v26
	s_delay_alu instid0(VALU_DEP_2) | instskip(SKIP_1) | instid1(VALU_DEP_3)
	v_lshlrev_b64 v[31:32], 4, v[25:26]
	v_subrev_nc_u32_e32 v25, 19, v23
	v_lshlrev_b64 v[33:34], 4, v[23:24]
	s_delay_alu instid0(VALU_DEP_2) | instskip(NEXT) | instid1(VALU_DEP_4)
	v_lshlrev_b64 v[24:25], 4, v[25:26]
	v_add_co_u32 v31, vcc_lo, s8, v31
	v_add_co_ci_u32_e32 v32, vcc_lo, s9, v32, vcc_lo
	v_add_co_u32 v40, vcc_lo, s8, v27
	v_add_co_ci_u32_e32 v41, vcc_lo, s9, v28, vcc_lo
	s_waitcnt vmcnt(0)
	v_subrev_nc_u32_e32 v10, s12, v10
	s_delay_alu instid0(VALU_DEP_1) | instskip(SKIP_1) | instid1(VALU_DEP_1)
	v_mul_lo_u32 v35, v10, 7
	v_mov_b32_e32 v30, v26
	v_lshlrev_b64 v[29:30], 4, v[29:30]
	s_delay_alu instid0(VALU_DEP_3) | instskip(NEXT) | instid1(VALU_DEP_2)
	v_lshlrev_b64 v[36:37], 4, v[35:36]
	v_add_co_u32 v42, vcc_lo, s8, v29
	s_delay_alu instid0(VALU_DEP_3)
	v_add_co_ci_u32_e32 v43, vcc_lo, s9, v30, vcc_lo
	v_add_co_u32 v44, vcc_lo, s8, v33
	v_add_co_ci_u32_e32 v45, vcc_lo, s9, v34, vcc_lo
	v_add_co_u32 v24, vcc_lo, s8, v24
	;; [unrolled: 2-line block ×3, first 2 shown]
	v_add_co_ci_u32_e32 v37, vcc_lo, s11, v37, vcc_lo
	s_clause 0x4
	global_load_b128 v[27:30], v[31:32], off
	global_load_b128 v[31:34], v[40:41], off
	;; [unrolled: 1-line block ×5, first 2 shown]
	v_add_nc_u32_e32 v25, 1, v35
	global_load_b128 v[52:55], v[36:37], off
	v_lshlrev_b64 v[56:57], 4, v[25:26]
	v_add_nc_u32_e32 v25, -12, v23
	s_delay_alu instid0(VALU_DEP_2) | instskip(NEXT) | instid1(VALU_DEP_3)
	v_add_co_u32 v36, vcc_lo, s10, v56
	v_add_co_ci_u32_e32 v37, vcc_lo, s11, v57, vcc_lo
	s_delay_alu instid0(VALU_DEP_3)
	v_lshlrev_b64 v[60:61], 4, v[25:26]
	v_add_nc_u32_e32 v25, -5, v23
	global_load_b128 v[56:59], v[36:37], off
	v_add_co_u32 v36, vcc_lo, s8, v60
	v_add_co_ci_u32_e32 v37, vcc_lo, s9, v61, vcc_lo
	v_lshlrev_b64 v[64:65], 4, v[25:26]
	v_subrev_nc_u32_e32 v25, 18, v23
	global_load_b128 v[60:63], v[36:37], off
	v_add_co_u32 v36, vcc_lo, s8, v64
	v_add_co_ci_u32_e32 v37, vcc_lo, s9, v65, vcc_lo
	v_lshlrev_b64 v[68:69], 4, v[25:26]
	v_add_nc_u32_e32 v25, 2, v35
	global_load_b128 v[64:67], v[36:37], off
	v_add_co_u32 v36, vcc_lo, s8, v68
	v_lshlrev_b64 v[72:73], 4, v[25:26]
	v_add_nc_u32_e32 v25, -11, v23
	v_add_co_ci_u32_e32 v37, vcc_lo, s9, v69, vcc_lo
	s_delay_alu instid0(VALU_DEP_2)
	v_lshlrev_b64 v[74:75], 4, v[25:26]
	global_load_b128 v[68:71], v[36:37], off
	v_add_co_u32 v36, vcc_lo, s10, v72
	v_add_co_ci_u32_e32 v37, vcc_lo, s11, v73, vcc_lo
	v_add_co_u32 v76, vcc_lo, s8, v74
	v_add_co_ci_u32_e32 v77, vcc_lo, s9, v75, vcc_lo
	global_load_b128 v[72:75], v[36:37], off
	v_add_nc_u32_e32 v25, -4, v23
	global_load_b128 v[76:79], v[76:77], off
	v_lshlrev_b64 v[80:81], 4, v[25:26]
	v_subrev_nc_u32_e32 v25, 17, v23
	s_delay_alu instid0(VALU_DEP_2) | instskip(NEXT) | instid1(VALU_DEP_3)
	v_add_co_u32 v80, vcc_lo, s8, v80
	v_add_co_ci_u32_e32 v81, vcc_lo, s9, v81, vcc_lo
	s_delay_alu instid0(VALU_DEP_3)
	v_lshlrev_b64 v[36:37], 4, v[25:26]
	v_add_nc_u32_e32 v25, 3, v35
	global_load_b128 v[80:83], v[80:81], off
	v_lshlrev_b64 v[88:89], 4, v[25:26]
	v_add_nc_u32_e32 v25, -10, v23
	v_add_co_u32 v36, vcc_lo, s8, v36
	v_add_co_ci_u32_e32 v37, vcc_lo, s9, v37, vcc_lo
	s_delay_alu instid0(VALU_DEP_3)
	v_lshlrev_b64 v[90:91], 4, v[25:26]
	v_add_nc_u32_e32 v25, -3, v23
	global_load_b128 v[84:87], v[36:37], off
	v_add_co_u32 v36, vcc_lo, s10, v88
	v_lshlrev_b64 v[92:93], 4, v[25:26]
	v_add_co_ci_u32_e32 v37, vcc_lo, s11, v89, vcc_lo
	v_add_co_u32 v94, vcc_lo, s8, v90
	v_add_co_ci_u32_e32 v95, vcc_lo, s9, v91, vcc_lo
	s_delay_alu instid0(VALU_DEP_4) | instskip(SKIP_4) | instid1(VALU_DEP_1)
	v_add_co_u32 v96, vcc_lo, s8, v92
	v_add_co_ci_u32_e32 v97, vcc_lo, s9, v93, vcc_lo
	global_load_b128 v[88:91], v[36:37], off
	global_load_b128 v[92:95], v[94:95], off
	v_add_nc_u32_e32 v25, -16, v23
	v_lshlrev_b64 v[36:37], 4, v[25:26]
	v_add_nc_u32_e32 v25, 4, v35
	s_delay_alu instid0(VALU_DEP_1) | instskip(SKIP_1) | instid1(VALU_DEP_4)
	v_lshlrev_b64 v[98:99], 4, v[25:26]
	v_add_nc_u32_e32 v25, -9, v23
	v_add_co_u32 v36, vcc_lo, s8, v36
	v_add_co_ci_u32_e32 v37, vcc_lo, s9, v37, vcc_lo
	s_waitcnt vmcnt(10)
	v_fma_f64 v[19:20], v[27:28], v[52:53], v[19:20]
	v_fma_f64 v[10:11], v[29:30], v[52:53], v[11:12]
	;; [unrolled: 1-line block ×5, first 2 shown]
	v_fma_f64 v[100:101], -v[29:30], v[54:55], v[19:20]
	v_fma_f64 v[19:20], v[33:34], v[52:53], v[21:22]
	v_fma_f64 v[102:103], v[27:28], v[54:55], v[10:11]
	global_load_b128 v[27:30], v[96:97], off
	v_lshlrev_b64 v[96:97], 4, v[25:26]
	v_add_nc_u32_e32 v25, -2, v23
	v_fma_f64 v[21:22], -v[33:34], v[54:55], v[17:18]
	v_add_co_u32 v10, vcc_lo, s10, v98
	v_add_co_ci_u32_e32 v11, vcc_lo, s11, v99, vcc_lo
	s_delay_alu instid0(VALU_DEP_4) | instskip(SKIP_2) | instid1(VALU_DEP_2)
	v_lshlrev_b64 v[33:34], 4, v[25:26]
	v_add_nc_u32_e32 v25, -15, v23
	v_fma_f64 v[14:15], v[40:41], v[54:55], v[14:15]
	v_lshlrev_b64 v[40:41], 4, v[25:26]
	v_add_nc_u32_e32 v25, 5, v35
	v_fma_f64 v[98:99], v[31:32], v[54:55], v[19:20]
	v_add_co_u32 v31, vcc_lo, s8, v96
	v_add_co_ci_u32_e32 v32, vcc_lo, s9, v97, vcc_lo
	global_load_b128 v[17:20], v[36:37], off
	v_fma_f64 v[36:37], -v[42:43], v[54:55], v[12:13]
	v_add_co_u32 v42, vcc_lo, s8, v33
	v_add_co_ci_u32_e32 v43, vcc_lo, s9, v34, vcc_lo
	v_add_co_u32 v52, vcc_lo, s8, v40
	v_add_co_ci_u32_e32 v53, vcc_lo, s9, v41, vcc_lo
	s_waitcnt vmcnt(11)
	v_fma_f64 v[40:41], v[48:49], v[56:57], v[100:101]
	v_fma_f64 v[96:97], v[50:51], v[56:57], v[102:103]
	global_load_b128 v[10:13], v[10:11], off
	global_load_b128 v[31:34], v[31:32], off
	s_waitcnt vmcnt(12)
	v_fma_f64 v[21:22], v[60:61], v[56:57], v[21:22]
	s_waitcnt vmcnt(11)
	v_fma_f64 v[14:15], v[66:67], v[56:57], v[14:15]
	v_lshlrev_b64 v[54:55], 4, v[25:26]
	v_add_nc_u32_e32 v25, -8, v23
	s_delay_alu instid0(VALU_DEP_1) | instskip(SKIP_1) | instid1(VALU_DEP_4)
	v_lshlrev_b64 v[102:103], 4, v[25:26]
	v_add_nc_u32_e32 v25, -1, v23
	v_add_co_u32 v54, vcc_lo, s10, v54
	v_add_co_ci_u32_e32 v55, vcc_lo, s11, v55, vcc_lo
	v_fma_f64 v[36:37], v[64:65], v[56:57], v[36:37]
	v_fma_f64 v[100:101], -v[50:51], v[58:59], v[40:41]
	global_load_b128 v[40:43], v[42:43], off
	v_fma_f64 v[96:97], v[48:49], v[58:59], v[96:97]
	v_fma_f64 v[48:49], v[62:63], v[56:57], v[98:99]
	v_fma_f64 v[21:22], -v[62:63], v[58:59], v[21:22]
	v_lshlrev_b64 v[62:63], 4, v[25:26]
	v_fma_f64 v[14:15], v[64:65], v[58:59], v[14:15]
	v_add_nc_u32_e32 v25, -14, v23
	s_delay_alu instid0(VALU_DEP_1) | instskip(SKIP_2) | instid1(VALU_DEP_2)
	v_lshlrev_b64 v[64:65], 4, v[25:26]
	v_add_nc_u32_e32 v25, 6, v35
	v_fma_f64 v[36:37], -v[66:67], v[58:59], v[36:37]
	v_lshlrev_b64 v[66:67], 4, v[25:26]
	v_add_nc_u32_e32 v25, -7, v23
	v_add_nc_u32_e32 v23, 0x540, v23
	s_delay_alu instid0(VALU_DEP_2)
	v_lshlrev_b64 v[24:25], 4, v[25:26]
	s_waitcnt vmcnt(10)
	v_fma_f64 v[100:101], v[68:69], v[72:73], v[100:101]
	v_fma_f64 v[96:97], v[70:71], v[72:73], v[96:97]
	;; [unrolled: 1-line block ×3, first 2 shown]
	v_add_co_u32 v60, vcc_lo, s8, v102
	v_add_co_ci_u32_e32 v61, vcc_lo, s9, v103, vcc_lo
	v_add_co_u32 v62, vcc_lo, s8, v62
	v_add_co_ci_u32_e32 v63, vcc_lo, s9, v63, vcc_lo
	s_clause 0x1
	global_load_b128 v[48:51], v[52:53], off
	global_load_b128 v[56:59], v[60:61], off
	;; [unrolled: 1-line block ×4, first 2 shown]
	s_waitcnt vmcnt(13)
	v_fma_f64 v[21:22], v[76:77], v[72:73], v[21:22]
	v_add_co_u32 v64, vcc_lo, s8, v64
	v_add_co_ci_u32_e32 v65, vcc_lo, s9, v65, vcc_lo
	s_waitcnt vmcnt(12)
	v_fma_f64 v[14:15], v[82:83], v[72:73], v[14:15]
	v_fma_f64 v[100:101], -v[70:71], v[74:75], v[100:101]
	v_fma_f64 v[96:97], v[68:69], v[74:75], v[96:97]
	v_fma_f64 v[70:71], v[78:79], v[72:73], v[98:99]
	v_add_co_u32 v68, vcc_lo, s10, v66
	v_add_co_ci_u32_e32 v69, vcc_lo, s11, v67, vcc_lo
	global_load_b128 v[64:67], v[64:65], off
	v_add_co_u32 v24, vcc_lo, s8, v24
	v_add_co_ci_u32_e32 v25, vcc_lo, s9, v25, vcc_lo
	v_cmp_ge_i32_e32 vcc_lo, v9, v39
	v_fma_f64 v[21:22], -v[78:79], v[74:75], v[21:22]
	s_or_b32 s0, vcc_lo, s0
	v_fma_f64 v[14:15], v[80:81], v[74:75], v[14:15]
	v_fma_f64 v[98:99], v[76:77], v[74:75], v[70:71]
	global_load_b128 v[68:71], v[68:69], off
	global_load_b128 v[76:79], v[24:25], off
	v_fma_f64 v[24:25], v[80:81], v[72:73], v[36:37]
	s_waitcnt vmcnt(13)
	v_fma_f64 v[35:36], v[84:85], v[88:89], v[100:101]
	v_fma_f64 v[72:73], v[86:87], v[88:89], v[96:97]
	s_waitcnt vmcnt(12)
	v_fma_f64 v[21:22], v[92:93], v[88:89], v[21:22]
	s_delay_alu instid0(VALU_DEP_4) | instskip(SKIP_4) | instid1(VALU_DEP_4)
	v_fma_f64 v[24:25], -v[82:83], v[74:75], v[24:25]
	v_fma_f64 v[74:75], v[94:95], v[88:89], v[98:99]
	v_fma_f64 v[35:36], -v[86:87], v[90:91], v[35:36]
	v_fma_f64 v[72:73], v[84:85], v[90:91], v[72:73]
	;; [unrolled: 2-line block ×3, first 2 shown]
	s_waitcnt vmcnt(11)
	v_fma_f64 v[24:25], v[27:28], v[88:89], v[24:25]
	v_fma_f64 v[14:15], v[29:30], v[88:89], v[14:15]
	s_delay_alu instid0(VALU_DEP_2) | instskip(NEXT) | instid1(VALU_DEP_2)
	v_fma_f64 v[24:25], -v[29:30], v[90:91], v[24:25]
	v_fma_f64 v[14:15], v[27:28], v[90:91], v[14:15]
	s_waitcnt vmcnt(9)
	v_fma_f64 v[27:28], v[17:18], v[10:11], v[35:36]
	v_fma_f64 v[29:30], v[19:20], v[10:11], v[72:73]
	s_waitcnt vmcnt(8)
	v_fma_f64 v[21:22], v[31:32], v[10:11], v[21:22]
	;; [unrolled: 3-line block ×3, first 2 shown]
	v_fma_f64 v[10:11], v[42:43], v[10:11], v[14:15]
	v_fma_f64 v[14:15], -v[19:20], v[12:13], v[27:28]
	v_fma_f64 v[16:17], v[17:18], v[12:13], v[29:30]
	v_fma_f64 v[18:19], -v[33:34], v[12:13], v[21:22]
	;; [unrolled: 2-line block ×3, first 2 shown]
	v_fma_f64 v[10:11], v[40:41], v[12:13], v[10:11]
	s_waitcnt vmcnt(4)
	v_fma_f64 v[12:13], v[48:49], v[52:53], v[14:15]
	v_fma_f64 v[14:15], v[50:51], v[52:53], v[16:17]
	;; [unrolled: 1-line block ×4, first 2 shown]
	s_waitcnt vmcnt(3)
	v_fma_f64 v[20:21], v[60:61], v[52:53], v[24:25]
	v_fma_f64 v[10:11], v[62:63], v[52:53], v[10:11]
	v_fma_f64 v[12:13], -v[50:51], v[54:55], v[12:13]
	v_fma_f64 v[14:15], v[48:49], v[54:55], v[14:15]
	v_fma_f64 v[16:17], -v[58:59], v[54:55], v[16:17]
	;; [unrolled: 2-line block ×3, first 2 shown]
	v_fma_f64 v[10:11], v[60:61], v[54:55], v[10:11]
	s_waitcnt vmcnt(1)
	v_fma_f64 v[12:13], v[64:65], v[68:69], v[12:13]
	v_fma_f64 v[14:15], v[66:67], v[68:69], v[14:15]
	s_waitcnt vmcnt(0)
	v_fma_f64 v[16:17], v[76:77], v[68:69], v[16:17]
	v_fma_f64 v[24:25], v[78:79], v[68:69], v[18:19]
	;; [unrolled: 1-line block ×4, first 2 shown]
	v_fma_f64 v[19:20], -v[66:67], v[70:71], v[12:13]
	v_fma_f64 v[11:12], v[64:65], v[70:71], v[14:15]
	v_fma_f64 v[17:18], -v[78:79], v[70:71], v[16:17]
	v_fma_f64 v[21:22], v[76:77], v[70:71], v[24:25]
	;; [unrolled: 2-line block ×3, first 2 shown]
	s_and_not1_b32 exec_lo, exec_lo, s0
	s_cbranch_execnz .LBB140_21
; %bb.22:
	s_or_b32 exec_lo, exec_lo, s0
.LBB140_23:
	s_delay_alu instid0(SALU_CYCLE_1)
	s_or_b32 exec_lo, exec_lo, s1
.LBB140_24:
	v_mbcnt_lo_u32_b32 v33, -1, 0
	s_delay_alu instid0(VALU_DEP_1) | instskip(NEXT) | instid1(VALU_DEP_1)
	v_or_b32_e32 v9, 32, v33
	v_cmp_gt_i32_e32 vcc_lo, 32, v9
	v_cndmask_b32_e32 v9, v33, v9, vcc_lo
	s_delay_alu instid0(VALU_DEP_1)
	v_lshlrev_b32_e32 v32, 2, v9
	ds_bpermute_b32 v9, v32, v19
	ds_bpermute_b32 v10, v32, v20
	;; [unrolled: 1-line block ×12, first 2 shown]
	s_waitcnt lgkmcnt(10)
	v_add_f64 v[9:10], v[19:20], v[9:10]
	s_waitcnt lgkmcnt(8)
	v_add_f64 v[11:12], v[11:12], v[23:24]
	;; [unrolled: 2-line block ×4, first 2 shown]
	v_xor_b32_e32 v21, 16, v33
	s_waitcnt lgkmcnt(2)
	v_add_f64 v[13:14], v[13:14], v[29:30]
	s_waitcnt lgkmcnt(0)
	v_add_f64 v[15:16], v[15:16], v[31:32]
	v_cmp_gt_i32_e32 vcc_lo, 32, v21
	v_cndmask_b32_e32 v21, v33, v21, vcc_lo
	s_delay_alu instid0(VALU_DEP_1)
	v_lshlrev_b32_e32 v32, 2, v21
	ds_bpermute_b32 v21, v32, v9
	ds_bpermute_b32 v22, v32, v10
	;; [unrolled: 1-line block ×12, first 2 shown]
	s_waitcnt lgkmcnt(10)
	v_add_f64 v[9:10], v[9:10], v[21:22]
	v_xor_b32_e32 v21, 8, v33
	s_waitcnt lgkmcnt(8)
	v_add_f64 v[11:12], v[11:12], v[23:24]
	s_waitcnt lgkmcnt(6)
	v_add_f64 v[17:18], v[17:18], v[25:26]
	;; [unrolled: 2-line block ×3, first 2 shown]
	v_cmp_gt_i32_e32 vcc_lo, 32, v21
	s_waitcnt lgkmcnt(2)
	v_add_f64 v[13:14], v[13:14], v[29:30]
	s_waitcnt lgkmcnt(0)
	v_add_f64 v[15:16], v[15:16], v[31:32]
	v_cndmask_b32_e32 v21, v33, v21, vcc_lo
	s_delay_alu instid0(VALU_DEP_1)
	v_lshlrev_b32_e32 v32, 2, v21
	ds_bpermute_b32 v21, v32, v9
	ds_bpermute_b32 v22, v32, v10
	;; [unrolled: 1-line block ×12, first 2 shown]
	s_waitcnt lgkmcnt(10)
	v_add_f64 v[9:10], v[9:10], v[21:22]
	v_xor_b32_e32 v21, 4, v33
	s_waitcnt lgkmcnt(8)
	v_add_f64 v[11:12], v[11:12], v[23:24]
	s_waitcnt lgkmcnt(6)
	v_add_f64 v[17:18], v[17:18], v[25:26]
	;; [unrolled: 2-line block ×3, first 2 shown]
	v_cmp_gt_i32_e32 vcc_lo, 32, v21
	s_waitcnt lgkmcnt(2)
	v_add_f64 v[13:14], v[13:14], v[29:30]
	s_waitcnt lgkmcnt(0)
	v_add_f64 v[15:16], v[15:16], v[31:32]
	v_cndmask_b32_e32 v21, v33, v21, vcc_lo
	s_delay_alu instid0(VALU_DEP_1)
	v_lshlrev_b32_e32 v32, 2, v21
	ds_bpermute_b32 v21, v32, v9
	ds_bpermute_b32 v22, v32, v10
	;; [unrolled: 1-line block ×12, first 2 shown]
	s_waitcnt lgkmcnt(10)
	v_add_f64 v[9:10], v[9:10], v[21:22]
	s_waitcnt lgkmcnt(8)
	v_add_f64 v[11:12], v[11:12], v[23:24]
	;; [unrolled: 2-line block ×4, first 2 shown]
	v_xor_b32_e32 v19, 2, v33
	s_waitcnt lgkmcnt(2)
	v_add_f64 v[13:14], v[13:14], v[29:30]
	s_waitcnt lgkmcnt(0)
	v_add_f64 v[15:16], v[15:16], v[31:32]
	v_cmp_gt_i32_e32 vcc_lo, 32, v19
	v_cndmask_b32_e32 v19, v33, v19, vcc_lo
	s_delay_alu instid0(VALU_DEP_1)
	v_lshlrev_b32_e32 v32, 2, v19
	ds_bpermute_b32 v19, v32, v9
	ds_bpermute_b32 v20, v32, v10
	ds_bpermute_b32 v23, v32, v11
	ds_bpermute_b32 v24, v32, v12
	ds_bpermute_b32 v25, v32, v17
	ds_bpermute_b32 v26, v32, v18
	ds_bpermute_b32 v27, v32, v21
	ds_bpermute_b32 v28, v32, v22
	ds_bpermute_b32 v29, v32, v13
	ds_bpermute_b32 v30, v32, v14
	ds_bpermute_b32 v31, v32, v15
	ds_bpermute_b32 v32, v32, v16
	s_waitcnt lgkmcnt(10)
	v_add_f64 v[9:10], v[9:10], v[19:20]
	s_waitcnt lgkmcnt(8)
	v_add_f64 v[19:20], v[11:12], v[23:24]
	;; [unrolled: 2-line block ×4, first 2 shown]
	v_xor_b32_e32 v21, 1, v33
	s_waitcnt lgkmcnt(2)
	v_add_f64 v[13:14], v[13:14], v[29:30]
	s_waitcnt lgkmcnt(0)
	v_add_f64 v[15:16], v[15:16], v[31:32]
	v_cmp_gt_i32_e32 vcc_lo, 32, v21
	v_cndmask_b32_e32 v21, v33, v21, vcc_lo
	v_cmp_eq_u32_e32 vcc_lo, 63, v38
	s_delay_alu instid0(VALU_DEP_2)
	v_lshlrev_b32_e32 v24, 2, v21
	ds_bpermute_b32 v31, v24, v9
	ds_bpermute_b32 v32, v24, v10
	;; [unrolled: 1-line block ×12, first 2 shown]
	s_and_b32 exec_lo, exec_lo, vcc_lo
	s_cbranch_execz .LBB140_29
; %bb.25:
	v_cmp_eq_f64_e32 vcc_lo, 0, v[4:5]
	v_cmp_eq_f64_e64 s0, 0, v[6:7]
	s_waitcnt lgkmcnt(10)
	v_add_f64 v[9:10], v[9:10], v[31:32]
	s_waitcnt lgkmcnt(8)
	v_add_f64 v[19:20], v[19:20], v[29:30]
	;; [unrolled: 2-line block ×6, first 2 shown]
	s_load_b64 s[2:3], s[2:3], 0x48
	s_and_b32 s0, vcc_lo, s0
	s_delay_alu instid0(SALU_CYCLE_1) | instskip(NEXT) | instid1(SALU_CYCLE_1)
	s_and_saveexec_b32 s1, s0
	s_xor_b32 s0, exec_lo, s1
	s_cbranch_execz .LBB140_27
; %bb.26:
	v_mul_f64 v[4:5], v[19:20], -v[2:3]
	v_mul_f64 v[6:7], v[0:1], v[19:20]
	v_mul_f64 v[19:20], v[17:18], -v[2:3]
	v_mul_f64 v[17:18], v[0:1], v[17:18]
	;; [unrolled: 2-line block ×3, first 2 shown]
	v_fma_f64 v[4:5], v[0:1], v[9:10], v[4:5]
	v_fma_f64 v[6:7], v[2:3], v[9:10], v[6:7]
	v_fma_f64 v[9:10], v[0:1], v[11:12], v[19:20]
	v_fma_f64 v[11:12], v[2:3], v[11:12], v[17:18]
	v_fma_f64 v[0:1], v[0:1], v[13:14], v[21:22]
	v_fma_f64 v[2:3], v[2:3], v[13:14], v[15:16]
	v_lshl_add_u32 v13, v8, 1, v8
                                        ; implicit-def: $vgpr8
                                        ; implicit-def: $vgpr19_vgpr20
                                        ; implicit-def: $vgpr17_vgpr18
                                        ; implicit-def: $vgpr15_vgpr16
	s_delay_alu instid0(VALU_DEP_1) | instskip(NEXT) | instid1(VALU_DEP_1)
	v_ashrrev_i32_e32 v14, 31, v13
	v_lshlrev_b64 v[13:14], 4, v[13:14]
	s_waitcnt lgkmcnt(0)
	s_delay_alu instid0(VALU_DEP_1) | instskip(NEXT) | instid1(VALU_DEP_2)
	v_add_co_u32 v13, vcc_lo, s2, v13
	v_add_co_ci_u32_e32 v14, vcc_lo, s3, v14, vcc_lo
	s_clause 0x2
	global_store_b128 v[13:14], v[4:7], off
	global_store_b128 v[13:14], v[9:12], off offset:16
	global_store_b128 v[13:14], v[0:3], off offset:32
                                        ; implicit-def: $vgpr0_vgpr1
                                        ; implicit-def: $vgpr2_vgpr3
                                        ; implicit-def: $vgpr4_vgpr5
                                        ; implicit-def: $vgpr6_vgpr7
                                        ; implicit-def: $vgpr9_vgpr10
                                        ; implicit-def: $vgpr11_vgpr12
                                        ; implicit-def: $vgpr13_vgpr14
.LBB140_27:
	s_and_not1_saveexec_b32 s0, s0
	s_cbranch_execz .LBB140_29
; %bb.28:
	v_lshl_add_u32 v21, v8, 1, v8
	v_mul_f64 v[35:36], v[19:20], -v[2:3]
	v_mul_f64 v[19:20], v[0:1], v[19:20]
	v_mul_f64 v[37:38], v[17:18], -v[2:3]
	v_mul_f64 v[17:18], v[0:1], v[17:18]
	v_ashrrev_i32_e32 v22, 31, v21
	v_mul_f64 v[39:40], v[15:16], -v[2:3]
	v_mul_f64 v[15:16], v[0:1], v[15:16]
	s_delay_alu instid0(VALU_DEP_3) | instskip(SKIP_1) | instid1(VALU_DEP_1)
	v_lshlrev_b64 v[21:22], 4, v[21:22]
	s_waitcnt lgkmcnt(0)
	v_add_co_u32 v33, vcc_lo, s2, v21
	s_delay_alu instid0(VALU_DEP_2)
	v_add_co_ci_u32_e32 v34, vcc_lo, s3, v22, vcc_lo
	s_clause 0x2
	global_load_b128 v[21:24], v[33:34], off
	global_load_b128 v[25:28], v[33:34], off offset:16
	global_load_b128 v[29:32], v[33:34], off offset:32
	v_fma_f64 v[35:36], v[0:1], v[9:10], v[35:36]
	v_fma_f64 v[8:9], v[2:3], v[9:10], v[19:20]
	;; [unrolled: 1-line block ×6, first 2 shown]
	s_waitcnt vmcnt(2)
	v_fma_f64 v[12:13], v[4:5], v[21:22], v[35:36]
	v_fma_f64 v[8:9], v[6:7], v[21:22], v[8:9]
	s_waitcnt vmcnt(1)
	v_fma_f64 v[14:15], v[4:5], v[25:26], v[19:20]
	v_fma_f64 v[10:11], v[6:7], v[25:26], v[10:11]
	s_waitcnt vmcnt(0)
	v_fma_f64 v[16:17], v[4:5], v[29:30], v[0:1]
	v_fma_f64 v[18:19], v[6:7], v[29:30], v[2:3]
	v_fma_f64 v[0:1], -v[6:7], v[23:24], v[12:13]
	v_fma_f64 v[2:3], v[4:5], v[23:24], v[8:9]
	v_fma_f64 v[8:9], -v[6:7], v[27:28], v[14:15]
	v_fma_f64 v[10:11], v[4:5], v[27:28], v[10:11]
	;; [unrolled: 2-line block ×3, first 2 shown]
	s_clause 0x2
	global_store_b128 v[33:34], v[0:3], off
	global_store_b128 v[33:34], v[8:11], off offset:16
	global_store_b128 v[33:34], v[12:15], off offset:32
.LBB140_29:
	s_nop 0
	s_sendmsg sendmsg(MSG_DEALLOC_VGPRS)
	s_endpgm
	.section	.rodata,"a",@progbits
	.p2align	6, 0x0
	.amdhsa_kernel _ZN9rocsparseL19gebsrmvn_3xn_kernelILj128ELj7ELj64E21rocsparse_complex_numIdEEEvi20rocsparse_direction_NS_24const_host_device_scalarIT2_EEPKiS8_PKS5_SA_S6_PS5_21rocsparse_index_base_b
		.amdhsa_group_segment_fixed_size 2048
		.amdhsa_private_segment_fixed_size 0
		.amdhsa_kernarg_size 88
		.amdhsa_user_sgpr_count 15
		.amdhsa_user_sgpr_dispatch_ptr 1
		.amdhsa_user_sgpr_queue_ptr 0
		.amdhsa_user_sgpr_kernarg_segment_ptr 1
		.amdhsa_user_sgpr_dispatch_id 0
		.amdhsa_user_sgpr_private_segment_size 0
		.amdhsa_wavefront_size32 1
		.amdhsa_uses_dynamic_stack 0
		.amdhsa_enable_private_segment 0
		.amdhsa_system_sgpr_workgroup_id_x 1
		.amdhsa_system_sgpr_workgroup_id_y 0
		.amdhsa_system_sgpr_workgroup_id_z 0
		.amdhsa_system_sgpr_workgroup_info 0
		.amdhsa_system_vgpr_workitem_id 2
		.amdhsa_next_free_vgpr 104
		.amdhsa_next_free_sgpr 18
		.amdhsa_reserve_vcc 1
		.amdhsa_float_round_mode_32 0
		.amdhsa_float_round_mode_16_64 0
		.amdhsa_float_denorm_mode_32 3
		.amdhsa_float_denorm_mode_16_64 3
		.amdhsa_dx10_clamp 1
		.amdhsa_ieee_mode 1
		.amdhsa_fp16_overflow 0
		.amdhsa_workgroup_processor_mode 1
		.amdhsa_memory_ordered 1
		.amdhsa_forward_progress 0
		.amdhsa_shared_vgpr_count 0
		.amdhsa_exception_fp_ieee_invalid_op 0
		.amdhsa_exception_fp_denorm_src 0
		.amdhsa_exception_fp_ieee_div_zero 0
		.amdhsa_exception_fp_ieee_overflow 0
		.amdhsa_exception_fp_ieee_underflow 0
		.amdhsa_exception_fp_ieee_inexact 0
		.amdhsa_exception_int_div_zero 0
	.end_amdhsa_kernel
	.section	.text._ZN9rocsparseL19gebsrmvn_3xn_kernelILj128ELj7ELj64E21rocsparse_complex_numIdEEEvi20rocsparse_direction_NS_24const_host_device_scalarIT2_EEPKiS8_PKS5_SA_S6_PS5_21rocsparse_index_base_b,"axG",@progbits,_ZN9rocsparseL19gebsrmvn_3xn_kernelILj128ELj7ELj64E21rocsparse_complex_numIdEEEvi20rocsparse_direction_NS_24const_host_device_scalarIT2_EEPKiS8_PKS5_SA_S6_PS5_21rocsparse_index_base_b,comdat
.Lfunc_end140:
	.size	_ZN9rocsparseL19gebsrmvn_3xn_kernelILj128ELj7ELj64E21rocsparse_complex_numIdEEEvi20rocsparse_direction_NS_24const_host_device_scalarIT2_EEPKiS8_PKS5_SA_S6_PS5_21rocsparse_index_base_b, .Lfunc_end140-_ZN9rocsparseL19gebsrmvn_3xn_kernelILj128ELj7ELj64E21rocsparse_complex_numIdEEEvi20rocsparse_direction_NS_24const_host_device_scalarIT2_EEPKiS8_PKS5_SA_S6_PS5_21rocsparse_index_base_b
                                        ; -- End function
	.section	.AMDGPU.csdata,"",@progbits
; Kernel info:
; codeLenInByte = 4968
; NumSgprs: 20
; NumVgprs: 104
; ScratchSize: 0
; MemoryBound: 0
; FloatMode: 240
; IeeeMode: 1
; LDSByteSize: 2048 bytes/workgroup (compile time only)
; SGPRBlocks: 2
; VGPRBlocks: 12
; NumSGPRsForWavesPerEU: 20
; NumVGPRsForWavesPerEU: 104
; Occupancy: 12
; WaveLimiterHint : 1
; COMPUTE_PGM_RSRC2:SCRATCH_EN: 0
; COMPUTE_PGM_RSRC2:USER_SGPR: 15
; COMPUTE_PGM_RSRC2:TRAP_HANDLER: 0
; COMPUTE_PGM_RSRC2:TGID_X_EN: 1
; COMPUTE_PGM_RSRC2:TGID_Y_EN: 0
; COMPUTE_PGM_RSRC2:TGID_Z_EN: 0
; COMPUTE_PGM_RSRC2:TIDIG_COMP_CNT: 2
	.section	.text._ZN9rocsparseL19gebsrmvn_3xn_kernelILj128ELj8ELj4E21rocsparse_complex_numIdEEEvi20rocsparse_direction_NS_24const_host_device_scalarIT2_EEPKiS8_PKS5_SA_S6_PS5_21rocsparse_index_base_b,"axG",@progbits,_ZN9rocsparseL19gebsrmvn_3xn_kernelILj128ELj8ELj4E21rocsparse_complex_numIdEEEvi20rocsparse_direction_NS_24const_host_device_scalarIT2_EEPKiS8_PKS5_SA_S6_PS5_21rocsparse_index_base_b,comdat
	.globl	_ZN9rocsparseL19gebsrmvn_3xn_kernelILj128ELj8ELj4E21rocsparse_complex_numIdEEEvi20rocsparse_direction_NS_24const_host_device_scalarIT2_EEPKiS8_PKS5_SA_S6_PS5_21rocsparse_index_base_b ; -- Begin function _ZN9rocsparseL19gebsrmvn_3xn_kernelILj128ELj8ELj4E21rocsparse_complex_numIdEEEvi20rocsparse_direction_NS_24const_host_device_scalarIT2_EEPKiS8_PKS5_SA_S6_PS5_21rocsparse_index_base_b
	.p2align	8
	.type	_ZN9rocsparseL19gebsrmvn_3xn_kernelILj128ELj8ELj4E21rocsparse_complex_numIdEEEvi20rocsparse_direction_NS_24const_host_device_scalarIT2_EEPKiS8_PKS5_SA_S6_PS5_21rocsparse_index_base_b,@function
_ZN9rocsparseL19gebsrmvn_3xn_kernelILj128ELj8ELj4E21rocsparse_complex_numIdEEEvi20rocsparse_direction_NS_24const_host_device_scalarIT2_EEPKiS8_PKS5_SA_S6_PS5_21rocsparse_index_base_b: ; @_ZN9rocsparseL19gebsrmvn_3xn_kernelILj128ELj8ELj4E21rocsparse_complex_numIdEEEvi20rocsparse_direction_NS_24const_host_device_scalarIT2_EEPKiS8_PKS5_SA_S6_PS5_21rocsparse_index_base_b
; %bb.0:
	s_load_b64 s[12:13], s[2:3], 0x50
	s_load_b64 s[16:17], s[0:1], 0x4
	s_load_b128 s[8:11], s[2:3], 0x8
	v_bfe_u32 v1, v0, 10, 10
	s_mov_b64 s[0:1], src_shared_base
	s_load_b128 s[4:7], s[2:3], 0x38
	v_and_b32_e32 v12, 0x3ff, v0
	v_bfe_u32 v0, v0, 20, 10
	s_waitcnt lgkmcnt(0)
	s_bitcmp1_b32 s13, 0
	v_mul_u32_u24_e32 v1, s17, v1
	s_cselect_b32 s0, -1, 0
	s_delay_alu instid0(SALU_CYCLE_1)
	s_and_b32 vcc_lo, s0, exec_lo
	s_cselect_b32 s13, s1, s9
	s_lshr_b32 s14, s16, 16
	v_dual_mov_b32 v2, s4 :: v_dual_mov_b32 v3, s5
	s_mul_i32 s14, s14, s17
	v_mov_b32_e32 v6, s13
	v_mad_u32_u24 v1, s14, v12, v1
	s_delay_alu instid0(VALU_DEP_1) | instskip(SKIP_1) | instid1(VALU_DEP_2)
	v_add_lshl_u32 v4, v1, v0, 3
	v_dual_mov_b32 v0, s8 :: v_dual_mov_b32 v1, s9
	v_add_nc_u32_e32 v5, 0x400, v4
	ds_store_2addr_stride64_b64 v4, v[2:3], v[0:1] offset1:2
	v_dual_mov_b32 v2, s10 :: v_dual_mov_b32 v3, s11
	v_cndmask_b32_e64 v5, s8, v5, s0
	s_xor_b32 s10, s0, -1
	flat_load_b64 v[0:1], v[5:6]
	s_cbranch_vccnz .LBB141_2
; %bb.1:
	v_dual_mov_b32 v2, s8 :: v_dual_mov_b32 v3, s9
	flat_load_b64 v[2:3], v[2:3] offset:8
.LBB141_2:
	s_and_b32 s8, s0, exec_lo
	s_cselect_b32 s1, s1, s5
	v_cndmask_b32_e64 v4, s4, v4, s0
	v_dual_mov_b32 v5, s1 :: v_dual_mov_b32 v6, s6
	v_mov_b32_e32 v7, s7
	s_and_not1_b32 vcc_lo, exec_lo, s10
	flat_load_b64 v[4:5], v[4:5]
	s_cbranch_vccnz .LBB141_4
; %bb.3:
	v_dual_mov_b32 v7, s5 :: v_dual_mov_b32 v6, s4
	flat_load_b64 v[6:7], v[6:7] offset:8
.LBB141_4:
	s_waitcnt vmcnt(1) lgkmcnt(1)
	v_cmp_eq_f64_e32 vcc_lo, 0, v[0:1]
	v_cmp_eq_f64_e64 s0, 0, v[2:3]
	s_delay_alu instid0(VALU_DEP_1)
	s_and_b32 s4, vcc_lo, s0
	s_mov_b32 s0, -1
	s_and_saveexec_b32 s1, s4
	s_cbranch_execz .LBB141_6
; %bb.5:
	s_waitcnt vmcnt(0) lgkmcnt(0)
	v_cmp_neq_f64_e32 vcc_lo, 1.0, v[4:5]
	v_cmp_neq_f64_e64 s0, 0, v[6:7]
	s_delay_alu instid0(VALU_DEP_1) | instskip(NEXT) | instid1(SALU_CYCLE_1)
	s_or_b32 s0, vcc_lo, s0
	s_or_not1_b32 s0, s0, exec_lo
.LBB141_6:
	s_or_b32 exec_lo, exec_lo, s1
	s_and_saveexec_b32 s1, s0
	s_cbranch_execz .LBB141_29
; %bb.7:
	s_load_b64 s[0:1], s[2:3], 0x0
	v_lshrrev_b32_e32 v8, 2, v12
	s_delay_alu instid0(VALU_DEP_1) | instskip(SKIP_1) | instid1(VALU_DEP_1)
	v_lshl_or_b32 v8, s15, 5, v8
	s_waitcnt lgkmcnt(0)
	v_cmp_gt_i32_e32 vcc_lo, s0, v8
	s_and_b32 exec_lo, exec_lo, vcc_lo
	s_cbranch_execz .LBB141_29
; %bb.8:
	s_load_b256 s[4:11], s[2:3], 0x18
	v_ashrrev_i32_e32 v9, 31, v8
	v_and_b32_e32 v33, 3, v12
	s_cmp_lg_u32 s1, 0
	s_delay_alu instid0(VALU_DEP_2) | instskip(SKIP_1) | instid1(VALU_DEP_1)
	v_lshlrev_b64 v[9:10], 2, v[8:9]
	s_waitcnt lgkmcnt(0)
	v_add_co_u32 v9, vcc_lo, s4, v9
	s_delay_alu instid0(VALU_DEP_2) | instskip(SKIP_4) | instid1(VALU_DEP_2)
	v_add_co_ci_u32_e32 v10, vcc_lo, s5, v10, vcc_lo
	global_load_b64 v[10:11], v[9:10], off
	s_waitcnt vmcnt(0)
	v_subrev_nc_u32_e32 v9, s12, v10
	v_subrev_nc_u32_e32 v30, s12, v11
	v_add_nc_u32_e32 v9, v9, v33
	s_delay_alu instid0(VALU_DEP_1)
	v_cmp_lt_i32_e64 s0, v9, v30
	s_cbranch_scc0 .LBB141_16
; %bb.9:
	v_mov_b32_e32 v11, 0
	v_mov_b32_e32 v12, 0
	s_delay_alu instid0(VALU_DEP_1)
	v_dual_mov_b32 v14, v12 :: v_dual_mov_b32 v13, v11
	v_dual_mov_b32 v16, v12 :: v_dual_mov_b32 v15, v11
	;; [unrolled: 1-line block ×5, first 2 shown]
	s_and_saveexec_b32 s1, s0
	s_cbranch_execz .LBB141_15
; %bb.10:
	v_mul_lo_u32 v10, v10, 24
	v_dual_mov_b32 v11, 0 :: v_dual_mov_b32 v24, 0
	v_dual_mov_b32 v12, 0 :: v_dual_mov_b32 v25, v9
	s_mul_i32 s4, s12, 24
	s_mov_b32 s5, 0
	s_delay_alu instid0(VALU_DEP_1) | instskip(NEXT) | instid1(VALU_DEP_4)
	v_dual_mov_b32 v14, v12 :: v_dual_mov_b32 v13, v11
	v_mad_u32_u24 v10, v33, 24, v10
	v_dual_mov_b32 v16, v12 :: v_dual_mov_b32 v15, v11
	v_dual_mov_b32 v18, v12 :: v_dual_mov_b32 v17, v11
	;; [unrolled: 1-line block ×3, first 2 shown]
	s_delay_alu instid0(VALU_DEP_4)
	v_subrev_nc_u32_e32 v10, s4, v10
	v_dual_mov_b32 v22, v12 :: v_dual_mov_b32 v21, v11
	s_add_u32 s4, s10, 16
	s_addc_u32 s13, s11, 0
.LBB141_11:                             ; =>This Loop Header: Depth=1
                                        ;     Child Loop BB141_12 Depth 2
	v_ashrrev_i32_e32 v26, 31, v25
	s_mov_b32 s14, 0
	s_delay_alu instid0(VALU_DEP_1) | instskip(NEXT) | instid1(VALU_DEP_1)
	v_lshlrev_b64 v[26:27], 2, v[25:26]
	v_add_co_u32 v26, vcc_lo, s6, v26
	s_delay_alu instid0(VALU_DEP_2) | instskip(SKIP_3) | instid1(VALU_DEP_1)
	v_add_co_ci_u32_e32 v27, vcc_lo, s7, v27, vcc_lo
	global_load_b32 v23, v[26:27], off
	s_waitcnt vmcnt(0)
	v_subrev_nc_u32_e32 v23, s12, v23
	v_lshlrev_b32_e32 v23, 3, v23
	s_delay_alu instid0(VALU_DEP_1) | instskip(NEXT) | instid1(VALU_DEP_1)
	v_lshlrev_b64 v[26:27], 4, v[23:24]
	v_add_co_u32 v26, vcc_lo, s4, v26
	s_delay_alu instid0(VALU_DEP_2)
	v_add_co_ci_u32_e32 v27, vcc_lo, s13, v27, vcc_lo
.LBB141_12:                             ;   Parent Loop BB141_11 Depth=1
                                        ; =>  This Inner Loop Header: Depth=2
	v_add_nc_u32_e32 v23, s14, v10
	v_mov_b32_e32 v29, v24
	s_clause 0x1
	global_load_b128 v[34:37], v[26:27], off
	global_load_b128 v[38:41], v[26:27], off offset:-16
	s_add_i32 s14, s14, 6
	v_add_nc_u32_e32 v28, 2, v23
	v_lshlrev_b64 v[31:32], 4, v[23:24]
	v_add_nc_u32_e32 v23, 4, v23
	s_cmp_eq_u32 s14, 24
	s_delay_alu instid0(VALU_DEP_3) | instskip(NEXT) | instid1(VALU_DEP_3)
	v_lshlrev_b64 v[28:29], 4, v[28:29]
	v_add_co_u32 v31, vcc_lo, s8, v31
	s_delay_alu instid0(VALU_DEP_4) | instskip(NEXT) | instid1(VALU_DEP_3)
	v_add_co_ci_u32_e32 v32, vcc_lo, s9, v32, vcc_lo
	v_add_co_u32 v28, vcc_lo, s8, v28
	s_delay_alu instid0(VALU_DEP_4)
	v_add_co_ci_u32_e32 v29, vcc_lo, s9, v29, vcc_lo
	s_clause 0x3
	global_load_b128 v[42:45], v[31:32], off
	global_load_b128 v[46:49], v[31:32], off offset:16
	global_load_b128 v[50:53], v[28:29], off
	global_load_b128 v[54:57], v[28:29], off offset:16
	v_lshlrev_b64 v[28:29], 4, v[23:24]
	s_delay_alu instid0(VALU_DEP_1) | instskip(NEXT) | instid1(VALU_DEP_2)
	v_add_co_u32 v28, vcc_lo, s8, v28
	v_add_co_ci_u32_e32 v29, vcc_lo, s9, v29, vcc_lo
	v_add_co_u32 v26, vcc_lo, v26, 32
	s_clause 0x1
	global_load_b128 v[58:61], v[28:29], off
	global_load_b128 v[62:65], v[28:29], off offset:16
	v_add_co_ci_u32_e32 v27, vcc_lo, 0, v27, vcc_lo
	s_waitcnt vmcnt(5)
	v_fma_f64 v[13:14], v[42:43], v[38:39], v[13:14]
	v_fma_f64 v[11:12], v[44:45], v[38:39], v[11:12]
	s_waitcnt vmcnt(4)
	v_fma_f64 v[19:20], v[46:47], v[38:39], v[19:20]
	v_fma_f64 v[21:22], v[48:49], v[38:39], v[21:22]
	s_waitcnt vmcnt(3)
	v_fma_f64 v[15:16], v[50:51], v[38:39], v[15:16]
	v_fma_f64 v[17:18], v[52:53], v[38:39], v[17:18]
	v_fma_f64 v[13:14], -v[44:45], v[40:41], v[13:14]
	v_fma_f64 v[11:12], v[42:43], v[40:41], v[11:12]
	v_fma_f64 v[19:20], -v[48:49], v[40:41], v[19:20]
	v_fma_f64 v[21:22], v[46:47], v[40:41], v[21:22]
	v_fma_f64 v[15:16], -v[52:53], v[40:41], v[15:16]
	v_fma_f64 v[17:18], v[50:51], v[40:41], v[17:18]
	s_waitcnt vmcnt(2)
	v_fma_f64 v[13:14], v[54:55], v[34:35], v[13:14]
	v_fma_f64 v[11:12], v[56:57], v[34:35], v[11:12]
	s_waitcnt vmcnt(1)
	v_fma_f64 v[19:20], v[58:59], v[34:35], v[19:20]
	v_fma_f64 v[21:22], v[60:61], v[34:35], v[21:22]
	s_waitcnt vmcnt(0)
	v_fma_f64 v[15:16], v[62:63], v[34:35], v[15:16]
	v_fma_f64 v[17:18], v[64:65], v[34:35], v[17:18]
	v_fma_f64 v[13:14], -v[56:57], v[36:37], v[13:14]
	v_fma_f64 v[11:12], v[54:55], v[36:37], v[11:12]
	v_fma_f64 v[19:20], -v[60:61], v[36:37], v[19:20]
	v_fma_f64 v[21:22], v[58:59], v[36:37], v[21:22]
	;; [unrolled: 2-line block ×3, first 2 shown]
	s_cbranch_scc0 .LBB141_12
; %bb.13:                               ;   in Loop: Header=BB141_11 Depth=1
	v_add_nc_u32_e32 v25, 4, v25
	v_add_nc_u32_e32 v10, 0x60, v10
	s_delay_alu instid0(VALU_DEP_2) | instskip(SKIP_1) | instid1(SALU_CYCLE_1)
	v_cmp_ge_i32_e32 vcc_lo, v25, v30
	s_or_b32 s5, vcc_lo, s5
	s_and_not1_b32 exec_lo, exec_lo, s5
	s_cbranch_execnz .LBB141_11
; %bb.14:
	s_or_b32 exec_lo, exec_lo, s5
.LBB141_15:
	s_delay_alu instid0(SALU_CYCLE_1)
	s_or_b32 exec_lo, exec_lo, s1
	s_cbranch_execz .LBB141_17
	s_branch .LBB141_24
.LBB141_16:
                                        ; implicit-def: $vgpr11_vgpr12
                                        ; implicit-def: $vgpr13_vgpr14
                                        ; implicit-def: $vgpr15_vgpr16
                                        ; implicit-def: $vgpr17_vgpr18
                                        ; implicit-def: $vgpr19_vgpr20
                                        ; implicit-def: $vgpr21_vgpr22
.LBB141_17:
	v_mov_b32_e32 v11, 0
	v_mov_b32_e32 v12, 0
	s_delay_alu instid0(VALU_DEP_1)
	v_dual_mov_b32 v14, v12 :: v_dual_mov_b32 v13, v11
	v_dual_mov_b32 v16, v12 :: v_dual_mov_b32 v15, v11
	;; [unrolled: 1-line block ×5, first 2 shown]
	s_and_saveexec_b32 s4, s0
	s_cbranch_execz .LBB141_23
; %bb.18:
	v_mul_lo_u32 v23, v9, 24
	v_mov_b32_e32 v11, 0
	v_dual_mov_b32 v12, 0 :: v_dual_mov_b32 v25, 0
	s_mov_b32 s5, 0
	s_delay_alu instid0(VALU_DEP_1) | instskip(NEXT) | instid1(VALU_DEP_3)
	v_mov_b32_e32 v22, v12
	v_dual_mov_b32 v14, v12 :: v_dual_mov_b32 v13, v11
	v_dual_mov_b32 v16, v12 :: v_dual_mov_b32 v15, v11
	;; [unrolled: 1-line block ×4, first 2 shown]
	v_add_nc_u32_e32 v26, 16, v23
	v_dual_mov_b32 v21, v11 :: v_dual_add_nc_u32 v28, 8, v23
.LBB141_19:                             ; =>This Loop Header: Depth=1
                                        ;     Child Loop BB141_20 Depth 2
	v_ashrrev_i32_e32 v10, 31, v9
	v_mov_b32_e32 v24, v25
	v_mov_b32_e32 v29, v25
	s_mov_b64 s[0:1], 0
	s_delay_alu instid0(VALU_DEP_3) | instskip(NEXT) | instid1(VALU_DEP_3)
	v_lshlrev_b64 v[31:32], 2, v[9:10]
	v_lshlrev_b64 v[36:37], 4, v[23:24]
	s_delay_alu instid0(VALU_DEP_2) | instskip(NEXT) | instid1(VALU_DEP_3)
	v_add_co_u32 v31, vcc_lo, s6, v31
	v_add_co_ci_u32_e32 v32, vcc_lo, s7, v32, vcc_lo
	global_load_b32 v10, v[31:32], off
	s_waitcnt vmcnt(0)
	v_subrev_nc_u32_e32 v24, s12, v10
	s_delay_alu instid0(VALU_DEP_1) | instskip(NEXT) | instid1(VALU_DEP_1)
	v_dual_mov_b32 v27, v25 :: v_dual_lshlrev_b32 v24, 3, v24
	v_lshlrev_b64 v[31:32], 4, v[26:27]
	s_delay_alu instid0(VALU_DEP_2) | instskip(SKIP_2) | instid1(VALU_DEP_4)
	v_lshlrev_b64 v[38:39], 4, v[24:25]
	v_mov_b32_e32 v24, v23
	v_lshlrev_b64 v[34:35], 4, v[28:29]
	v_add_co_u32 v10, vcc_lo, s8, v31
	v_add_co_ci_u32_e32 v27, vcc_lo, s9, v32, vcc_lo
	s_delay_alu instid0(VALU_DEP_3) | instskip(NEXT) | instid1(VALU_DEP_4)
	v_add_co_u32 v29, vcc_lo, s8, v34
	v_add_co_ci_u32_e32 v31, vcc_lo, s9, v35, vcc_lo
	v_add_co_u32 v32, vcc_lo, s8, v36
	v_add_co_ci_u32_e32 v34, vcc_lo, s9, v37, vcc_lo
	;; [unrolled: 2-line block ×3, first 2 shown]
.LBB141_20:                             ;   Parent Loop BB141_19 Depth=1
                                        ; =>  This Inner Loop Header: Depth=2
	v_dual_mov_b32 v52, v25 :: v_dual_add_nc_u32 v51, 16, v24
	s_delay_alu instid0(VALU_DEP_3) | instskip(SKIP_1) | instid1(VALU_DEP_4)
	v_add_co_u32 v41, vcc_lo, v35, s0
	v_lshlrev_b64 v[53:54], 4, v[24:25]
	v_add_co_ci_u32_e32 v42, vcc_lo, s1, v36, vcc_lo
	v_add_co_u32 v49, vcc_lo, v29, s0
	v_lshlrev_b64 v[51:52], 4, v[51:52]
	v_add_co_ci_u32_e32 v50, vcc_lo, s1, v31, vcc_lo
	v_add_co_u32 v53, vcc_lo, s8, v53
	v_add_co_ci_u32_e32 v54, vcc_lo, s9, v54, vcc_lo
	s_delay_alu instid0(VALU_DEP_4)
	v_add_co_u32 v57, vcc_lo, s8, v51
	v_add_co_ci_u32_e32 v58, vcc_lo, s9, v52, vcc_lo
	s_clause 0x1
	global_load_b128 v[37:40], v[41:42], off offset:16
	global_load_b128 v[41:44], v[41:42], off
	s_clause 0x3
	global_load_b128 v[45:48], v[49:50], off
	global_load_b128 v[49:52], v[49:50], off offset:16
	global_load_b128 v[53:56], v[53:54], off
	global_load_b128 v[57:60], v[57:58], off
	v_add_co_u32 v61, vcc_lo, v10, s0
	v_add_co_ci_u32_e32 v62, vcc_lo, s1, v27, vcc_lo
	v_add_co_u32 v65, vcc_lo, v32, s0
	v_add_co_ci_u32_e32 v66, vcc_lo, s1, v34, vcc_lo
	s_clause 0x1
	global_load_b128 v[61:64], v[61:62], off offset:16
	global_load_b128 v[65:68], v[65:66], off offset:16
	v_add_nc_u32_e32 v24, 2, v24
	s_add_u32 s0, s0, 32
	s_addc_u32 s1, s1, 0
	s_cmpk_eq_i32 s0, 0x80
	s_waitcnt vmcnt(5)
	v_fma_f64 v[19:20], v[45:46], v[41:42], v[19:20]
	v_fma_f64 v[21:22], v[47:48], v[41:42], v[21:22]
	s_waitcnt vmcnt(3)
	v_fma_f64 v[13:14], v[53:54], v[41:42], v[13:14]
	v_fma_f64 v[11:12], v[55:56], v[41:42], v[11:12]
	;; [unrolled: 3-line block ×3, first 2 shown]
	v_fma_f64 v[19:20], -v[47:48], v[43:44], v[19:20]
	v_fma_f64 v[21:22], v[45:46], v[43:44], v[21:22]
	v_fma_f64 v[13:14], -v[55:56], v[43:44], v[13:14]
	v_fma_f64 v[11:12], v[53:54], v[43:44], v[11:12]
	;; [unrolled: 2-line block ×3, first 2 shown]
	v_fma_f64 v[19:20], v[49:50], v[37:38], v[19:20]
	v_fma_f64 v[21:22], v[51:52], v[37:38], v[21:22]
	s_waitcnt vmcnt(0)
	v_fma_f64 v[13:14], v[65:66], v[37:38], v[13:14]
	v_fma_f64 v[11:12], v[67:68], v[37:38], v[11:12]
	;; [unrolled: 1-line block ×4, first 2 shown]
	v_fma_f64 v[19:20], -v[51:52], v[39:40], v[19:20]
	v_fma_f64 v[21:22], v[49:50], v[39:40], v[21:22]
	v_fma_f64 v[13:14], -v[67:68], v[39:40], v[13:14]
	v_fma_f64 v[11:12], v[65:66], v[39:40], v[11:12]
	v_fma_f64 v[15:16], -v[63:64], v[39:40], v[15:16]
	v_fma_f64 v[17:18], v[61:62], v[39:40], v[17:18]
	s_cbranch_scc0 .LBB141_20
; %bb.21:                               ;   in Loop: Header=BB141_19 Depth=1
	v_add_nc_u32_e32 v9, 4, v9
	v_add_nc_u32_e32 v26, 0x60, v26
	;; [unrolled: 1-line block ×4, first 2 shown]
	s_delay_alu instid0(VALU_DEP_4) | instskip(SKIP_1) | instid1(SALU_CYCLE_1)
	v_cmp_ge_i32_e32 vcc_lo, v9, v30
	s_or_b32 s5, vcc_lo, s5
	s_and_not1_b32 exec_lo, exec_lo, s5
	s_cbranch_execnz .LBB141_19
; %bb.22:
	s_or_b32 exec_lo, exec_lo, s5
.LBB141_23:
	s_delay_alu instid0(SALU_CYCLE_1)
	s_or_b32 exec_lo, exec_lo, s4
.LBB141_24:
	v_mbcnt_lo_u32_b32 v34, -1, 0
	s_delay_alu instid0(VALU_DEP_1) | instskip(NEXT) | instid1(VALU_DEP_1)
	v_xor_b32_e32 v9, 2, v34
	v_cmp_gt_i32_e32 vcc_lo, 32, v9
	v_cndmask_b32_e32 v9, v34, v9, vcc_lo
	s_delay_alu instid0(VALU_DEP_1)
	v_lshlrev_b32_e32 v32, 2, v9
	ds_bpermute_b32 v9, v32, v13
	ds_bpermute_b32 v10, v32, v14
	ds_bpermute_b32 v23, v32, v11
	ds_bpermute_b32 v24, v32, v12
	ds_bpermute_b32 v25, v32, v19
	ds_bpermute_b32 v26, v32, v20
	ds_bpermute_b32 v27, v32, v21
	ds_bpermute_b32 v28, v32, v22
	ds_bpermute_b32 v29, v32, v15
	ds_bpermute_b32 v30, v32, v16
	ds_bpermute_b32 v31, v32, v17
	ds_bpermute_b32 v32, v32, v18
	s_waitcnt lgkmcnt(10)
	v_add_f64 v[9:10], v[13:14], v[9:10]
	s_waitcnt lgkmcnt(8)
	v_add_f64 v[23:24], v[11:12], v[23:24]
	;; [unrolled: 2-line block ×6, first 2 shown]
	v_xor_b32_e32 v17, 1, v34
	s_delay_alu instid0(VALU_DEP_1) | instskip(SKIP_2) | instid1(VALU_DEP_2)
	v_cmp_gt_i32_e32 vcc_lo, 32, v17
	v_cndmask_b32_e32 v17, v34, v17, vcc_lo
	v_cmp_eq_u32_e32 vcc_lo, 3, v33
	v_lshlrev_b32_e32 v28, 2, v17
	ds_bpermute_b32 v31, v28, v9
	ds_bpermute_b32 v32, v28, v10
	ds_bpermute_b32 v19, v28, v23
	ds_bpermute_b32 v20, v28, v24
	ds_bpermute_b32 v29, v28, v11
	ds_bpermute_b32 v30, v28, v12
	ds_bpermute_b32 v17, v28, v21
	ds_bpermute_b32 v18, v28, v22
	ds_bpermute_b32 v25, v28, v13
	ds_bpermute_b32 v26, v28, v14
	ds_bpermute_b32 v27, v28, v15
	ds_bpermute_b32 v28, v28, v16
	s_and_b32 exec_lo, exec_lo, vcc_lo
	s_cbranch_execz .LBB141_29
; %bb.25:
	v_cmp_eq_f64_e32 vcc_lo, 0, v[4:5]
	v_cmp_eq_f64_e64 s0, 0, v[6:7]
	s_waitcnt lgkmcnt(10)
	v_add_f64 v[9:10], v[9:10], v[31:32]
	s_waitcnt lgkmcnt(8)
	v_add_f64 v[19:20], v[23:24], v[19:20]
	;; [unrolled: 2-line block ×6, first 2 shown]
	s_load_b64 s[2:3], s[2:3], 0x48
	s_and_b32 s0, vcc_lo, s0
	s_delay_alu instid0(SALU_CYCLE_1) | instskip(NEXT) | instid1(SALU_CYCLE_1)
	s_and_saveexec_b32 s1, s0
	s_xor_b32 s0, exec_lo, s1
	s_cbranch_execz .LBB141_27
; %bb.26:
	v_mul_f64 v[4:5], v[19:20], -v[2:3]
	v_mul_f64 v[6:7], v[0:1], v[19:20]
	v_mul_f64 v[19:20], v[17:18], -v[2:3]
	v_mul_f64 v[17:18], v[0:1], v[17:18]
	;; [unrolled: 2-line block ×3, first 2 shown]
	v_fma_f64 v[4:5], v[0:1], v[9:10], v[4:5]
	v_fma_f64 v[6:7], v[2:3], v[9:10], v[6:7]
	;; [unrolled: 1-line block ×6, first 2 shown]
	v_lshl_add_u32 v13, v8, 1, v8
                                        ; implicit-def: $vgpr8
                                        ; implicit-def: $vgpr19_vgpr20
                                        ; implicit-def: $vgpr17_vgpr18
                                        ; implicit-def: $vgpr15_vgpr16
	s_delay_alu instid0(VALU_DEP_1) | instskip(NEXT) | instid1(VALU_DEP_1)
	v_ashrrev_i32_e32 v14, 31, v13
	v_lshlrev_b64 v[13:14], 4, v[13:14]
	s_waitcnt lgkmcnt(0)
	s_delay_alu instid0(VALU_DEP_1) | instskip(NEXT) | instid1(VALU_DEP_2)
	v_add_co_u32 v13, vcc_lo, s2, v13
	v_add_co_ci_u32_e32 v14, vcc_lo, s3, v14, vcc_lo
	s_clause 0x2
	global_store_b128 v[13:14], v[4:7], off
	global_store_b128 v[13:14], v[9:12], off offset:16
	global_store_b128 v[13:14], v[0:3], off offset:32
                                        ; implicit-def: $vgpr0_vgpr1
                                        ; implicit-def: $vgpr2_vgpr3
                                        ; implicit-def: $vgpr4_vgpr5
                                        ; implicit-def: $vgpr6_vgpr7
                                        ; implicit-def: $vgpr9_vgpr10
                                        ; implicit-def: $vgpr11_vgpr12
                                        ; implicit-def: $vgpr13_vgpr14
.LBB141_27:
	s_and_not1_saveexec_b32 s0, s0
	s_cbranch_execz .LBB141_29
; %bb.28:
	v_lshl_add_u32 v21, v8, 1, v8
	v_mul_f64 v[35:36], v[19:20], -v[2:3]
	v_mul_f64 v[19:20], v[0:1], v[19:20]
	v_mul_f64 v[37:38], v[17:18], -v[2:3]
	v_mul_f64 v[17:18], v[0:1], v[17:18]
	v_ashrrev_i32_e32 v22, 31, v21
	v_mul_f64 v[39:40], v[15:16], -v[2:3]
	v_mul_f64 v[15:16], v[0:1], v[15:16]
	s_delay_alu instid0(VALU_DEP_3) | instskip(SKIP_1) | instid1(VALU_DEP_1)
	v_lshlrev_b64 v[21:22], 4, v[21:22]
	s_waitcnt lgkmcnt(0)
	v_add_co_u32 v33, vcc_lo, s2, v21
	s_delay_alu instid0(VALU_DEP_2)
	v_add_co_ci_u32_e32 v34, vcc_lo, s3, v22, vcc_lo
	s_clause 0x2
	global_load_b128 v[21:24], v[33:34], off
	global_load_b128 v[25:28], v[33:34], off offset:16
	global_load_b128 v[29:32], v[33:34], off offset:32
	v_fma_f64 v[35:36], v[0:1], v[9:10], v[35:36]
	v_fma_f64 v[8:9], v[2:3], v[9:10], v[19:20]
	;; [unrolled: 1-line block ×6, first 2 shown]
	s_waitcnt vmcnt(2)
	v_fma_f64 v[12:13], v[4:5], v[21:22], v[35:36]
	v_fma_f64 v[8:9], v[6:7], v[21:22], v[8:9]
	s_waitcnt vmcnt(1)
	v_fma_f64 v[14:15], v[4:5], v[25:26], v[19:20]
	v_fma_f64 v[10:11], v[6:7], v[25:26], v[10:11]
	;; [unrolled: 3-line block ×3, first 2 shown]
	v_fma_f64 v[0:1], -v[6:7], v[23:24], v[12:13]
	v_fma_f64 v[2:3], v[4:5], v[23:24], v[8:9]
	v_fma_f64 v[8:9], -v[6:7], v[27:28], v[14:15]
	v_fma_f64 v[10:11], v[4:5], v[27:28], v[10:11]
	;; [unrolled: 2-line block ×3, first 2 shown]
	s_clause 0x2
	global_store_b128 v[33:34], v[0:3], off
	global_store_b128 v[33:34], v[8:11], off offset:16
	global_store_b128 v[33:34], v[12:15], off offset:32
.LBB141_29:
	s_nop 0
	s_sendmsg sendmsg(MSG_DEALLOC_VGPRS)
	s_endpgm
	.section	.rodata,"a",@progbits
	.p2align	6, 0x0
	.amdhsa_kernel _ZN9rocsparseL19gebsrmvn_3xn_kernelILj128ELj8ELj4E21rocsparse_complex_numIdEEEvi20rocsparse_direction_NS_24const_host_device_scalarIT2_EEPKiS8_PKS5_SA_S6_PS5_21rocsparse_index_base_b
		.amdhsa_group_segment_fixed_size 2048
		.amdhsa_private_segment_fixed_size 0
		.amdhsa_kernarg_size 88
		.amdhsa_user_sgpr_count 15
		.amdhsa_user_sgpr_dispatch_ptr 1
		.amdhsa_user_sgpr_queue_ptr 0
		.amdhsa_user_sgpr_kernarg_segment_ptr 1
		.amdhsa_user_sgpr_dispatch_id 0
		.amdhsa_user_sgpr_private_segment_size 0
		.amdhsa_wavefront_size32 1
		.amdhsa_uses_dynamic_stack 0
		.amdhsa_enable_private_segment 0
		.amdhsa_system_sgpr_workgroup_id_x 1
		.amdhsa_system_sgpr_workgroup_id_y 0
		.amdhsa_system_sgpr_workgroup_id_z 0
		.amdhsa_system_sgpr_workgroup_info 0
		.amdhsa_system_vgpr_workitem_id 2
		.amdhsa_next_free_vgpr 69
		.amdhsa_next_free_sgpr 18
		.amdhsa_reserve_vcc 1
		.amdhsa_float_round_mode_32 0
		.amdhsa_float_round_mode_16_64 0
		.amdhsa_float_denorm_mode_32 3
		.amdhsa_float_denorm_mode_16_64 3
		.amdhsa_dx10_clamp 1
		.amdhsa_ieee_mode 1
		.amdhsa_fp16_overflow 0
		.amdhsa_workgroup_processor_mode 1
		.amdhsa_memory_ordered 1
		.amdhsa_forward_progress 0
		.amdhsa_shared_vgpr_count 0
		.amdhsa_exception_fp_ieee_invalid_op 0
		.amdhsa_exception_fp_denorm_src 0
		.amdhsa_exception_fp_ieee_div_zero 0
		.amdhsa_exception_fp_ieee_overflow 0
		.amdhsa_exception_fp_ieee_underflow 0
		.amdhsa_exception_fp_ieee_inexact 0
		.amdhsa_exception_int_div_zero 0
	.end_amdhsa_kernel
	.section	.text._ZN9rocsparseL19gebsrmvn_3xn_kernelILj128ELj8ELj4E21rocsparse_complex_numIdEEEvi20rocsparse_direction_NS_24const_host_device_scalarIT2_EEPKiS8_PKS5_SA_S6_PS5_21rocsparse_index_base_b,"axG",@progbits,_ZN9rocsparseL19gebsrmvn_3xn_kernelILj128ELj8ELj4E21rocsparse_complex_numIdEEEvi20rocsparse_direction_NS_24const_host_device_scalarIT2_EEPKiS8_PKS5_SA_S6_PS5_21rocsparse_index_base_b,comdat
.Lfunc_end141:
	.size	_ZN9rocsparseL19gebsrmvn_3xn_kernelILj128ELj8ELj4E21rocsparse_complex_numIdEEEvi20rocsparse_direction_NS_24const_host_device_scalarIT2_EEPKiS8_PKS5_SA_S6_PS5_21rocsparse_index_base_b, .Lfunc_end141-_ZN9rocsparseL19gebsrmvn_3xn_kernelILj128ELj8ELj4E21rocsparse_complex_numIdEEEvi20rocsparse_direction_NS_24const_host_device_scalarIT2_EEPKiS8_PKS5_SA_S6_PS5_21rocsparse_index_base_b
                                        ; -- End function
	.section	.AMDGPU.csdata,"",@progbits
; Kernel info:
; codeLenInByte = 2872
; NumSgprs: 20
; NumVgprs: 69
; ScratchSize: 0
; MemoryBound: 0
; FloatMode: 240
; IeeeMode: 1
; LDSByteSize: 2048 bytes/workgroup (compile time only)
; SGPRBlocks: 2
; VGPRBlocks: 8
; NumSGPRsForWavesPerEU: 20
; NumVGPRsForWavesPerEU: 69
; Occupancy: 16
; WaveLimiterHint : 1
; COMPUTE_PGM_RSRC2:SCRATCH_EN: 0
; COMPUTE_PGM_RSRC2:USER_SGPR: 15
; COMPUTE_PGM_RSRC2:TRAP_HANDLER: 0
; COMPUTE_PGM_RSRC2:TGID_X_EN: 1
; COMPUTE_PGM_RSRC2:TGID_Y_EN: 0
; COMPUTE_PGM_RSRC2:TGID_Z_EN: 0
; COMPUTE_PGM_RSRC2:TIDIG_COMP_CNT: 2
	.section	.text._ZN9rocsparseL19gebsrmvn_3xn_kernelILj128ELj8ELj8E21rocsparse_complex_numIdEEEvi20rocsparse_direction_NS_24const_host_device_scalarIT2_EEPKiS8_PKS5_SA_S6_PS5_21rocsparse_index_base_b,"axG",@progbits,_ZN9rocsparseL19gebsrmvn_3xn_kernelILj128ELj8ELj8E21rocsparse_complex_numIdEEEvi20rocsparse_direction_NS_24const_host_device_scalarIT2_EEPKiS8_PKS5_SA_S6_PS5_21rocsparse_index_base_b,comdat
	.globl	_ZN9rocsparseL19gebsrmvn_3xn_kernelILj128ELj8ELj8E21rocsparse_complex_numIdEEEvi20rocsparse_direction_NS_24const_host_device_scalarIT2_EEPKiS8_PKS5_SA_S6_PS5_21rocsparse_index_base_b ; -- Begin function _ZN9rocsparseL19gebsrmvn_3xn_kernelILj128ELj8ELj8E21rocsparse_complex_numIdEEEvi20rocsparse_direction_NS_24const_host_device_scalarIT2_EEPKiS8_PKS5_SA_S6_PS5_21rocsparse_index_base_b
	.p2align	8
	.type	_ZN9rocsparseL19gebsrmvn_3xn_kernelILj128ELj8ELj8E21rocsparse_complex_numIdEEEvi20rocsparse_direction_NS_24const_host_device_scalarIT2_EEPKiS8_PKS5_SA_S6_PS5_21rocsparse_index_base_b,@function
_ZN9rocsparseL19gebsrmvn_3xn_kernelILj128ELj8ELj8E21rocsparse_complex_numIdEEEvi20rocsparse_direction_NS_24const_host_device_scalarIT2_EEPKiS8_PKS5_SA_S6_PS5_21rocsparse_index_base_b: ; @_ZN9rocsparseL19gebsrmvn_3xn_kernelILj128ELj8ELj8E21rocsparse_complex_numIdEEEvi20rocsparse_direction_NS_24const_host_device_scalarIT2_EEPKiS8_PKS5_SA_S6_PS5_21rocsparse_index_base_b
; %bb.0:
	s_load_b64 s[12:13], s[2:3], 0x50
	s_load_b64 s[16:17], s[0:1], 0x4
	s_load_b128 s[8:11], s[2:3], 0x8
	v_bfe_u32 v1, v0, 10, 10
	s_mov_b64 s[0:1], src_shared_base
	s_load_b128 s[4:7], s[2:3], 0x38
	v_and_b32_e32 v10, 0x3ff, v0
	v_bfe_u32 v0, v0, 20, 10
	s_waitcnt lgkmcnt(0)
	s_bitcmp1_b32 s13, 0
	v_mul_u32_u24_e32 v1, s17, v1
	s_cselect_b32 s0, -1, 0
	s_delay_alu instid0(SALU_CYCLE_1)
	s_and_b32 vcc_lo, s0, exec_lo
	s_cselect_b32 s13, s1, s9
	s_lshr_b32 s14, s16, 16
	v_dual_mov_b32 v2, s4 :: v_dual_mov_b32 v3, s5
	s_mul_i32 s14, s14, s17
	v_mov_b32_e32 v6, s13
	v_mad_u32_u24 v1, s14, v10, v1
	s_delay_alu instid0(VALU_DEP_1) | instskip(SKIP_1) | instid1(VALU_DEP_2)
	v_add_lshl_u32 v4, v1, v0, 3
	v_dual_mov_b32 v0, s8 :: v_dual_mov_b32 v1, s9
	v_add_nc_u32_e32 v5, 0x400, v4
	ds_store_2addr_stride64_b64 v4, v[2:3], v[0:1] offset1:2
	v_dual_mov_b32 v2, s10 :: v_dual_mov_b32 v3, s11
	v_cndmask_b32_e64 v5, s8, v5, s0
	s_xor_b32 s10, s0, -1
	flat_load_b64 v[0:1], v[5:6]
	s_cbranch_vccnz .LBB142_2
; %bb.1:
	v_dual_mov_b32 v2, s8 :: v_dual_mov_b32 v3, s9
	flat_load_b64 v[2:3], v[2:3] offset:8
.LBB142_2:
	s_and_b32 s8, s0, exec_lo
	s_cselect_b32 s1, s1, s5
	v_cndmask_b32_e64 v4, s4, v4, s0
	v_dual_mov_b32 v5, s1 :: v_dual_mov_b32 v6, s6
	v_mov_b32_e32 v7, s7
	s_and_not1_b32 vcc_lo, exec_lo, s10
	flat_load_b64 v[4:5], v[4:5]
	s_cbranch_vccnz .LBB142_4
; %bb.3:
	v_dual_mov_b32 v7, s5 :: v_dual_mov_b32 v6, s4
	flat_load_b64 v[6:7], v[6:7] offset:8
.LBB142_4:
	s_waitcnt vmcnt(1) lgkmcnt(1)
	v_cmp_eq_f64_e32 vcc_lo, 0, v[0:1]
	v_cmp_eq_f64_e64 s0, 0, v[2:3]
	s_delay_alu instid0(VALU_DEP_1)
	s_and_b32 s4, vcc_lo, s0
	s_mov_b32 s0, -1
	s_and_saveexec_b32 s1, s4
	s_cbranch_execz .LBB142_6
; %bb.5:
	s_waitcnt vmcnt(0) lgkmcnt(0)
	v_cmp_neq_f64_e32 vcc_lo, 1.0, v[4:5]
	v_cmp_neq_f64_e64 s0, 0, v[6:7]
	s_delay_alu instid0(VALU_DEP_1) | instskip(NEXT) | instid1(SALU_CYCLE_1)
	s_or_b32 s0, vcc_lo, s0
	s_or_not1_b32 s0, s0, exec_lo
.LBB142_6:
	s_or_b32 exec_lo, exec_lo, s1
	s_and_saveexec_b32 s1, s0
	s_cbranch_execz .LBB142_29
; %bb.7:
	s_load_b64 s[0:1], s[2:3], 0x0
	v_lshrrev_b32_e32 v8, 3, v10
	s_delay_alu instid0(VALU_DEP_1) | instskip(SKIP_1) | instid1(VALU_DEP_1)
	v_lshl_or_b32 v8, s15, 4, v8
	s_waitcnt lgkmcnt(0)
	v_cmp_gt_i32_e32 vcc_lo, s0, v8
	s_and_b32 exec_lo, exec_lo, vcc_lo
	s_cbranch_execz .LBB142_29
; %bb.8:
	s_load_b256 s[4:11], s[2:3], 0x18
	v_ashrrev_i32_e32 v9, 31, v8
	v_and_b32_e32 v33, 7, v10
	s_cmp_lg_u32 s1, 0
	s_delay_alu instid0(VALU_DEP_2) | instskip(SKIP_1) | instid1(VALU_DEP_1)
	v_lshlrev_b64 v[11:12], 2, v[8:9]
	s_waitcnt lgkmcnt(0)
	v_add_co_u32 v11, vcc_lo, s4, v11
	s_delay_alu instid0(VALU_DEP_2) | instskip(SKIP_4) | instid1(VALU_DEP_2)
	v_add_co_ci_u32_e32 v12, vcc_lo, s5, v12, vcc_lo
	global_load_b64 v[16:17], v[11:12], off
	s_waitcnt vmcnt(0)
	v_subrev_nc_u32_e32 v9, s12, v16
	v_subrev_nc_u32_e32 v30, s12, v17
	v_add_nc_u32_e32 v15, v9, v33
	s_delay_alu instid0(VALU_DEP_1)
	v_cmp_lt_i32_e64 s0, v15, v30
	s_cbranch_scc0 .LBB142_16
; %bb.9:
	v_mov_b32_e32 v9, 0
	v_mov_b32_e32 v10, 0
	s_delay_alu instid0(VALU_DEP_1)
	v_dual_mov_b32 v12, v10 :: v_dual_mov_b32 v11, v9
	v_dual_mov_b32 v14, v10 :: v_dual_mov_b32 v13, v9
	v_dual_mov_b32 v18, v10 :: v_dual_mov_b32 v17, v9
	v_dual_mov_b32 v20, v10 :: v_dual_mov_b32 v19, v9
	v_dual_mov_b32 v22, v10 :: v_dual_mov_b32 v21, v9
	s_and_saveexec_b32 s1, s0
	s_cbranch_execz .LBB142_15
; %bb.10:
	v_mul_lo_u32 v11, v16, 24
	v_dual_mov_b32 v9, 0 :: v_dual_mov_b32 v24, 0
	v_dual_mov_b32 v10, 0 :: v_dual_mov_b32 v25, v15
	s_mul_i32 s4, s12, 24
	s_mov_b32 s5, 0
	s_delay_alu instid0(VALU_DEP_1) | instskip(NEXT) | instid1(VALU_DEP_4)
	v_dual_mov_b32 v14, v10 :: v_dual_mov_b32 v13, v9
	v_mad_u32_u24 v16, v33, 24, v11
	v_dual_mov_b32 v12, v10 :: v_dual_mov_b32 v11, v9
	v_dual_mov_b32 v18, v10 :: v_dual_mov_b32 v17, v9
	;; [unrolled: 1-line block ×3, first 2 shown]
	s_delay_alu instid0(VALU_DEP_4)
	v_subrev_nc_u32_e32 v16, s4, v16
	v_dual_mov_b32 v22, v10 :: v_dual_mov_b32 v21, v9
	s_add_u32 s4, s10, 16
	s_addc_u32 s13, s11, 0
.LBB142_11:                             ; =>This Loop Header: Depth=1
                                        ;     Child Loop BB142_12 Depth 2
	v_ashrrev_i32_e32 v26, 31, v25
	s_mov_b32 s14, 0
	s_delay_alu instid0(VALU_DEP_1) | instskip(NEXT) | instid1(VALU_DEP_1)
	v_lshlrev_b64 v[26:27], 2, v[25:26]
	v_add_co_u32 v26, vcc_lo, s6, v26
	s_delay_alu instid0(VALU_DEP_2) | instskip(SKIP_3) | instid1(VALU_DEP_1)
	v_add_co_ci_u32_e32 v27, vcc_lo, s7, v27, vcc_lo
	global_load_b32 v23, v[26:27], off
	s_waitcnt vmcnt(0)
	v_subrev_nc_u32_e32 v23, s12, v23
	v_lshlrev_b32_e32 v23, 3, v23
	s_delay_alu instid0(VALU_DEP_1) | instskip(NEXT) | instid1(VALU_DEP_1)
	v_lshlrev_b64 v[26:27], 4, v[23:24]
	v_add_co_u32 v26, vcc_lo, s4, v26
	s_delay_alu instid0(VALU_DEP_2)
	v_add_co_ci_u32_e32 v27, vcc_lo, s13, v27, vcc_lo
.LBB142_12:                             ;   Parent Loop BB142_11 Depth=1
                                        ; =>  This Inner Loop Header: Depth=2
	v_add_nc_u32_e32 v23, s14, v16
	v_mov_b32_e32 v29, v24
	s_clause 0x1
	global_load_b128 v[34:37], v[26:27], off
	global_load_b128 v[38:41], v[26:27], off offset:-16
	s_add_i32 s14, s14, 6
	v_add_nc_u32_e32 v28, 2, v23
	v_lshlrev_b64 v[31:32], 4, v[23:24]
	v_add_nc_u32_e32 v23, 4, v23
	s_cmp_eq_u32 s14, 24
	s_delay_alu instid0(VALU_DEP_3) | instskip(NEXT) | instid1(VALU_DEP_3)
	v_lshlrev_b64 v[28:29], 4, v[28:29]
	v_add_co_u32 v31, vcc_lo, s8, v31
	s_delay_alu instid0(VALU_DEP_4) | instskip(NEXT) | instid1(VALU_DEP_3)
	v_add_co_ci_u32_e32 v32, vcc_lo, s9, v32, vcc_lo
	v_add_co_u32 v28, vcc_lo, s8, v28
	s_delay_alu instid0(VALU_DEP_4)
	v_add_co_ci_u32_e32 v29, vcc_lo, s9, v29, vcc_lo
	s_clause 0x3
	global_load_b128 v[42:45], v[31:32], off
	global_load_b128 v[46:49], v[31:32], off offset:16
	global_load_b128 v[50:53], v[28:29], off
	global_load_b128 v[54:57], v[28:29], off offset:16
	v_lshlrev_b64 v[28:29], 4, v[23:24]
	s_delay_alu instid0(VALU_DEP_1) | instskip(NEXT) | instid1(VALU_DEP_2)
	v_add_co_u32 v28, vcc_lo, s8, v28
	v_add_co_ci_u32_e32 v29, vcc_lo, s9, v29, vcc_lo
	v_add_co_u32 v26, vcc_lo, v26, 32
	s_clause 0x1
	global_load_b128 v[58:61], v[28:29], off
	global_load_b128 v[62:65], v[28:29], off offset:16
	v_add_co_ci_u32_e32 v27, vcc_lo, 0, v27, vcc_lo
	s_waitcnt vmcnt(5)
	v_fma_f64 v[11:12], v[42:43], v[38:39], v[11:12]
	v_fma_f64 v[9:10], v[44:45], v[38:39], v[9:10]
	s_waitcnt vmcnt(4)
	v_fma_f64 v[19:20], v[46:47], v[38:39], v[19:20]
	v_fma_f64 v[21:22], v[48:49], v[38:39], v[21:22]
	;; [unrolled: 3-line block ×3, first 2 shown]
	v_fma_f64 v[11:12], -v[44:45], v[40:41], v[11:12]
	v_fma_f64 v[9:10], v[42:43], v[40:41], v[9:10]
	v_fma_f64 v[19:20], -v[48:49], v[40:41], v[19:20]
	v_fma_f64 v[21:22], v[46:47], v[40:41], v[21:22]
	;; [unrolled: 2-line block ×3, first 2 shown]
	s_waitcnt vmcnt(2)
	v_fma_f64 v[11:12], v[54:55], v[34:35], v[11:12]
	v_fma_f64 v[9:10], v[56:57], v[34:35], v[9:10]
	s_waitcnt vmcnt(1)
	v_fma_f64 v[19:20], v[58:59], v[34:35], v[19:20]
	v_fma_f64 v[21:22], v[60:61], v[34:35], v[21:22]
	;; [unrolled: 3-line block ×3, first 2 shown]
	v_fma_f64 v[11:12], -v[56:57], v[36:37], v[11:12]
	v_fma_f64 v[9:10], v[54:55], v[36:37], v[9:10]
	v_fma_f64 v[19:20], -v[60:61], v[36:37], v[19:20]
	v_fma_f64 v[21:22], v[58:59], v[36:37], v[21:22]
	;; [unrolled: 2-line block ×3, first 2 shown]
	s_cbranch_scc0 .LBB142_12
; %bb.13:                               ;   in Loop: Header=BB142_11 Depth=1
	v_add_nc_u32_e32 v25, 8, v25
	v_add_nc_u32_e32 v16, 0xc0, v16
	s_delay_alu instid0(VALU_DEP_2) | instskip(SKIP_1) | instid1(SALU_CYCLE_1)
	v_cmp_ge_i32_e32 vcc_lo, v25, v30
	s_or_b32 s5, vcc_lo, s5
	s_and_not1_b32 exec_lo, exec_lo, s5
	s_cbranch_execnz .LBB142_11
; %bb.14:
	s_or_b32 exec_lo, exec_lo, s5
.LBB142_15:
	s_delay_alu instid0(SALU_CYCLE_1)
	s_or_b32 exec_lo, exec_lo, s1
	s_cbranch_execz .LBB142_17
	s_branch .LBB142_24
.LBB142_16:
                                        ; implicit-def: $vgpr9_vgpr10
                                        ; implicit-def: $vgpr11_vgpr12
                                        ; implicit-def: $vgpr13_vgpr14
                                        ; implicit-def: $vgpr17_vgpr18
                                        ; implicit-def: $vgpr19_vgpr20
                                        ; implicit-def: $vgpr21_vgpr22
.LBB142_17:
	v_mov_b32_e32 v9, 0
	v_mov_b32_e32 v10, 0
	s_delay_alu instid0(VALU_DEP_1)
	v_dual_mov_b32 v12, v10 :: v_dual_mov_b32 v11, v9
	v_dual_mov_b32 v14, v10 :: v_dual_mov_b32 v13, v9
	;; [unrolled: 1-line block ×5, first 2 shown]
	s_and_saveexec_b32 s4, s0
	s_cbranch_execz .LBB142_23
; %bb.18:
	v_mul_lo_u32 v23, v15, 24
	v_mov_b32_e32 v9, 0
	v_dual_mov_b32 v10, 0 :: v_dual_mov_b32 v25, 0
	s_mov_b32 s5, 0
	s_delay_alu instid0(VALU_DEP_1) | instskip(NEXT) | instid1(VALU_DEP_3)
	v_mov_b32_e32 v22, v10
	v_dual_mov_b32 v12, v10 :: v_dual_mov_b32 v11, v9
	v_dual_mov_b32 v14, v10 :: v_dual_mov_b32 v13, v9
	;; [unrolled: 1-line block ×4, first 2 shown]
	v_add_nc_u32_e32 v26, 16, v23
	v_dual_mov_b32 v21, v9 :: v_dual_add_nc_u32 v28, 8, v23
.LBB142_19:                             ; =>This Loop Header: Depth=1
                                        ;     Child Loop BB142_20 Depth 2
	v_ashrrev_i32_e32 v16, 31, v15
	v_mov_b32_e32 v24, v25
	v_mov_b32_e32 v29, v25
	s_mov_b64 s[0:1], 0
	s_delay_alu instid0(VALU_DEP_3) | instskip(NEXT) | instid1(VALU_DEP_3)
	v_lshlrev_b64 v[31:32], 2, v[15:16]
	v_lshlrev_b64 v[36:37], 4, v[23:24]
	s_delay_alu instid0(VALU_DEP_2) | instskip(NEXT) | instid1(VALU_DEP_3)
	v_add_co_u32 v31, vcc_lo, s6, v31
	v_add_co_ci_u32_e32 v32, vcc_lo, s7, v32, vcc_lo
	global_load_b32 v16, v[31:32], off
	s_waitcnt vmcnt(0)
	v_subrev_nc_u32_e32 v24, s12, v16
	s_delay_alu instid0(VALU_DEP_1) | instskip(NEXT) | instid1(VALU_DEP_1)
	v_dual_mov_b32 v27, v25 :: v_dual_lshlrev_b32 v24, 3, v24
	v_lshlrev_b64 v[31:32], 4, v[26:27]
	s_delay_alu instid0(VALU_DEP_2) | instskip(SKIP_2) | instid1(VALU_DEP_4)
	v_lshlrev_b64 v[38:39], 4, v[24:25]
	v_mov_b32_e32 v24, v23
	v_lshlrev_b64 v[34:35], 4, v[28:29]
	v_add_co_u32 v16, vcc_lo, s8, v31
	v_add_co_ci_u32_e32 v27, vcc_lo, s9, v32, vcc_lo
	s_delay_alu instid0(VALU_DEP_3) | instskip(NEXT) | instid1(VALU_DEP_4)
	v_add_co_u32 v29, vcc_lo, s8, v34
	v_add_co_ci_u32_e32 v31, vcc_lo, s9, v35, vcc_lo
	v_add_co_u32 v32, vcc_lo, s8, v36
	v_add_co_ci_u32_e32 v34, vcc_lo, s9, v37, vcc_lo
	;; [unrolled: 2-line block ×3, first 2 shown]
.LBB142_20:                             ;   Parent Loop BB142_19 Depth=1
                                        ; =>  This Inner Loop Header: Depth=2
	v_dual_mov_b32 v52, v25 :: v_dual_add_nc_u32 v51, 16, v24
	s_delay_alu instid0(VALU_DEP_3) | instskip(SKIP_1) | instid1(VALU_DEP_4)
	v_add_co_u32 v41, vcc_lo, v35, s0
	v_lshlrev_b64 v[53:54], 4, v[24:25]
	v_add_co_ci_u32_e32 v42, vcc_lo, s1, v36, vcc_lo
	v_add_co_u32 v49, vcc_lo, v29, s0
	v_lshlrev_b64 v[51:52], 4, v[51:52]
	v_add_co_ci_u32_e32 v50, vcc_lo, s1, v31, vcc_lo
	v_add_co_u32 v53, vcc_lo, s8, v53
	v_add_co_ci_u32_e32 v54, vcc_lo, s9, v54, vcc_lo
	s_delay_alu instid0(VALU_DEP_4)
	v_add_co_u32 v57, vcc_lo, s8, v51
	v_add_co_ci_u32_e32 v58, vcc_lo, s9, v52, vcc_lo
	s_clause 0x1
	global_load_b128 v[37:40], v[41:42], off offset:16
	global_load_b128 v[41:44], v[41:42], off
	s_clause 0x3
	global_load_b128 v[45:48], v[49:50], off
	global_load_b128 v[49:52], v[49:50], off offset:16
	global_load_b128 v[53:56], v[53:54], off
	global_load_b128 v[57:60], v[57:58], off
	v_add_co_u32 v61, vcc_lo, v16, s0
	v_add_co_ci_u32_e32 v62, vcc_lo, s1, v27, vcc_lo
	v_add_co_u32 v65, vcc_lo, v32, s0
	v_add_co_ci_u32_e32 v66, vcc_lo, s1, v34, vcc_lo
	s_clause 0x1
	global_load_b128 v[61:64], v[61:62], off offset:16
	global_load_b128 v[65:68], v[65:66], off offset:16
	v_add_nc_u32_e32 v24, 2, v24
	s_add_u32 s0, s0, 32
	s_addc_u32 s1, s1, 0
	s_cmpk_eq_i32 s0, 0x80
	s_waitcnt vmcnt(5)
	v_fma_f64 v[19:20], v[45:46], v[41:42], v[19:20]
	v_fma_f64 v[21:22], v[47:48], v[41:42], v[21:22]
	s_waitcnt vmcnt(3)
	v_fma_f64 v[11:12], v[53:54], v[41:42], v[11:12]
	v_fma_f64 v[9:10], v[55:56], v[41:42], v[9:10]
	;; [unrolled: 3-line block ×3, first 2 shown]
	v_fma_f64 v[19:20], -v[47:48], v[43:44], v[19:20]
	v_fma_f64 v[21:22], v[45:46], v[43:44], v[21:22]
	v_fma_f64 v[11:12], -v[55:56], v[43:44], v[11:12]
	v_fma_f64 v[9:10], v[53:54], v[43:44], v[9:10]
	;; [unrolled: 2-line block ×3, first 2 shown]
	v_fma_f64 v[19:20], v[49:50], v[37:38], v[19:20]
	v_fma_f64 v[21:22], v[51:52], v[37:38], v[21:22]
	s_waitcnt vmcnt(0)
	v_fma_f64 v[11:12], v[65:66], v[37:38], v[11:12]
	v_fma_f64 v[9:10], v[67:68], v[37:38], v[9:10]
	;; [unrolled: 1-line block ×4, first 2 shown]
	v_fma_f64 v[19:20], -v[51:52], v[39:40], v[19:20]
	v_fma_f64 v[21:22], v[49:50], v[39:40], v[21:22]
	v_fma_f64 v[11:12], -v[67:68], v[39:40], v[11:12]
	v_fma_f64 v[9:10], v[65:66], v[39:40], v[9:10]
	;; [unrolled: 2-line block ×3, first 2 shown]
	s_cbranch_scc0 .LBB142_20
; %bb.21:                               ;   in Loop: Header=BB142_19 Depth=1
	v_add_nc_u32_e32 v15, 8, v15
	v_add_nc_u32_e32 v26, 0xc0, v26
	;; [unrolled: 1-line block ×4, first 2 shown]
	s_delay_alu instid0(VALU_DEP_4) | instskip(SKIP_1) | instid1(SALU_CYCLE_1)
	v_cmp_ge_i32_e32 vcc_lo, v15, v30
	s_or_b32 s5, vcc_lo, s5
	s_and_not1_b32 exec_lo, exec_lo, s5
	s_cbranch_execnz .LBB142_19
; %bb.22:
	s_or_b32 exec_lo, exec_lo, s5
.LBB142_23:
	s_delay_alu instid0(SALU_CYCLE_1)
	s_or_b32 exec_lo, exec_lo, s4
.LBB142_24:
	v_mbcnt_lo_u32_b32 v36, -1, 0
	s_delay_alu instid0(VALU_DEP_1) | instskip(NEXT) | instid1(VALU_DEP_1)
	v_xor_b32_e32 v15, 4, v36
	v_cmp_gt_i32_e32 vcc_lo, 32, v15
	v_cndmask_b32_e32 v15, v36, v15, vcc_lo
	s_delay_alu instid0(VALU_DEP_1)
	v_lshlrev_b32_e32 v32, 2, v15
	ds_bpermute_b32 v15, v32, v11
	ds_bpermute_b32 v16, v32, v12
	;; [unrolled: 1-line block ×4, first 2 shown]
	s_waitcnt lgkmcnt(2)
	v_add_f64 v[11:12], v[11:12], v[15:16]
	s_waitcnt lgkmcnt(0)
	v_add_f64 v[15:16], v[9:10], v[23:24]
	v_xor_b32_e32 v9, 2, v36
	s_delay_alu instid0(VALU_DEP_1)
	v_cmp_gt_i32_e32 vcc_lo, 32, v9
	v_cndmask_b32_e32 v9, v36, v9, vcc_lo
	ds_bpermute_b32 v25, v32, v19
	ds_bpermute_b32 v26, v32, v20
	;; [unrolled: 1-line block ×8, first 2 shown]
	s_waitcnt lgkmcnt(6)
	v_add_f64 v[23:24], v[19:20], v[25:26]
	v_lshlrev_b32_e32 v19, 2, v9
	s_waitcnt lgkmcnt(4)
	v_add_f64 v[21:22], v[21:22], v[27:28]
	s_waitcnt lgkmcnt(2)
	v_add_f64 v[13:14], v[13:14], v[29:30]
	s_waitcnt lgkmcnt(0)
	v_add_f64 v[25:26], v[17:18], v[31:32]
	ds_bpermute_b32 v9, v19, v11
	ds_bpermute_b32 v10, v19, v12
	;; [unrolled: 1-line block ×4, first 2 shown]
	s_waitcnt lgkmcnt(2)
	v_add_f64 v[9:10], v[11:12], v[9:10]
	ds_bpermute_b32 v27, v19, v23
	ds_bpermute_b32 v28, v19, v24
	;; [unrolled: 1-line block ×8, first 2 shown]
	s_waitcnt lgkmcnt(8)
	v_add_f64 v[19:20], v[15:16], v[17:18]
	s_waitcnt lgkmcnt(6)
	v_add_f64 v[11:12], v[23:24], v[27:28]
	;; [unrolled: 2-line block ×3, first 2 shown]
	v_xor_b32_e32 v21, 1, v36
	s_waitcnt lgkmcnt(2)
	v_add_f64 v[13:14], v[13:14], v[31:32]
	s_waitcnt lgkmcnt(0)
	v_add_f64 v[15:16], v[25:26], v[34:35]
	v_cmp_gt_i32_e32 vcc_lo, 32, v21
	v_cndmask_b32_e32 v21, v36, v21, vcc_lo
	v_cmp_eq_u32_e32 vcc_lo, 7, v33
	s_delay_alu instid0(VALU_DEP_2)
	v_lshlrev_b32_e32 v24, 2, v21
	ds_bpermute_b32 v31, v24, v9
	ds_bpermute_b32 v32, v24, v10
	;; [unrolled: 1-line block ×12, first 2 shown]
	s_and_b32 exec_lo, exec_lo, vcc_lo
	s_cbranch_execz .LBB142_29
; %bb.25:
	v_cmp_eq_f64_e32 vcc_lo, 0, v[4:5]
	v_cmp_eq_f64_e64 s0, 0, v[6:7]
	s_waitcnt lgkmcnt(10)
	v_add_f64 v[9:10], v[9:10], v[31:32]
	s_waitcnt lgkmcnt(8)
	v_add_f64 v[19:20], v[19:20], v[29:30]
	;; [unrolled: 2-line block ×6, first 2 shown]
	s_load_b64 s[2:3], s[2:3], 0x48
	s_and_b32 s0, vcc_lo, s0
	s_delay_alu instid0(SALU_CYCLE_1) | instskip(NEXT) | instid1(SALU_CYCLE_1)
	s_and_saveexec_b32 s1, s0
	s_xor_b32 s0, exec_lo, s1
	s_cbranch_execz .LBB142_27
; %bb.26:
	v_mul_f64 v[4:5], v[19:20], -v[2:3]
	v_mul_f64 v[6:7], v[0:1], v[19:20]
	v_mul_f64 v[19:20], v[17:18], -v[2:3]
	v_mul_f64 v[17:18], v[0:1], v[17:18]
	;; [unrolled: 2-line block ×3, first 2 shown]
	v_fma_f64 v[4:5], v[0:1], v[9:10], v[4:5]
	v_fma_f64 v[6:7], v[2:3], v[9:10], v[6:7]
	;; [unrolled: 1-line block ×6, first 2 shown]
	v_lshl_add_u32 v13, v8, 1, v8
                                        ; implicit-def: $vgpr8
                                        ; implicit-def: $vgpr19_vgpr20
                                        ; implicit-def: $vgpr17_vgpr18
                                        ; implicit-def: $vgpr15_vgpr16
	s_delay_alu instid0(VALU_DEP_1) | instskip(NEXT) | instid1(VALU_DEP_1)
	v_ashrrev_i32_e32 v14, 31, v13
	v_lshlrev_b64 v[13:14], 4, v[13:14]
	s_waitcnt lgkmcnt(0)
	s_delay_alu instid0(VALU_DEP_1) | instskip(NEXT) | instid1(VALU_DEP_2)
	v_add_co_u32 v13, vcc_lo, s2, v13
	v_add_co_ci_u32_e32 v14, vcc_lo, s3, v14, vcc_lo
	s_clause 0x2
	global_store_b128 v[13:14], v[4:7], off
	global_store_b128 v[13:14], v[9:12], off offset:16
	global_store_b128 v[13:14], v[0:3], off offset:32
                                        ; implicit-def: $vgpr0_vgpr1
                                        ; implicit-def: $vgpr2_vgpr3
                                        ; implicit-def: $vgpr4_vgpr5
                                        ; implicit-def: $vgpr6_vgpr7
                                        ; implicit-def: $vgpr9_vgpr10
                                        ; implicit-def: $vgpr11_vgpr12
                                        ; implicit-def: $vgpr13_vgpr14
.LBB142_27:
	s_and_not1_saveexec_b32 s0, s0
	s_cbranch_execz .LBB142_29
; %bb.28:
	v_lshl_add_u32 v21, v8, 1, v8
	v_mul_f64 v[35:36], v[19:20], -v[2:3]
	v_mul_f64 v[19:20], v[0:1], v[19:20]
	v_mul_f64 v[37:38], v[17:18], -v[2:3]
	v_mul_f64 v[17:18], v[0:1], v[17:18]
	v_ashrrev_i32_e32 v22, 31, v21
	v_mul_f64 v[39:40], v[15:16], -v[2:3]
	v_mul_f64 v[15:16], v[0:1], v[15:16]
	s_delay_alu instid0(VALU_DEP_3) | instskip(SKIP_1) | instid1(VALU_DEP_1)
	v_lshlrev_b64 v[21:22], 4, v[21:22]
	s_waitcnt lgkmcnt(0)
	v_add_co_u32 v33, vcc_lo, s2, v21
	s_delay_alu instid0(VALU_DEP_2)
	v_add_co_ci_u32_e32 v34, vcc_lo, s3, v22, vcc_lo
	s_clause 0x2
	global_load_b128 v[21:24], v[33:34], off
	global_load_b128 v[25:28], v[33:34], off offset:16
	global_load_b128 v[29:32], v[33:34], off offset:32
	v_fma_f64 v[35:36], v[0:1], v[9:10], v[35:36]
	v_fma_f64 v[8:9], v[2:3], v[9:10], v[19:20]
	;; [unrolled: 1-line block ×6, first 2 shown]
	s_waitcnt vmcnt(2)
	v_fma_f64 v[12:13], v[4:5], v[21:22], v[35:36]
	v_fma_f64 v[8:9], v[6:7], v[21:22], v[8:9]
	s_waitcnt vmcnt(1)
	v_fma_f64 v[14:15], v[4:5], v[25:26], v[19:20]
	v_fma_f64 v[10:11], v[6:7], v[25:26], v[10:11]
	s_waitcnt vmcnt(0)
	v_fma_f64 v[16:17], v[4:5], v[29:30], v[0:1]
	v_fma_f64 v[18:19], v[6:7], v[29:30], v[2:3]
	v_fma_f64 v[0:1], -v[6:7], v[23:24], v[12:13]
	v_fma_f64 v[2:3], v[4:5], v[23:24], v[8:9]
	v_fma_f64 v[8:9], -v[6:7], v[27:28], v[14:15]
	v_fma_f64 v[10:11], v[4:5], v[27:28], v[10:11]
	;; [unrolled: 2-line block ×3, first 2 shown]
	s_clause 0x2
	global_store_b128 v[33:34], v[0:3], off
	global_store_b128 v[33:34], v[8:11], off offset:16
	global_store_b128 v[33:34], v[12:15], off offset:32
.LBB142_29:
	s_nop 0
	s_sendmsg sendmsg(MSG_DEALLOC_VGPRS)
	s_endpgm
	.section	.rodata,"a",@progbits
	.p2align	6, 0x0
	.amdhsa_kernel _ZN9rocsparseL19gebsrmvn_3xn_kernelILj128ELj8ELj8E21rocsparse_complex_numIdEEEvi20rocsparse_direction_NS_24const_host_device_scalarIT2_EEPKiS8_PKS5_SA_S6_PS5_21rocsparse_index_base_b
		.amdhsa_group_segment_fixed_size 2048
		.amdhsa_private_segment_fixed_size 0
		.amdhsa_kernarg_size 88
		.amdhsa_user_sgpr_count 15
		.amdhsa_user_sgpr_dispatch_ptr 1
		.amdhsa_user_sgpr_queue_ptr 0
		.amdhsa_user_sgpr_kernarg_segment_ptr 1
		.amdhsa_user_sgpr_dispatch_id 0
		.amdhsa_user_sgpr_private_segment_size 0
		.amdhsa_wavefront_size32 1
		.amdhsa_uses_dynamic_stack 0
		.amdhsa_enable_private_segment 0
		.amdhsa_system_sgpr_workgroup_id_x 1
		.amdhsa_system_sgpr_workgroup_id_y 0
		.amdhsa_system_sgpr_workgroup_id_z 0
		.amdhsa_system_sgpr_workgroup_info 0
		.amdhsa_system_vgpr_workitem_id 2
		.amdhsa_next_free_vgpr 69
		.amdhsa_next_free_sgpr 18
		.amdhsa_reserve_vcc 1
		.amdhsa_float_round_mode_32 0
		.amdhsa_float_round_mode_16_64 0
		.amdhsa_float_denorm_mode_32 3
		.amdhsa_float_denorm_mode_16_64 3
		.amdhsa_dx10_clamp 1
		.amdhsa_ieee_mode 1
		.amdhsa_fp16_overflow 0
		.amdhsa_workgroup_processor_mode 1
		.amdhsa_memory_ordered 1
		.amdhsa_forward_progress 0
		.amdhsa_shared_vgpr_count 0
		.amdhsa_exception_fp_ieee_invalid_op 0
		.amdhsa_exception_fp_denorm_src 0
		.amdhsa_exception_fp_ieee_div_zero 0
		.amdhsa_exception_fp_ieee_overflow 0
		.amdhsa_exception_fp_ieee_underflow 0
		.amdhsa_exception_fp_ieee_inexact 0
		.amdhsa_exception_int_div_zero 0
	.end_amdhsa_kernel
	.section	.text._ZN9rocsparseL19gebsrmvn_3xn_kernelILj128ELj8ELj8E21rocsparse_complex_numIdEEEvi20rocsparse_direction_NS_24const_host_device_scalarIT2_EEPKiS8_PKS5_SA_S6_PS5_21rocsparse_index_base_b,"axG",@progbits,_ZN9rocsparseL19gebsrmvn_3xn_kernelILj128ELj8ELj8E21rocsparse_complex_numIdEEEvi20rocsparse_direction_NS_24const_host_device_scalarIT2_EEPKiS8_PKS5_SA_S6_PS5_21rocsparse_index_base_b,comdat
.Lfunc_end142:
	.size	_ZN9rocsparseL19gebsrmvn_3xn_kernelILj128ELj8ELj8E21rocsparse_complex_numIdEEEvi20rocsparse_direction_NS_24const_host_device_scalarIT2_EEPKiS8_PKS5_SA_S6_PS5_21rocsparse_index_base_b, .Lfunc_end142-_ZN9rocsparseL19gebsrmvn_3xn_kernelILj128ELj8ELj8E21rocsparse_complex_numIdEEEvi20rocsparse_direction_NS_24const_host_device_scalarIT2_EEPKiS8_PKS5_SA_S6_PS5_21rocsparse_index_base_b
                                        ; -- End function
	.section	.AMDGPU.csdata,"",@progbits
; Kernel info:
; codeLenInByte = 3060
; NumSgprs: 20
; NumVgprs: 69
; ScratchSize: 0
; MemoryBound: 0
; FloatMode: 240
; IeeeMode: 1
; LDSByteSize: 2048 bytes/workgroup (compile time only)
; SGPRBlocks: 2
; VGPRBlocks: 8
; NumSGPRsForWavesPerEU: 20
; NumVGPRsForWavesPerEU: 69
; Occupancy: 16
; WaveLimiterHint : 1
; COMPUTE_PGM_RSRC2:SCRATCH_EN: 0
; COMPUTE_PGM_RSRC2:USER_SGPR: 15
; COMPUTE_PGM_RSRC2:TRAP_HANDLER: 0
; COMPUTE_PGM_RSRC2:TGID_X_EN: 1
; COMPUTE_PGM_RSRC2:TGID_Y_EN: 0
; COMPUTE_PGM_RSRC2:TGID_Z_EN: 0
; COMPUTE_PGM_RSRC2:TIDIG_COMP_CNT: 2
	.section	.text._ZN9rocsparseL19gebsrmvn_3xn_kernelILj128ELj8ELj16E21rocsparse_complex_numIdEEEvi20rocsparse_direction_NS_24const_host_device_scalarIT2_EEPKiS8_PKS5_SA_S6_PS5_21rocsparse_index_base_b,"axG",@progbits,_ZN9rocsparseL19gebsrmvn_3xn_kernelILj128ELj8ELj16E21rocsparse_complex_numIdEEEvi20rocsparse_direction_NS_24const_host_device_scalarIT2_EEPKiS8_PKS5_SA_S6_PS5_21rocsparse_index_base_b,comdat
	.globl	_ZN9rocsparseL19gebsrmvn_3xn_kernelILj128ELj8ELj16E21rocsparse_complex_numIdEEEvi20rocsparse_direction_NS_24const_host_device_scalarIT2_EEPKiS8_PKS5_SA_S6_PS5_21rocsparse_index_base_b ; -- Begin function _ZN9rocsparseL19gebsrmvn_3xn_kernelILj128ELj8ELj16E21rocsparse_complex_numIdEEEvi20rocsparse_direction_NS_24const_host_device_scalarIT2_EEPKiS8_PKS5_SA_S6_PS5_21rocsparse_index_base_b
	.p2align	8
	.type	_ZN9rocsparseL19gebsrmvn_3xn_kernelILj128ELj8ELj16E21rocsparse_complex_numIdEEEvi20rocsparse_direction_NS_24const_host_device_scalarIT2_EEPKiS8_PKS5_SA_S6_PS5_21rocsparse_index_base_b,@function
_ZN9rocsparseL19gebsrmvn_3xn_kernelILj128ELj8ELj16E21rocsparse_complex_numIdEEEvi20rocsparse_direction_NS_24const_host_device_scalarIT2_EEPKiS8_PKS5_SA_S6_PS5_21rocsparse_index_base_b: ; @_ZN9rocsparseL19gebsrmvn_3xn_kernelILj128ELj8ELj16E21rocsparse_complex_numIdEEEvi20rocsparse_direction_NS_24const_host_device_scalarIT2_EEPKiS8_PKS5_SA_S6_PS5_21rocsparse_index_base_b
; %bb.0:
	s_load_b64 s[12:13], s[2:3], 0x50
	s_load_b64 s[16:17], s[0:1], 0x4
	s_load_b128 s[8:11], s[2:3], 0x8
	v_bfe_u32 v1, v0, 10, 10
	s_mov_b64 s[0:1], src_shared_base
	s_load_b128 s[4:7], s[2:3], 0x38
	v_and_b32_e32 v10, 0x3ff, v0
	v_bfe_u32 v0, v0, 20, 10
	s_waitcnt lgkmcnt(0)
	s_bitcmp1_b32 s13, 0
	v_mul_u32_u24_e32 v1, s17, v1
	s_cselect_b32 s0, -1, 0
	s_delay_alu instid0(SALU_CYCLE_1)
	s_and_b32 vcc_lo, s0, exec_lo
	s_cselect_b32 s13, s1, s9
	s_lshr_b32 s14, s16, 16
	v_dual_mov_b32 v2, s4 :: v_dual_mov_b32 v3, s5
	s_mul_i32 s14, s14, s17
	v_mov_b32_e32 v6, s13
	v_mad_u32_u24 v1, s14, v10, v1
	s_delay_alu instid0(VALU_DEP_1) | instskip(SKIP_1) | instid1(VALU_DEP_2)
	v_add_lshl_u32 v4, v1, v0, 3
	v_dual_mov_b32 v0, s8 :: v_dual_mov_b32 v1, s9
	v_add_nc_u32_e32 v5, 0x400, v4
	ds_store_2addr_stride64_b64 v4, v[2:3], v[0:1] offset1:2
	v_dual_mov_b32 v2, s10 :: v_dual_mov_b32 v3, s11
	v_cndmask_b32_e64 v5, s8, v5, s0
	s_xor_b32 s10, s0, -1
	flat_load_b64 v[0:1], v[5:6]
	s_cbranch_vccnz .LBB143_2
; %bb.1:
	v_dual_mov_b32 v2, s8 :: v_dual_mov_b32 v3, s9
	flat_load_b64 v[2:3], v[2:3] offset:8
.LBB143_2:
	s_and_b32 s8, s0, exec_lo
	s_cselect_b32 s1, s1, s5
	v_cndmask_b32_e64 v4, s4, v4, s0
	v_dual_mov_b32 v5, s1 :: v_dual_mov_b32 v6, s6
	v_mov_b32_e32 v7, s7
	s_and_not1_b32 vcc_lo, exec_lo, s10
	flat_load_b64 v[4:5], v[4:5]
	s_cbranch_vccnz .LBB143_4
; %bb.3:
	v_dual_mov_b32 v7, s5 :: v_dual_mov_b32 v6, s4
	flat_load_b64 v[6:7], v[6:7] offset:8
.LBB143_4:
	s_waitcnt vmcnt(1) lgkmcnt(1)
	v_cmp_eq_f64_e32 vcc_lo, 0, v[0:1]
	v_cmp_eq_f64_e64 s0, 0, v[2:3]
	s_delay_alu instid0(VALU_DEP_1)
	s_and_b32 s4, vcc_lo, s0
	s_mov_b32 s0, -1
	s_and_saveexec_b32 s1, s4
	s_cbranch_execz .LBB143_6
; %bb.5:
	s_waitcnt vmcnt(0) lgkmcnt(0)
	v_cmp_neq_f64_e32 vcc_lo, 1.0, v[4:5]
	v_cmp_neq_f64_e64 s0, 0, v[6:7]
	s_delay_alu instid0(VALU_DEP_1) | instskip(NEXT) | instid1(SALU_CYCLE_1)
	s_or_b32 s0, vcc_lo, s0
	s_or_not1_b32 s0, s0, exec_lo
.LBB143_6:
	s_or_b32 exec_lo, exec_lo, s1
	s_and_saveexec_b32 s1, s0
	s_cbranch_execz .LBB143_29
; %bb.7:
	s_load_b64 s[0:1], s[2:3], 0x0
	v_lshrrev_b32_e32 v8, 4, v10
	s_delay_alu instid0(VALU_DEP_1) | instskip(SKIP_1) | instid1(VALU_DEP_1)
	v_lshl_or_b32 v8, s15, 3, v8
	s_waitcnt lgkmcnt(0)
	v_cmp_gt_i32_e32 vcc_lo, s0, v8
	s_and_b32 exec_lo, exec_lo, vcc_lo
	s_cbranch_execz .LBB143_29
; %bb.8:
	s_load_b256 s[4:11], s[2:3], 0x18
	v_ashrrev_i32_e32 v9, 31, v8
	v_and_b32_e32 v33, 15, v10
	s_cmp_lg_u32 s1, 0
	s_delay_alu instid0(VALU_DEP_2) | instskip(SKIP_1) | instid1(VALU_DEP_1)
	v_lshlrev_b64 v[11:12], 2, v[8:9]
	s_waitcnt lgkmcnt(0)
	v_add_co_u32 v11, vcc_lo, s4, v11
	s_delay_alu instid0(VALU_DEP_2) | instskip(SKIP_4) | instid1(VALU_DEP_2)
	v_add_co_ci_u32_e32 v12, vcc_lo, s5, v12, vcc_lo
	global_load_b64 v[22:23], v[11:12], off
	s_waitcnt vmcnt(0)
	v_subrev_nc_u32_e32 v9, s12, v22
	v_subrev_nc_u32_e32 v30, s12, v23
	v_add_nc_u32_e32 v21, v9, v33
	s_delay_alu instid0(VALU_DEP_1)
	v_cmp_lt_i32_e64 s0, v21, v30
	s_cbranch_scc0 .LBB143_16
; %bb.9:
	v_mov_b32_e32 v9, 0
	v_mov_b32_e32 v10, 0
	s_delay_alu instid0(VALU_DEP_1)
	v_dual_mov_b32 v12, v10 :: v_dual_mov_b32 v11, v9
	v_dual_mov_b32 v14, v10 :: v_dual_mov_b32 v13, v9
	;; [unrolled: 1-line block ×5, first 2 shown]
	s_and_saveexec_b32 s1, s0
	s_cbranch_execz .LBB143_15
; %bb.10:
	v_mul_lo_u32 v11, v22, 24
	v_dual_mov_b32 v9, 0 :: v_dual_mov_b32 v24, v21
	v_dual_mov_b32 v10, 0 :: v_dual_mov_b32 v23, 0
	s_mul_i32 s4, s12, 24
	s_mov_b32 s5, 0
	s_delay_alu instid0(VALU_DEP_1) | instskip(NEXT) | instid1(VALU_DEP_4)
	v_dual_mov_b32 v14, v10 :: v_dual_mov_b32 v13, v9
	v_mad_u32_u24 v19, v33, 24, v11
	v_dual_mov_b32 v12, v10 :: v_dual_mov_b32 v11, v9
	v_dual_mov_b32 v16, v10 :: v_dual_mov_b32 v15, v9
	;; [unrolled: 1-line block ×3, first 2 shown]
	s_delay_alu instid0(VALU_DEP_4)
	v_subrev_nc_u32_e32 v27, s4, v19
	v_dual_mov_b32 v20, v10 :: v_dual_mov_b32 v19, v9
	s_add_u32 s4, s10, 16
	s_addc_u32 s13, s11, 0
.LBB143_11:                             ; =>This Loop Header: Depth=1
                                        ;     Child Loop BB143_12 Depth 2
	v_ashrrev_i32_e32 v25, 31, v24
	s_mov_b32 s14, 0
	s_delay_alu instid0(VALU_DEP_1) | instskip(NEXT) | instid1(VALU_DEP_1)
	v_lshlrev_b64 v[25:26], 2, v[24:25]
	v_add_co_u32 v25, vcc_lo, s6, v25
	s_delay_alu instid0(VALU_DEP_2) | instskip(SKIP_3) | instid1(VALU_DEP_1)
	v_add_co_ci_u32_e32 v26, vcc_lo, s7, v26, vcc_lo
	global_load_b32 v22, v[25:26], off
	s_waitcnt vmcnt(0)
	v_subrev_nc_u32_e32 v22, s12, v22
	v_lshlrev_b32_e32 v22, 3, v22
	s_delay_alu instid0(VALU_DEP_1) | instskip(NEXT) | instid1(VALU_DEP_1)
	v_lshlrev_b64 v[25:26], 4, v[22:23]
	v_add_co_u32 v25, vcc_lo, s4, v25
	s_delay_alu instid0(VALU_DEP_2)
	v_add_co_ci_u32_e32 v26, vcc_lo, s13, v26, vcc_lo
.LBB143_12:                             ;   Parent Loop BB143_11 Depth=1
                                        ; =>  This Inner Loop Header: Depth=2
	v_dual_mov_b32 v29, v23 :: v_dual_add_nc_u32 v22, s14, v27
	s_clause 0x1
	global_load_b128 v[34:37], v[25:26], off
	global_load_b128 v[38:41], v[25:26], off offset:-16
	s_add_i32 s14, s14, 6
	s_delay_alu instid0(SALU_CYCLE_1) | instskip(SKIP_3) | instid1(VALU_DEP_3)
	s_cmp_eq_u32 s14, 24
	v_add_nc_u32_e32 v28, 2, v22
	v_lshlrev_b64 v[31:32], 4, v[22:23]
	v_add_nc_u32_e32 v22, 4, v22
	v_lshlrev_b64 v[28:29], 4, v[28:29]
	s_delay_alu instid0(VALU_DEP_3) | instskip(NEXT) | instid1(VALU_DEP_4)
	v_add_co_u32 v31, vcc_lo, s8, v31
	v_add_co_ci_u32_e32 v32, vcc_lo, s9, v32, vcc_lo
	s_delay_alu instid0(VALU_DEP_3) | instskip(NEXT) | instid1(VALU_DEP_4)
	v_add_co_u32 v28, vcc_lo, s8, v28
	v_add_co_ci_u32_e32 v29, vcc_lo, s9, v29, vcc_lo
	s_clause 0x3
	global_load_b128 v[42:45], v[31:32], off
	global_load_b128 v[46:49], v[31:32], off offset:16
	global_load_b128 v[50:53], v[28:29], off
	global_load_b128 v[54:57], v[28:29], off offset:16
	v_lshlrev_b64 v[28:29], 4, v[22:23]
	s_delay_alu instid0(VALU_DEP_1) | instskip(NEXT) | instid1(VALU_DEP_2)
	v_add_co_u32 v28, vcc_lo, s8, v28
	v_add_co_ci_u32_e32 v29, vcc_lo, s9, v29, vcc_lo
	v_add_co_u32 v25, vcc_lo, v25, 32
	s_clause 0x1
	global_load_b128 v[58:61], v[28:29], off
	global_load_b128 v[62:65], v[28:29], off offset:16
	v_add_co_ci_u32_e32 v26, vcc_lo, 0, v26, vcc_lo
	s_waitcnt vmcnt(5)
	v_fma_f64 v[11:12], v[42:43], v[38:39], v[11:12]
	v_fma_f64 v[9:10], v[44:45], v[38:39], v[9:10]
	s_waitcnt vmcnt(4)
	v_fma_f64 v[17:18], v[46:47], v[38:39], v[17:18]
	v_fma_f64 v[19:20], v[48:49], v[38:39], v[19:20]
	;; [unrolled: 3-line block ×3, first 2 shown]
	v_fma_f64 v[11:12], -v[44:45], v[40:41], v[11:12]
	v_fma_f64 v[9:10], v[42:43], v[40:41], v[9:10]
	v_fma_f64 v[17:18], -v[48:49], v[40:41], v[17:18]
	v_fma_f64 v[19:20], v[46:47], v[40:41], v[19:20]
	;; [unrolled: 2-line block ×3, first 2 shown]
	s_waitcnt vmcnt(2)
	v_fma_f64 v[11:12], v[54:55], v[34:35], v[11:12]
	v_fma_f64 v[9:10], v[56:57], v[34:35], v[9:10]
	s_waitcnt vmcnt(1)
	v_fma_f64 v[17:18], v[58:59], v[34:35], v[17:18]
	v_fma_f64 v[19:20], v[60:61], v[34:35], v[19:20]
	s_waitcnt vmcnt(0)
	v_fma_f64 v[13:14], v[62:63], v[34:35], v[13:14]
	v_fma_f64 v[15:16], v[64:65], v[34:35], v[15:16]
	v_fma_f64 v[11:12], -v[56:57], v[36:37], v[11:12]
	v_fma_f64 v[9:10], v[54:55], v[36:37], v[9:10]
	v_fma_f64 v[17:18], -v[60:61], v[36:37], v[17:18]
	v_fma_f64 v[19:20], v[58:59], v[36:37], v[19:20]
	;; [unrolled: 2-line block ×3, first 2 shown]
	s_cbranch_scc0 .LBB143_12
; %bb.13:                               ;   in Loop: Header=BB143_11 Depth=1
	v_add_nc_u32_e32 v24, 16, v24
	v_add_nc_u32_e32 v27, 0x180, v27
	s_delay_alu instid0(VALU_DEP_2) | instskip(SKIP_1) | instid1(SALU_CYCLE_1)
	v_cmp_ge_i32_e32 vcc_lo, v24, v30
	s_or_b32 s5, vcc_lo, s5
	s_and_not1_b32 exec_lo, exec_lo, s5
	s_cbranch_execnz .LBB143_11
; %bb.14:
	s_or_b32 exec_lo, exec_lo, s5
.LBB143_15:
	s_delay_alu instid0(SALU_CYCLE_1)
	s_or_b32 exec_lo, exec_lo, s1
	s_cbranch_execz .LBB143_17
	s_branch .LBB143_24
.LBB143_16:
                                        ; implicit-def: $vgpr9_vgpr10
                                        ; implicit-def: $vgpr11_vgpr12
                                        ; implicit-def: $vgpr13_vgpr14
                                        ; implicit-def: $vgpr15_vgpr16
                                        ; implicit-def: $vgpr17_vgpr18
                                        ; implicit-def: $vgpr19_vgpr20
.LBB143_17:
	v_mov_b32_e32 v9, 0
	v_mov_b32_e32 v10, 0
	s_delay_alu instid0(VALU_DEP_1)
	v_dual_mov_b32 v12, v10 :: v_dual_mov_b32 v11, v9
	v_dual_mov_b32 v14, v10 :: v_dual_mov_b32 v13, v9
	v_dual_mov_b32 v16, v10 :: v_dual_mov_b32 v15, v9
	v_dual_mov_b32 v18, v10 :: v_dual_mov_b32 v17, v9
	v_dual_mov_b32 v20, v10 :: v_dual_mov_b32 v19, v9
	s_and_saveexec_b32 s4, s0
	s_cbranch_execz .LBB143_23
; %bb.18:
	v_mul_lo_u32 v23, v21, 24
	v_mov_b32_e32 v9, 0
	v_dual_mov_b32 v10, 0 :: v_dual_mov_b32 v25, 0
	s_mov_b32 s5, 0
	s_delay_alu instid0(VALU_DEP_1) | instskip(NEXT) | instid1(VALU_DEP_3)
	v_mov_b32_e32 v20, v10
	v_dual_mov_b32 v12, v10 :: v_dual_mov_b32 v11, v9
	v_dual_mov_b32 v14, v10 :: v_dual_mov_b32 v13, v9
	;; [unrolled: 1-line block ×4, first 2 shown]
	v_add_nc_u32_e32 v26, 16, v23
	v_dual_mov_b32 v19, v9 :: v_dual_add_nc_u32 v28, 8, v23
.LBB143_19:                             ; =>This Loop Header: Depth=1
                                        ;     Child Loop BB143_20 Depth 2
	v_ashrrev_i32_e32 v22, 31, v21
	v_mov_b32_e32 v24, v25
	v_mov_b32_e32 v29, v25
	s_mov_b64 s[0:1], 0
	s_delay_alu instid0(VALU_DEP_3) | instskip(NEXT) | instid1(VALU_DEP_3)
	v_lshlrev_b64 v[31:32], 2, v[21:22]
	v_lshlrev_b64 v[36:37], 4, v[23:24]
	s_delay_alu instid0(VALU_DEP_2) | instskip(NEXT) | instid1(VALU_DEP_3)
	v_add_co_u32 v31, vcc_lo, s6, v31
	v_add_co_ci_u32_e32 v32, vcc_lo, s7, v32, vcc_lo
	global_load_b32 v22, v[31:32], off
	s_waitcnt vmcnt(0)
	v_subrev_nc_u32_e32 v24, s12, v22
	s_delay_alu instid0(VALU_DEP_1) | instskip(NEXT) | instid1(VALU_DEP_1)
	v_dual_mov_b32 v27, v25 :: v_dual_lshlrev_b32 v24, 3, v24
	v_lshlrev_b64 v[31:32], 4, v[26:27]
	s_delay_alu instid0(VALU_DEP_2) | instskip(SKIP_2) | instid1(VALU_DEP_4)
	v_lshlrev_b64 v[38:39], 4, v[24:25]
	v_mov_b32_e32 v24, v23
	v_lshlrev_b64 v[34:35], 4, v[28:29]
	v_add_co_u32 v22, vcc_lo, s8, v31
	v_add_co_ci_u32_e32 v27, vcc_lo, s9, v32, vcc_lo
	s_delay_alu instid0(VALU_DEP_3) | instskip(NEXT) | instid1(VALU_DEP_4)
	v_add_co_u32 v29, vcc_lo, s8, v34
	v_add_co_ci_u32_e32 v31, vcc_lo, s9, v35, vcc_lo
	v_add_co_u32 v32, vcc_lo, s8, v36
	v_add_co_ci_u32_e32 v34, vcc_lo, s9, v37, vcc_lo
	;; [unrolled: 2-line block ×3, first 2 shown]
.LBB143_20:                             ;   Parent Loop BB143_19 Depth=1
                                        ; =>  This Inner Loop Header: Depth=2
	v_dual_mov_b32 v52, v25 :: v_dual_add_nc_u32 v51, 16, v24
	s_delay_alu instid0(VALU_DEP_3) | instskip(SKIP_1) | instid1(VALU_DEP_4)
	v_add_co_u32 v41, vcc_lo, v35, s0
	v_lshlrev_b64 v[53:54], 4, v[24:25]
	v_add_co_ci_u32_e32 v42, vcc_lo, s1, v36, vcc_lo
	v_add_co_u32 v49, vcc_lo, v29, s0
	v_lshlrev_b64 v[51:52], 4, v[51:52]
	v_add_co_ci_u32_e32 v50, vcc_lo, s1, v31, vcc_lo
	v_add_co_u32 v53, vcc_lo, s8, v53
	v_add_co_ci_u32_e32 v54, vcc_lo, s9, v54, vcc_lo
	s_delay_alu instid0(VALU_DEP_4)
	v_add_co_u32 v57, vcc_lo, s8, v51
	v_add_co_ci_u32_e32 v58, vcc_lo, s9, v52, vcc_lo
	s_clause 0x1
	global_load_b128 v[37:40], v[41:42], off offset:16
	global_load_b128 v[41:44], v[41:42], off
	s_clause 0x3
	global_load_b128 v[45:48], v[49:50], off
	global_load_b128 v[49:52], v[49:50], off offset:16
	global_load_b128 v[53:56], v[53:54], off
	global_load_b128 v[57:60], v[57:58], off
	v_add_co_u32 v61, vcc_lo, v22, s0
	v_add_co_ci_u32_e32 v62, vcc_lo, s1, v27, vcc_lo
	v_add_co_u32 v65, vcc_lo, v32, s0
	v_add_co_ci_u32_e32 v66, vcc_lo, s1, v34, vcc_lo
	s_clause 0x1
	global_load_b128 v[61:64], v[61:62], off offset:16
	global_load_b128 v[65:68], v[65:66], off offset:16
	v_add_nc_u32_e32 v24, 2, v24
	s_add_u32 s0, s0, 32
	s_addc_u32 s1, s1, 0
	s_cmpk_eq_i32 s0, 0x80
	s_waitcnt vmcnt(5)
	v_fma_f64 v[17:18], v[45:46], v[41:42], v[17:18]
	v_fma_f64 v[19:20], v[47:48], v[41:42], v[19:20]
	s_waitcnt vmcnt(3)
	v_fma_f64 v[11:12], v[53:54], v[41:42], v[11:12]
	v_fma_f64 v[9:10], v[55:56], v[41:42], v[9:10]
	;; [unrolled: 3-line block ×3, first 2 shown]
	v_fma_f64 v[17:18], -v[47:48], v[43:44], v[17:18]
	v_fma_f64 v[19:20], v[45:46], v[43:44], v[19:20]
	v_fma_f64 v[11:12], -v[55:56], v[43:44], v[11:12]
	v_fma_f64 v[9:10], v[53:54], v[43:44], v[9:10]
	;; [unrolled: 2-line block ×3, first 2 shown]
	v_fma_f64 v[17:18], v[49:50], v[37:38], v[17:18]
	v_fma_f64 v[19:20], v[51:52], v[37:38], v[19:20]
	s_waitcnt vmcnt(0)
	v_fma_f64 v[11:12], v[65:66], v[37:38], v[11:12]
	v_fma_f64 v[9:10], v[67:68], v[37:38], v[9:10]
	;; [unrolled: 1-line block ×4, first 2 shown]
	v_fma_f64 v[17:18], -v[51:52], v[39:40], v[17:18]
	v_fma_f64 v[19:20], v[49:50], v[39:40], v[19:20]
	v_fma_f64 v[11:12], -v[67:68], v[39:40], v[11:12]
	v_fma_f64 v[9:10], v[65:66], v[39:40], v[9:10]
	;; [unrolled: 2-line block ×3, first 2 shown]
	s_cbranch_scc0 .LBB143_20
; %bb.21:                               ;   in Loop: Header=BB143_19 Depth=1
	v_add_nc_u32_e32 v21, 16, v21
	v_add_nc_u32_e32 v26, 0x180, v26
	;; [unrolled: 1-line block ×4, first 2 shown]
	s_delay_alu instid0(VALU_DEP_4) | instskip(SKIP_1) | instid1(SALU_CYCLE_1)
	v_cmp_ge_i32_e32 vcc_lo, v21, v30
	s_or_b32 s5, vcc_lo, s5
	s_and_not1_b32 exec_lo, exec_lo, s5
	s_cbranch_execnz .LBB143_19
; %bb.22:
	s_or_b32 exec_lo, exec_lo, s5
.LBB143_23:
	s_delay_alu instid0(SALU_CYCLE_1)
	s_or_b32 exec_lo, exec_lo, s4
.LBB143_24:
	v_mbcnt_lo_u32_b32 v34, -1, 0
	s_delay_alu instid0(VALU_DEP_1) | instskip(NEXT) | instid1(VALU_DEP_1)
	v_xor_b32_e32 v21, 8, v34
	v_cmp_gt_i32_e32 vcc_lo, 32, v21
	v_cndmask_b32_e32 v21, v34, v21, vcc_lo
	s_delay_alu instid0(VALU_DEP_1)
	v_lshlrev_b32_e32 v32, 2, v21
	ds_bpermute_b32 v21, v32, v11
	ds_bpermute_b32 v22, v32, v12
	;; [unrolled: 1-line block ×12, first 2 shown]
	s_waitcnt lgkmcnt(10)
	v_add_f64 v[11:12], v[11:12], v[21:22]
	v_xor_b32_e32 v21, 4, v34
	s_waitcnt lgkmcnt(8)
	v_add_f64 v[9:10], v[9:10], v[23:24]
	s_waitcnt lgkmcnt(6)
	v_add_f64 v[17:18], v[17:18], v[25:26]
	;; [unrolled: 2-line block ×3, first 2 shown]
	v_cmp_gt_i32_e32 vcc_lo, 32, v21
	s_waitcnt lgkmcnt(2)
	v_add_f64 v[13:14], v[13:14], v[29:30]
	s_waitcnt lgkmcnt(0)
	v_add_f64 v[15:16], v[15:16], v[31:32]
	v_cndmask_b32_e32 v21, v34, v21, vcc_lo
	s_delay_alu instid0(VALU_DEP_1)
	v_lshlrev_b32_e32 v32, 2, v21
	ds_bpermute_b32 v21, v32, v11
	ds_bpermute_b32 v22, v32, v12
	;; [unrolled: 1-line block ×12, first 2 shown]
	s_waitcnt lgkmcnt(10)
	v_add_f64 v[11:12], v[11:12], v[21:22]
	s_waitcnt lgkmcnt(8)
	v_add_f64 v[21:22], v[9:10], v[23:24]
	v_xor_b32_e32 v9, 2, v34
	s_waitcnt lgkmcnt(6)
	v_add_f64 v[17:18], v[17:18], v[25:26]
	s_waitcnt lgkmcnt(4)
	v_add_f64 v[23:24], v[19:20], v[27:28]
	;; [unrolled: 2-line block ×3, first 2 shown]
	v_cmp_gt_i32_e32 vcc_lo, 32, v9
	s_waitcnt lgkmcnt(0)
	v_add_f64 v[15:16], v[15:16], v[31:32]
	v_cndmask_b32_e32 v9, v34, v9, vcc_lo
	s_delay_alu instid0(VALU_DEP_1)
	v_lshlrev_b32_e32 v32, 2, v9
	ds_bpermute_b32 v9, v32, v11
	ds_bpermute_b32 v10, v32, v12
	;; [unrolled: 1-line block ×12, first 2 shown]
	s_waitcnt lgkmcnt(10)
	v_add_f64 v[9:10], v[11:12], v[9:10]
	s_waitcnt lgkmcnt(8)
	v_add_f64 v[19:20], v[21:22], v[19:20]
	v_xor_b32_e32 v21, 1, v34
	s_waitcnt lgkmcnt(6)
	v_add_f64 v[11:12], v[17:18], v[25:26]
	s_waitcnt lgkmcnt(4)
	v_add_f64 v[17:18], v[23:24], v[27:28]
	s_waitcnt lgkmcnt(2)
	v_add_f64 v[13:14], v[13:14], v[29:30]
	v_cmp_gt_i32_e32 vcc_lo, 32, v21
	s_waitcnt lgkmcnt(0)
	v_add_f64 v[15:16], v[15:16], v[31:32]
	v_cndmask_b32_e32 v21, v34, v21, vcc_lo
	v_cmp_eq_u32_e32 vcc_lo, 15, v33
	s_delay_alu instid0(VALU_DEP_2)
	v_lshlrev_b32_e32 v24, 2, v21
	ds_bpermute_b32 v31, v24, v9
	ds_bpermute_b32 v32, v24, v10
	;; [unrolled: 1-line block ×12, first 2 shown]
	s_and_b32 exec_lo, exec_lo, vcc_lo
	s_cbranch_execz .LBB143_29
; %bb.25:
	v_cmp_eq_f64_e32 vcc_lo, 0, v[4:5]
	v_cmp_eq_f64_e64 s0, 0, v[6:7]
	s_waitcnt lgkmcnt(10)
	v_add_f64 v[9:10], v[9:10], v[31:32]
	s_waitcnt lgkmcnt(8)
	v_add_f64 v[19:20], v[19:20], v[29:30]
	;; [unrolled: 2-line block ×6, first 2 shown]
	s_load_b64 s[2:3], s[2:3], 0x48
	s_and_b32 s0, vcc_lo, s0
	s_delay_alu instid0(SALU_CYCLE_1) | instskip(NEXT) | instid1(SALU_CYCLE_1)
	s_and_saveexec_b32 s1, s0
	s_xor_b32 s0, exec_lo, s1
	s_cbranch_execz .LBB143_27
; %bb.26:
	v_mul_f64 v[4:5], v[19:20], -v[2:3]
	v_mul_f64 v[6:7], v[0:1], v[19:20]
	v_mul_f64 v[19:20], v[17:18], -v[2:3]
	v_mul_f64 v[17:18], v[0:1], v[17:18]
	;; [unrolled: 2-line block ×3, first 2 shown]
	v_fma_f64 v[4:5], v[0:1], v[9:10], v[4:5]
	v_fma_f64 v[6:7], v[2:3], v[9:10], v[6:7]
	;; [unrolled: 1-line block ×6, first 2 shown]
	v_lshl_add_u32 v13, v8, 1, v8
                                        ; implicit-def: $vgpr8
                                        ; implicit-def: $vgpr19_vgpr20
                                        ; implicit-def: $vgpr17_vgpr18
                                        ; implicit-def: $vgpr15_vgpr16
	s_delay_alu instid0(VALU_DEP_1) | instskip(NEXT) | instid1(VALU_DEP_1)
	v_ashrrev_i32_e32 v14, 31, v13
	v_lshlrev_b64 v[13:14], 4, v[13:14]
	s_waitcnt lgkmcnt(0)
	s_delay_alu instid0(VALU_DEP_1) | instskip(NEXT) | instid1(VALU_DEP_2)
	v_add_co_u32 v13, vcc_lo, s2, v13
	v_add_co_ci_u32_e32 v14, vcc_lo, s3, v14, vcc_lo
	s_clause 0x2
	global_store_b128 v[13:14], v[4:7], off
	global_store_b128 v[13:14], v[9:12], off offset:16
	global_store_b128 v[13:14], v[0:3], off offset:32
                                        ; implicit-def: $vgpr0_vgpr1
                                        ; implicit-def: $vgpr2_vgpr3
                                        ; implicit-def: $vgpr4_vgpr5
                                        ; implicit-def: $vgpr6_vgpr7
                                        ; implicit-def: $vgpr9_vgpr10
                                        ; implicit-def: $vgpr11_vgpr12
                                        ; implicit-def: $vgpr13_vgpr14
.LBB143_27:
	s_and_not1_saveexec_b32 s0, s0
	s_cbranch_execz .LBB143_29
; %bb.28:
	v_lshl_add_u32 v21, v8, 1, v8
	v_mul_f64 v[35:36], v[19:20], -v[2:3]
	v_mul_f64 v[19:20], v[0:1], v[19:20]
	v_mul_f64 v[37:38], v[17:18], -v[2:3]
	v_mul_f64 v[17:18], v[0:1], v[17:18]
	v_ashrrev_i32_e32 v22, 31, v21
	v_mul_f64 v[39:40], v[15:16], -v[2:3]
	v_mul_f64 v[15:16], v[0:1], v[15:16]
	s_delay_alu instid0(VALU_DEP_3) | instskip(SKIP_1) | instid1(VALU_DEP_1)
	v_lshlrev_b64 v[21:22], 4, v[21:22]
	s_waitcnt lgkmcnt(0)
	v_add_co_u32 v33, vcc_lo, s2, v21
	s_delay_alu instid0(VALU_DEP_2)
	v_add_co_ci_u32_e32 v34, vcc_lo, s3, v22, vcc_lo
	s_clause 0x2
	global_load_b128 v[21:24], v[33:34], off
	global_load_b128 v[25:28], v[33:34], off offset:16
	global_load_b128 v[29:32], v[33:34], off offset:32
	v_fma_f64 v[35:36], v[0:1], v[9:10], v[35:36]
	v_fma_f64 v[8:9], v[2:3], v[9:10], v[19:20]
	;; [unrolled: 1-line block ×6, first 2 shown]
	s_waitcnt vmcnt(2)
	v_fma_f64 v[12:13], v[4:5], v[21:22], v[35:36]
	v_fma_f64 v[8:9], v[6:7], v[21:22], v[8:9]
	s_waitcnt vmcnt(1)
	v_fma_f64 v[14:15], v[4:5], v[25:26], v[19:20]
	v_fma_f64 v[10:11], v[6:7], v[25:26], v[10:11]
	;; [unrolled: 3-line block ×3, first 2 shown]
	v_fma_f64 v[0:1], -v[6:7], v[23:24], v[12:13]
	v_fma_f64 v[2:3], v[4:5], v[23:24], v[8:9]
	v_fma_f64 v[8:9], -v[6:7], v[27:28], v[14:15]
	v_fma_f64 v[10:11], v[4:5], v[27:28], v[10:11]
	;; [unrolled: 2-line block ×3, first 2 shown]
	s_clause 0x2
	global_store_b128 v[33:34], v[0:3], off
	global_store_b128 v[33:34], v[8:11], off offset:16
	global_store_b128 v[33:34], v[12:15], off offset:32
.LBB143_29:
	s_nop 0
	s_sendmsg sendmsg(MSG_DEALLOC_VGPRS)
	s_endpgm
	.section	.rodata,"a",@progbits
	.p2align	6, 0x0
	.amdhsa_kernel _ZN9rocsparseL19gebsrmvn_3xn_kernelILj128ELj8ELj16E21rocsparse_complex_numIdEEEvi20rocsparse_direction_NS_24const_host_device_scalarIT2_EEPKiS8_PKS5_SA_S6_PS5_21rocsparse_index_base_b
		.amdhsa_group_segment_fixed_size 2048
		.amdhsa_private_segment_fixed_size 0
		.amdhsa_kernarg_size 88
		.amdhsa_user_sgpr_count 15
		.amdhsa_user_sgpr_dispatch_ptr 1
		.amdhsa_user_sgpr_queue_ptr 0
		.amdhsa_user_sgpr_kernarg_segment_ptr 1
		.amdhsa_user_sgpr_dispatch_id 0
		.amdhsa_user_sgpr_private_segment_size 0
		.amdhsa_wavefront_size32 1
		.amdhsa_uses_dynamic_stack 0
		.amdhsa_enable_private_segment 0
		.amdhsa_system_sgpr_workgroup_id_x 1
		.amdhsa_system_sgpr_workgroup_id_y 0
		.amdhsa_system_sgpr_workgroup_id_z 0
		.amdhsa_system_sgpr_workgroup_info 0
		.amdhsa_system_vgpr_workitem_id 2
		.amdhsa_next_free_vgpr 69
		.amdhsa_next_free_sgpr 18
		.amdhsa_reserve_vcc 1
		.amdhsa_float_round_mode_32 0
		.amdhsa_float_round_mode_16_64 0
		.amdhsa_float_denorm_mode_32 3
		.amdhsa_float_denorm_mode_16_64 3
		.amdhsa_dx10_clamp 1
		.amdhsa_ieee_mode 1
		.amdhsa_fp16_overflow 0
		.amdhsa_workgroup_processor_mode 1
		.amdhsa_memory_ordered 1
		.amdhsa_forward_progress 0
		.amdhsa_shared_vgpr_count 0
		.amdhsa_exception_fp_ieee_invalid_op 0
		.amdhsa_exception_fp_denorm_src 0
		.amdhsa_exception_fp_ieee_div_zero 0
		.amdhsa_exception_fp_ieee_overflow 0
		.amdhsa_exception_fp_ieee_underflow 0
		.amdhsa_exception_fp_ieee_inexact 0
		.amdhsa_exception_int_div_zero 0
	.end_amdhsa_kernel
	.section	.text._ZN9rocsparseL19gebsrmvn_3xn_kernelILj128ELj8ELj16E21rocsparse_complex_numIdEEEvi20rocsparse_direction_NS_24const_host_device_scalarIT2_EEPKiS8_PKS5_SA_S6_PS5_21rocsparse_index_base_b,"axG",@progbits,_ZN9rocsparseL19gebsrmvn_3xn_kernelILj128ELj8ELj16E21rocsparse_complex_numIdEEEvi20rocsparse_direction_NS_24const_host_device_scalarIT2_EEPKiS8_PKS5_SA_S6_PS5_21rocsparse_index_base_b,comdat
.Lfunc_end143:
	.size	_ZN9rocsparseL19gebsrmvn_3xn_kernelILj128ELj8ELj16E21rocsparse_complex_numIdEEEvi20rocsparse_direction_NS_24const_host_device_scalarIT2_EEPKiS8_PKS5_SA_S6_PS5_21rocsparse_index_base_b, .Lfunc_end143-_ZN9rocsparseL19gebsrmvn_3xn_kernelILj128ELj8ELj16E21rocsparse_complex_numIdEEEvi20rocsparse_direction_NS_24const_host_device_scalarIT2_EEPKiS8_PKS5_SA_S6_PS5_21rocsparse_index_base_b
                                        ; -- End function
	.section	.AMDGPU.csdata,"",@progbits
; Kernel info:
; codeLenInByte = 3248
; NumSgprs: 20
; NumVgprs: 69
; ScratchSize: 0
; MemoryBound: 0
; FloatMode: 240
; IeeeMode: 1
; LDSByteSize: 2048 bytes/workgroup (compile time only)
; SGPRBlocks: 2
; VGPRBlocks: 8
; NumSGPRsForWavesPerEU: 20
; NumVGPRsForWavesPerEU: 69
; Occupancy: 16
; WaveLimiterHint : 1
; COMPUTE_PGM_RSRC2:SCRATCH_EN: 0
; COMPUTE_PGM_RSRC2:USER_SGPR: 15
; COMPUTE_PGM_RSRC2:TRAP_HANDLER: 0
; COMPUTE_PGM_RSRC2:TGID_X_EN: 1
; COMPUTE_PGM_RSRC2:TGID_Y_EN: 0
; COMPUTE_PGM_RSRC2:TGID_Z_EN: 0
; COMPUTE_PGM_RSRC2:TIDIG_COMP_CNT: 2
	.section	.text._ZN9rocsparseL19gebsrmvn_3xn_kernelILj128ELj8ELj32E21rocsparse_complex_numIdEEEvi20rocsparse_direction_NS_24const_host_device_scalarIT2_EEPKiS8_PKS5_SA_S6_PS5_21rocsparse_index_base_b,"axG",@progbits,_ZN9rocsparseL19gebsrmvn_3xn_kernelILj128ELj8ELj32E21rocsparse_complex_numIdEEEvi20rocsparse_direction_NS_24const_host_device_scalarIT2_EEPKiS8_PKS5_SA_S6_PS5_21rocsparse_index_base_b,comdat
	.globl	_ZN9rocsparseL19gebsrmvn_3xn_kernelILj128ELj8ELj32E21rocsparse_complex_numIdEEEvi20rocsparse_direction_NS_24const_host_device_scalarIT2_EEPKiS8_PKS5_SA_S6_PS5_21rocsparse_index_base_b ; -- Begin function _ZN9rocsparseL19gebsrmvn_3xn_kernelILj128ELj8ELj32E21rocsparse_complex_numIdEEEvi20rocsparse_direction_NS_24const_host_device_scalarIT2_EEPKiS8_PKS5_SA_S6_PS5_21rocsparse_index_base_b
	.p2align	8
	.type	_ZN9rocsparseL19gebsrmvn_3xn_kernelILj128ELj8ELj32E21rocsparse_complex_numIdEEEvi20rocsparse_direction_NS_24const_host_device_scalarIT2_EEPKiS8_PKS5_SA_S6_PS5_21rocsparse_index_base_b,@function
_ZN9rocsparseL19gebsrmvn_3xn_kernelILj128ELj8ELj32E21rocsparse_complex_numIdEEEvi20rocsparse_direction_NS_24const_host_device_scalarIT2_EEPKiS8_PKS5_SA_S6_PS5_21rocsparse_index_base_b: ; @_ZN9rocsparseL19gebsrmvn_3xn_kernelILj128ELj8ELj32E21rocsparse_complex_numIdEEEvi20rocsparse_direction_NS_24const_host_device_scalarIT2_EEPKiS8_PKS5_SA_S6_PS5_21rocsparse_index_base_b
; %bb.0:
	s_load_b64 s[12:13], s[2:3], 0x50
	s_load_b64 s[16:17], s[0:1], 0x4
	s_load_b128 s[8:11], s[2:3], 0x8
	v_bfe_u32 v1, v0, 10, 10
	s_mov_b64 s[0:1], src_shared_base
	s_load_b128 s[4:7], s[2:3], 0x38
	v_and_b32_e32 v10, 0x3ff, v0
	v_bfe_u32 v0, v0, 20, 10
	s_waitcnt lgkmcnt(0)
	s_bitcmp1_b32 s13, 0
	v_mul_u32_u24_e32 v1, s17, v1
	s_cselect_b32 s0, -1, 0
	s_delay_alu instid0(SALU_CYCLE_1)
	s_and_b32 vcc_lo, s0, exec_lo
	s_cselect_b32 s13, s1, s9
	s_lshr_b32 s14, s16, 16
	v_dual_mov_b32 v2, s4 :: v_dual_mov_b32 v3, s5
	s_mul_i32 s14, s14, s17
	v_mov_b32_e32 v6, s13
	v_mad_u32_u24 v1, s14, v10, v1
	s_delay_alu instid0(VALU_DEP_1) | instskip(SKIP_1) | instid1(VALU_DEP_2)
	v_add_lshl_u32 v4, v1, v0, 3
	v_dual_mov_b32 v0, s8 :: v_dual_mov_b32 v1, s9
	v_add_nc_u32_e32 v5, 0x400, v4
	ds_store_2addr_stride64_b64 v4, v[2:3], v[0:1] offset1:2
	v_dual_mov_b32 v2, s10 :: v_dual_mov_b32 v3, s11
	v_cndmask_b32_e64 v5, s8, v5, s0
	s_xor_b32 s10, s0, -1
	flat_load_b64 v[0:1], v[5:6]
	s_cbranch_vccnz .LBB144_2
; %bb.1:
	v_dual_mov_b32 v2, s8 :: v_dual_mov_b32 v3, s9
	flat_load_b64 v[2:3], v[2:3] offset:8
.LBB144_2:
	s_and_b32 s8, s0, exec_lo
	s_cselect_b32 s1, s1, s5
	v_cndmask_b32_e64 v4, s4, v4, s0
	v_dual_mov_b32 v5, s1 :: v_dual_mov_b32 v6, s6
	v_mov_b32_e32 v7, s7
	s_and_not1_b32 vcc_lo, exec_lo, s10
	flat_load_b64 v[4:5], v[4:5]
	s_cbranch_vccnz .LBB144_4
; %bb.3:
	v_dual_mov_b32 v7, s5 :: v_dual_mov_b32 v6, s4
	flat_load_b64 v[6:7], v[6:7] offset:8
.LBB144_4:
	s_waitcnt vmcnt(1) lgkmcnt(1)
	v_cmp_eq_f64_e32 vcc_lo, 0, v[0:1]
	v_cmp_eq_f64_e64 s0, 0, v[2:3]
	s_delay_alu instid0(VALU_DEP_1)
	s_and_b32 s4, vcc_lo, s0
	s_mov_b32 s0, -1
	s_and_saveexec_b32 s1, s4
	s_cbranch_execz .LBB144_6
; %bb.5:
	s_waitcnt vmcnt(0) lgkmcnt(0)
	v_cmp_neq_f64_e32 vcc_lo, 1.0, v[4:5]
	v_cmp_neq_f64_e64 s0, 0, v[6:7]
	s_delay_alu instid0(VALU_DEP_1) | instskip(NEXT) | instid1(SALU_CYCLE_1)
	s_or_b32 s0, vcc_lo, s0
	s_or_not1_b32 s0, s0, exec_lo
.LBB144_6:
	s_or_b32 exec_lo, exec_lo, s1
	s_and_saveexec_b32 s1, s0
	s_cbranch_execz .LBB144_29
; %bb.7:
	s_load_b64 s[0:1], s[2:3], 0x0
	v_lshrrev_b32_e32 v8, 5, v10
	s_delay_alu instid0(VALU_DEP_1) | instskip(SKIP_1) | instid1(VALU_DEP_1)
	v_lshl_or_b32 v8, s15, 2, v8
	s_waitcnt lgkmcnt(0)
	v_cmp_gt_i32_e32 vcc_lo, s0, v8
	s_and_b32 exec_lo, exec_lo, vcc_lo
	s_cbranch_execz .LBB144_29
; %bb.8:
	s_load_b256 s[4:11], s[2:3], 0x18
	v_ashrrev_i32_e32 v9, 31, v8
	v_and_b32_e32 v33, 31, v10
	s_cmp_lg_u32 s1, 0
	s_delay_alu instid0(VALU_DEP_2) | instskip(SKIP_1) | instid1(VALU_DEP_1)
	v_lshlrev_b64 v[11:12], 2, v[8:9]
	s_waitcnt lgkmcnt(0)
	v_add_co_u32 v11, vcc_lo, s4, v11
	s_delay_alu instid0(VALU_DEP_2) | instskip(SKIP_4) | instid1(VALU_DEP_2)
	v_add_co_ci_u32_e32 v12, vcc_lo, s5, v12, vcc_lo
	global_load_b64 v[22:23], v[11:12], off
	s_waitcnt vmcnt(0)
	v_subrev_nc_u32_e32 v9, s12, v22
	v_subrev_nc_u32_e32 v30, s12, v23
	v_add_nc_u32_e32 v21, v9, v33
	s_delay_alu instid0(VALU_DEP_1)
	v_cmp_lt_i32_e64 s0, v21, v30
	s_cbranch_scc0 .LBB144_16
; %bb.9:
	v_mov_b32_e32 v9, 0
	v_mov_b32_e32 v10, 0
	s_delay_alu instid0(VALU_DEP_1)
	v_dual_mov_b32 v12, v10 :: v_dual_mov_b32 v11, v9
	v_dual_mov_b32 v14, v10 :: v_dual_mov_b32 v13, v9
	;; [unrolled: 1-line block ×5, first 2 shown]
	s_and_saveexec_b32 s1, s0
	s_cbranch_execz .LBB144_15
; %bb.10:
	v_mul_lo_u32 v11, v22, 24
	v_dual_mov_b32 v9, 0 :: v_dual_mov_b32 v24, v21
	v_dual_mov_b32 v10, 0 :: v_dual_mov_b32 v23, 0
	s_mul_i32 s4, s12, 24
	s_mov_b32 s5, 0
	s_delay_alu instid0(VALU_DEP_1) | instskip(NEXT) | instid1(VALU_DEP_4)
	v_dual_mov_b32 v14, v10 :: v_dual_mov_b32 v13, v9
	v_mad_u32_u24 v19, v33, 24, v11
	v_dual_mov_b32 v12, v10 :: v_dual_mov_b32 v11, v9
	v_dual_mov_b32 v16, v10 :: v_dual_mov_b32 v15, v9
	;; [unrolled: 1-line block ×3, first 2 shown]
	s_delay_alu instid0(VALU_DEP_4)
	v_subrev_nc_u32_e32 v27, s4, v19
	v_dual_mov_b32 v20, v10 :: v_dual_mov_b32 v19, v9
	s_add_u32 s4, s10, 16
	s_addc_u32 s13, s11, 0
.LBB144_11:                             ; =>This Loop Header: Depth=1
                                        ;     Child Loop BB144_12 Depth 2
	v_ashrrev_i32_e32 v25, 31, v24
	s_mov_b32 s14, 0
	s_delay_alu instid0(VALU_DEP_1) | instskip(NEXT) | instid1(VALU_DEP_1)
	v_lshlrev_b64 v[25:26], 2, v[24:25]
	v_add_co_u32 v25, vcc_lo, s6, v25
	s_delay_alu instid0(VALU_DEP_2) | instskip(SKIP_3) | instid1(VALU_DEP_1)
	v_add_co_ci_u32_e32 v26, vcc_lo, s7, v26, vcc_lo
	global_load_b32 v22, v[25:26], off
	s_waitcnt vmcnt(0)
	v_subrev_nc_u32_e32 v22, s12, v22
	v_lshlrev_b32_e32 v22, 3, v22
	s_delay_alu instid0(VALU_DEP_1) | instskip(NEXT) | instid1(VALU_DEP_1)
	v_lshlrev_b64 v[25:26], 4, v[22:23]
	v_add_co_u32 v25, vcc_lo, s4, v25
	s_delay_alu instid0(VALU_DEP_2)
	v_add_co_ci_u32_e32 v26, vcc_lo, s13, v26, vcc_lo
.LBB144_12:                             ;   Parent Loop BB144_11 Depth=1
                                        ; =>  This Inner Loop Header: Depth=2
	v_dual_mov_b32 v29, v23 :: v_dual_add_nc_u32 v22, s14, v27
	s_clause 0x1
	global_load_b128 v[34:37], v[25:26], off
	global_load_b128 v[38:41], v[25:26], off offset:-16
	s_add_i32 s14, s14, 6
	s_delay_alu instid0(SALU_CYCLE_1) | instskip(SKIP_3) | instid1(VALU_DEP_3)
	s_cmp_eq_u32 s14, 24
	v_add_nc_u32_e32 v28, 2, v22
	v_lshlrev_b64 v[31:32], 4, v[22:23]
	v_add_nc_u32_e32 v22, 4, v22
	v_lshlrev_b64 v[28:29], 4, v[28:29]
	s_delay_alu instid0(VALU_DEP_3) | instskip(NEXT) | instid1(VALU_DEP_4)
	v_add_co_u32 v31, vcc_lo, s8, v31
	v_add_co_ci_u32_e32 v32, vcc_lo, s9, v32, vcc_lo
	s_delay_alu instid0(VALU_DEP_3) | instskip(NEXT) | instid1(VALU_DEP_4)
	v_add_co_u32 v28, vcc_lo, s8, v28
	v_add_co_ci_u32_e32 v29, vcc_lo, s9, v29, vcc_lo
	s_clause 0x3
	global_load_b128 v[42:45], v[31:32], off
	global_load_b128 v[46:49], v[31:32], off offset:16
	global_load_b128 v[50:53], v[28:29], off
	global_load_b128 v[54:57], v[28:29], off offset:16
	v_lshlrev_b64 v[28:29], 4, v[22:23]
	s_delay_alu instid0(VALU_DEP_1) | instskip(NEXT) | instid1(VALU_DEP_2)
	v_add_co_u32 v28, vcc_lo, s8, v28
	v_add_co_ci_u32_e32 v29, vcc_lo, s9, v29, vcc_lo
	v_add_co_u32 v25, vcc_lo, v25, 32
	s_clause 0x1
	global_load_b128 v[58:61], v[28:29], off
	global_load_b128 v[62:65], v[28:29], off offset:16
	v_add_co_ci_u32_e32 v26, vcc_lo, 0, v26, vcc_lo
	s_waitcnt vmcnt(5)
	v_fma_f64 v[11:12], v[42:43], v[38:39], v[11:12]
	v_fma_f64 v[9:10], v[44:45], v[38:39], v[9:10]
	s_waitcnt vmcnt(4)
	v_fma_f64 v[17:18], v[46:47], v[38:39], v[17:18]
	v_fma_f64 v[19:20], v[48:49], v[38:39], v[19:20]
	;; [unrolled: 3-line block ×3, first 2 shown]
	v_fma_f64 v[11:12], -v[44:45], v[40:41], v[11:12]
	v_fma_f64 v[9:10], v[42:43], v[40:41], v[9:10]
	v_fma_f64 v[17:18], -v[48:49], v[40:41], v[17:18]
	v_fma_f64 v[19:20], v[46:47], v[40:41], v[19:20]
	v_fma_f64 v[13:14], -v[52:53], v[40:41], v[13:14]
	v_fma_f64 v[15:16], v[50:51], v[40:41], v[15:16]
	s_waitcnt vmcnt(2)
	v_fma_f64 v[11:12], v[54:55], v[34:35], v[11:12]
	v_fma_f64 v[9:10], v[56:57], v[34:35], v[9:10]
	s_waitcnt vmcnt(1)
	v_fma_f64 v[17:18], v[58:59], v[34:35], v[17:18]
	v_fma_f64 v[19:20], v[60:61], v[34:35], v[19:20]
	;; [unrolled: 3-line block ×3, first 2 shown]
	v_fma_f64 v[11:12], -v[56:57], v[36:37], v[11:12]
	v_fma_f64 v[9:10], v[54:55], v[36:37], v[9:10]
	v_fma_f64 v[17:18], -v[60:61], v[36:37], v[17:18]
	v_fma_f64 v[19:20], v[58:59], v[36:37], v[19:20]
	;; [unrolled: 2-line block ×3, first 2 shown]
	s_cbranch_scc0 .LBB144_12
; %bb.13:                               ;   in Loop: Header=BB144_11 Depth=1
	v_add_nc_u32_e32 v24, 32, v24
	v_add_nc_u32_e32 v27, 0x300, v27
	s_delay_alu instid0(VALU_DEP_2) | instskip(SKIP_1) | instid1(SALU_CYCLE_1)
	v_cmp_ge_i32_e32 vcc_lo, v24, v30
	s_or_b32 s5, vcc_lo, s5
	s_and_not1_b32 exec_lo, exec_lo, s5
	s_cbranch_execnz .LBB144_11
; %bb.14:
	s_or_b32 exec_lo, exec_lo, s5
.LBB144_15:
	s_delay_alu instid0(SALU_CYCLE_1)
	s_or_b32 exec_lo, exec_lo, s1
	s_cbranch_execz .LBB144_17
	s_branch .LBB144_24
.LBB144_16:
                                        ; implicit-def: $vgpr9_vgpr10
                                        ; implicit-def: $vgpr11_vgpr12
                                        ; implicit-def: $vgpr13_vgpr14
                                        ; implicit-def: $vgpr15_vgpr16
                                        ; implicit-def: $vgpr17_vgpr18
                                        ; implicit-def: $vgpr19_vgpr20
.LBB144_17:
	v_mov_b32_e32 v9, 0
	v_mov_b32_e32 v10, 0
	s_delay_alu instid0(VALU_DEP_1)
	v_dual_mov_b32 v12, v10 :: v_dual_mov_b32 v11, v9
	v_dual_mov_b32 v14, v10 :: v_dual_mov_b32 v13, v9
	;; [unrolled: 1-line block ×5, first 2 shown]
	s_and_saveexec_b32 s4, s0
	s_cbranch_execz .LBB144_23
; %bb.18:
	v_mul_lo_u32 v23, v21, 24
	v_mov_b32_e32 v9, 0
	v_dual_mov_b32 v10, 0 :: v_dual_mov_b32 v25, 0
	s_mov_b32 s5, 0
	s_delay_alu instid0(VALU_DEP_1) | instskip(NEXT) | instid1(VALU_DEP_3)
	v_mov_b32_e32 v20, v10
	v_dual_mov_b32 v12, v10 :: v_dual_mov_b32 v11, v9
	v_dual_mov_b32 v14, v10 :: v_dual_mov_b32 v13, v9
	;; [unrolled: 1-line block ×4, first 2 shown]
	v_add_nc_u32_e32 v26, 16, v23
	v_dual_mov_b32 v19, v9 :: v_dual_add_nc_u32 v28, 8, v23
.LBB144_19:                             ; =>This Loop Header: Depth=1
                                        ;     Child Loop BB144_20 Depth 2
	v_ashrrev_i32_e32 v22, 31, v21
	v_mov_b32_e32 v24, v25
	v_mov_b32_e32 v29, v25
	s_mov_b64 s[0:1], 0
	s_delay_alu instid0(VALU_DEP_3) | instskip(NEXT) | instid1(VALU_DEP_3)
	v_lshlrev_b64 v[31:32], 2, v[21:22]
	v_lshlrev_b64 v[36:37], 4, v[23:24]
	s_delay_alu instid0(VALU_DEP_2) | instskip(NEXT) | instid1(VALU_DEP_3)
	v_add_co_u32 v31, vcc_lo, s6, v31
	v_add_co_ci_u32_e32 v32, vcc_lo, s7, v32, vcc_lo
	global_load_b32 v22, v[31:32], off
	s_waitcnt vmcnt(0)
	v_subrev_nc_u32_e32 v24, s12, v22
	s_delay_alu instid0(VALU_DEP_1) | instskip(NEXT) | instid1(VALU_DEP_1)
	v_dual_mov_b32 v27, v25 :: v_dual_lshlrev_b32 v24, 3, v24
	v_lshlrev_b64 v[31:32], 4, v[26:27]
	s_delay_alu instid0(VALU_DEP_2) | instskip(SKIP_2) | instid1(VALU_DEP_4)
	v_lshlrev_b64 v[38:39], 4, v[24:25]
	v_mov_b32_e32 v24, v23
	v_lshlrev_b64 v[34:35], 4, v[28:29]
	v_add_co_u32 v22, vcc_lo, s8, v31
	v_add_co_ci_u32_e32 v27, vcc_lo, s9, v32, vcc_lo
	s_delay_alu instid0(VALU_DEP_3) | instskip(NEXT) | instid1(VALU_DEP_4)
	v_add_co_u32 v29, vcc_lo, s8, v34
	v_add_co_ci_u32_e32 v31, vcc_lo, s9, v35, vcc_lo
	v_add_co_u32 v32, vcc_lo, s8, v36
	v_add_co_ci_u32_e32 v34, vcc_lo, s9, v37, vcc_lo
	;; [unrolled: 2-line block ×3, first 2 shown]
.LBB144_20:                             ;   Parent Loop BB144_19 Depth=1
                                        ; =>  This Inner Loop Header: Depth=2
	v_dual_mov_b32 v52, v25 :: v_dual_add_nc_u32 v51, 16, v24
	s_delay_alu instid0(VALU_DEP_3) | instskip(SKIP_1) | instid1(VALU_DEP_4)
	v_add_co_u32 v41, vcc_lo, v35, s0
	v_lshlrev_b64 v[53:54], 4, v[24:25]
	v_add_co_ci_u32_e32 v42, vcc_lo, s1, v36, vcc_lo
	v_add_co_u32 v49, vcc_lo, v29, s0
	v_lshlrev_b64 v[51:52], 4, v[51:52]
	v_add_co_ci_u32_e32 v50, vcc_lo, s1, v31, vcc_lo
	v_add_co_u32 v53, vcc_lo, s8, v53
	v_add_co_ci_u32_e32 v54, vcc_lo, s9, v54, vcc_lo
	s_delay_alu instid0(VALU_DEP_4)
	v_add_co_u32 v57, vcc_lo, s8, v51
	v_add_co_ci_u32_e32 v58, vcc_lo, s9, v52, vcc_lo
	s_clause 0x1
	global_load_b128 v[37:40], v[41:42], off offset:16
	global_load_b128 v[41:44], v[41:42], off
	s_clause 0x3
	global_load_b128 v[45:48], v[49:50], off
	global_load_b128 v[49:52], v[49:50], off offset:16
	global_load_b128 v[53:56], v[53:54], off
	global_load_b128 v[57:60], v[57:58], off
	v_add_co_u32 v61, vcc_lo, v22, s0
	v_add_co_ci_u32_e32 v62, vcc_lo, s1, v27, vcc_lo
	v_add_co_u32 v65, vcc_lo, v32, s0
	v_add_co_ci_u32_e32 v66, vcc_lo, s1, v34, vcc_lo
	s_clause 0x1
	global_load_b128 v[61:64], v[61:62], off offset:16
	global_load_b128 v[65:68], v[65:66], off offset:16
	v_add_nc_u32_e32 v24, 2, v24
	s_add_u32 s0, s0, 32
	s_addc_u32 s1, s1, 0
	s_cmpk_eq_i32 s0, 0x80
	s_waitcnt vmcnt(5)
	v_fma_f64 v[17:18], v[45:46], v[41:42], v[17:18]
	v_fma_f64 v[19:20], v[47:48], v[41:42], v[19:20]
	s_waitcnt vmcnt(3)
	v_fma_f64 v[11:12], v[53:54], v[41:42], v[11:12]
	v_fma_f64 v[9:10], v[55:56], v[41:42], v[9:10]
	;; [unrolled: 3-line block ×3, first 2 shown]
	v_fma_f64 v[17:18], -v[47:48], v[43:44], v[17:18]
	v_fma_f64 v[19:20], v[45:46], v[43:44], v[19:20]
	v_fma_f64 v[11:12], -v[55:56], v[43:44], v[11:12]
	v_fma_f64 v[9:10], v[53:54], v[43:44], v[9:10]
	;; [unrolled: 2-line block ×3, first 2 shown]
	v_fma_f64 v[17:18], v[49:50], v[37:38], v[17:18]
	v_fma_f64 v[19:20], v[51:52], v[37:38], v[19:20]
	s_waitcnt vmcnt(0)
	v_fma_f64 v[11:12], v[65:66], v[37:38], v[11:12]
	v_fma_f64 v[9:10], v[67:68], v[37:38], v[9:10]
	;; [unrolled: 1-line block ×4, first 2 shown]
	v_fma_f64 v[17:18], -v[51:52], v[39:40], v[17:18]
	v_fma_f64 v[19:20], v[49:50], v[39:40], v[19:20]
	v_fma_f64 v[11:12], -v[67:68], v[39:40], v[11:12]
	v_fma_f64 v[9:10], v[65:66], v[39:40], v[9:10]
	;; [unrolled: 2-line block ×3, first 2 shown]
	s_cbranch_scc0 .LBB144_20
; %bb.21:                               ;   in Loop: Header=BB144_19 Depth=1
	v_add_nc_u32_e32 v21, 32, v21
	v_add_nc_u32_e32 v26, 0x300, v26
	;; [unrolled: 1-line block ×4, first 2 shown]
	s_delay_alu instid0(VALU_DEP_4) | instskip(SKIP_1) | instid1(SALU_CYCLE_1)
	v_cmp_ge_i32_e32 vcc_lo, v21, v30
	s_or_b32 s5, vcc_lo, s5
	s_and_not1_b32 exec_lo, exec_lo, s5
	s_cbranch_execnz .LBB144_19
; %bb.22:
	s_or_b32 exec_lo, exec_lo, s5
.LBB144_23:
	s_delay_alu instid0(SALU_CYCLE_1)
	s_or_b32 exec_lo, exec_lo, s4
.LBB144_24:
	v_mbcnt_lo_u32_b32 v34, -1, 0
	s_delay_alu instid0(VALU_DEP_1) | instskip(NEXT) | instid1(VALU_DEP_1)
	v_xor_b32_e32 v21, 16, v34
	v_cmp_gt_i32_e32 vcc_lo, 32, v21
	v_cndmask_b32_e32 v21, v34, v21, vcc_lo
	s_delay_alu instid0(VALU_DEP_1)
	v_lshlrev_b32_e32 v32, 2, v21
	ds_bpermute_b32 v21, v32, v11
	ds_bpermute_b32 v22, v32, v12
	;; [unrolled: 1-line block ×12, first 2 shown]
	s_waitcnt lgkmcnt(10)
	v_add_f64 v[11:12], v[11:12], v[21:22]
	v_xor_b32_e32 v21, 8, v34
	s_waitcnt lgkmcnt(8)
	v_add_f64 v[9:10], v[9:10], v[23:24]
	s_waitcnt lgkmcnt(6)
	v_add_f64 v[17:18], v[17:18], v[25:26]
	;; [unrolled: 2-line block ×3, first 2 shown]
	v_cmp_gt_i32_e32 vcc_lo, 32, v21
	s_waitcnt lgkmcnt(2)
	v_add_f64 v[13:14], v[13:14], v[29:30]
	s_waitcnt lgkmcnt(0)
	v_add_f64 v[15:16], v[15:16], v[31:32]
	v_cndmask_b32_e32 v21, v34, v21, vcc_lo
	s_delay_alu instid0(VALU_DEP_1)
	v_lshlrev_b32_e32 v32, 2, v21
	ds_bpermute_b32 v21, v32, v11
	ds_bpermute_b32 v22, v32, v12
	;; [unrolled: 1-line block ×12, first 2 shown]
	s_waitcnt lgkmcnt(10)
	v_add_f64 v[11:12], v[11:12], v[21:22]
	v_xor_b32_e32 v21, 4, v34
	s_waitcnt lgkmcnt(8)
	v_add_f64 v[9:10], v[9:10], v[23:24]
	s_waitcnt lgkmcnt(6)
	v_add_f64 v[17:18], v[17:18], v[25:26]
	;; [unrolled: 2-line block ×3, first 2 shown]
	v_cmp_gt_i32_e32 vcc_lo, 32, v21
	s_waitcnt lgkmcnt(2)
	v_add_f64 v[13:14], v[13:14], v[29:30]
	s_waitcnt lgkmcnt(0)
	v_add_f64 v[15:16], v[15:16], v[31:32]
	v_cndmask_b32_e32 v21, v34, v21, vcc_lo
	s_delay_alu instid0(VALU_DEP_1)
	v_lshlrev_b32_e32 v32, 2, v21
	ds_bpermute_b32 v21, v32, v11
	ds_bpermute_b32 v22, v32, v12
	;; [unrolled: 1-line block ×12, first 2 shown]
	s_waitcnt lgkmcnt(10)
	v_add_f64 v[11:12], v[11:12], v[21:22]
	s_waitcnt lgkmcnt(8)
	v_add_f64 v[21:22], v[9:10], v[23:24]
	v_xor_b32_e32 v9, 2, v34
	s_waitcnt lgkmcnt(6)
	v_add_f64 v[17:18], v[17:18], v[25:26]
	s_waitcnt lgkmcnt(4)
	v_add_f64 v[23:24], v[19:20], v[27:28]
	;; [unrolled: 2-line block ×3, first 2 shown]
	v_cmp_gt_i32_e32 vcc_lo, 32, v9
	s_waitcnt lgkmcnt(0)
	v_add_f64 v[15:16], v[15:16], v[31:32]
	v_cndmask_b32_e32 v9, v34, v9, vcc_lo
	s_delay_alu instid0(VALU_DEP_1)
	v_lshlrev_b32_e32 v32, 2, v9
	ds_bpermute_b32 v9, v32, v11
	ds_bpermute_b32 v10, v32, v12
	;; [unrolled: 1-line block ×12, first 2 shown]
	s_waitcnt lgkmcnt(10)
	v_add_f64 v[9:10], v[11:12], v[9:10]
	s_waitcnt lgkmcnt(8)
	v_add_f64 v[19:20], v[21:22], v[19:20]
	v_xor_b32_e32 v21, 1, v34
	s_waitcnt lgkmcnt(6)
	v_add_f64 v[11:12], v[17:18], v[25:26]
	s_waitcnt lgkmcnt(4)
	v_add_f64 v[17:18], v[23:24], v[27:28]
	;; [unrolled: 2-line block ×3, first 2 shown]
	v_cmp_gt_i32_e32 vcc_lo, 32, v21
	s_waitcnt lgkmcnt(0)
	v_add_f64 v[15:16], v[15:16], v[31:32]
	v_cndmask_b32_e32 v21, v34, v21, vcc_lo
	v_cmp_eq_u32_e32 vcc_lo, 31, v33
	s_delay_alu instid0(VALU_DEP_2)
	v_lshlrev_b32_e32 v24, 2, v21
	ds_bpermute_b32 v31, v24, v9
	ds_bpermute_b32 v32, v24, v10
	;; [unrolled: 1-line block ×12, first 2 shown]
	s_and_b32 exec_lo, exec_lo, vcc_lo
	s_cbranch_execz .LBB144_29
; %bb.25:
	v_cmp_eq_f64_e32 vcc_lo, 0, v[4:5]
	v_cmp_eq_f64_e64 s0, 0, v[6:7]
	s_waitcnt lgkmcnt(10)
	v_add_f64 v[9:10], v[9:10], v[31:32]
	s_waitcnt lgkmcnt(8)
	v_add_f64 v[19:20], v[19:20], v[29:30]
	;; [unrolled: 2-line block ×6, first 2 shown]
	s_load_b64 s[2:3], s[2:3], 0x48
	s_and_b32 s0, vcc_lo, s0
	s_delay_alu instid0(SALU_CYCLE_1) | instskip(NEXT) | instid1(SALU_CYCLE_1)
	s_and_saveexec_b32 s1, s0
	s_xor_b32 s0, exec_lo, s1
	s_cbranch_execz .LBB144_27
; %bb.26:
	v_mul_f64 v[4:5], v[19:20], -v[2:3]
	v_mul_f64 v[6:7], v[0:1], v[19:20]
	v_mul_f64 v[19:20], v[17:18], -v[2:3]
	v_mul_f64 v[17:18], v[0:1], v[17:18]
	;; [unrolled: 2-line block ×3, first 2 shown]
	v_fma_f64 v[4:5], v[0:1], v[9:10], v[4:5]
	v_fma_f64 v[6:7], v[2:3], v[9:10], v[6:7]
	;; [unrolled: 1-line block ×6, first 2 shown]
	v_lshl_add_u32 v13, v8, 1, v8
                                        ; implicit-def: $vgpr8
                                        ; implicit-def: $vgpr19_vgpr20
                                        ; implicit-def: $vgpr17_vgpr18
                                        ; implicit-def: $vgpr15_vgpr16
	s_delay_alu instid0(VALU_DEP_1) | instskip(NEXT) | instid1(VALU_DEP_1)
	v_ashrrev_i32_e32 v14, 31, v13
	v_lshlrev_b64 v[13:14], 4, v[13:14]
	s_waitcnt lgkmcnt(0)
	s_delay_alu instid0(VALU_DEP_1) | instskip(NEXT) | instid1(VALU_DEP_2)
	v_add_co_u32 v13, vcc_lo, s2, v13
	v_add_co_ci_u32_e32 v14, vcc_lo, s3, v14, vcc_lo
	s_clause 0x2
	global_store_b128 v[13:14], v[4:7], off
	global_store_b128 v[13:14], v[9:12], off offset:16
	global_store_b128 v[13:14], v[0:3], off offset:32
                                        ; implicit-def: $vgpr0_vgpr1
                                        ; implicit-def: $vgpr2_vgpr3
                                        ; implicit-def: $vgpr4_vgpr5
                                        ; implicit-def: $vgpr6_vgpr7
                                        ; implicit-def: $vgpr9_vgpr10
                                        ; implicit-def: $vgpr11_vgpr12
                                        ; implicit-def: $vgpr13_vgpr14
.LBB144_27:
	s_and_not1_saveexec_b32 s0, s0
	s_cbranch_execz .LBB144_29
; %bb.28:
	v_lshl_add_u32 v21, v8, 1, v8
	v_mul_f64 v[35:36], v[19:20], -v[2:3]
	v_mul_f64 v[19:20], v[0:1], v[19:20]
	v_mul_f64 v[37:38], v[17:18], -v[2:3]
	v_mul_f64 v[17:18], v[0:1], v[17:18]
	v_ashrrev_i32_e32 v22, 31, v21
	v_mul_f64 v[39:40], v[15:16], -v[2:3]
	v_mul_f64 v[15:16], v[0:1], v[15:16]
	s_delay_alu instid0(VALU_DEP_3) | instskip(SKIP_1) | instid1(VALU_DEP_1)
	v_lshlrev_b64 v[21:22], 4, v[21:22]
	s_waitcnt lgkmcnt(0)
	v_add_co_u32 v33, vcc_lo, s2, v21
	s_delay_alu instid0(VALU_DEP_2)
	v_add_co_ci_u32_e32 v34, vcc_lo, s3, v22, vcc_lo
	s_clause 0x2
	global_load_b128 v[21:24], v[33:34], off
	global_load_b128 v[25:28], v[33:34], off offset:16
	global_load_b128 v[29:32], v[33:34], off offset:32
	v_fma_f64 v[35:36], v[0:1], v[9:10], v[35:36]
	v_fma_f64 v[8:9], v[2:3], v[9:10], v[19:20]
	;; [unrolled: 1-line block ×6, first 2 shown]
	s_waitcnt vmcnt(2)
	v_fma_f64 v[12:13], v[4:5], v[21:22], v[35:36]
	v_fma_f64 v[8:9], v[6:7], v[21:22], v[8:9]
	s_waitcnt vmcnt(1)
	v_fma_f64 v[14:15], v[4:5], v[25:26], v[19:20]
	v_fma_f64 v[10:11], v[6:7], v[25:26], v[10:11]
	;; [unrolled: 3-line block ×3, first 2 shown]
	v_fma_f64 v[0:1], -v[6:7], v[23:24], v[12:13]
	v_fma_f64 v[2:3], v[4:5], v[23:24], v[8:9]
	v_fma_f64 v[8:9], -v[6:7], v[27:28], v[14:15]
	v_fma_f64 v[10:11], v[4:5], v[27:28], v[10:11]
	;; [unrolled: 2-line block ×3, first 2 shown]
	s_clause 0x2
	global_store_b128 v[33:34], v[0:3], off
	global_store_b128 v[33:34], v[8:11], off offset:16
	global_store_b128 v[33:34], v[12:15], off offset:32
.LBB144_29:
	s_nop 0
	s_sendmsg sendmsg(MSG_DEALLOC_VGPRS)
	s_endpgm
	.section	.rodata,"a",@progbits
	.p2align	6, 0x0
	.amdhsa_kernel _ZN9rocsparseL19gebsrmvn_3xn_kernelILj128ELj8ELj32E21rocsparse_complex_numIdEEEvi20rocsparse_direction_NS_24const_host_device_scalarIT2_EEPKiS8_PKS5_SA_S6_PS5_21rocsparse_index_base_b
		.amdhsa_group_segment_fixed_size 2048
		.amdhsa_private_segment_fixed_size 0
		.amdhsa_kernarg_size 88
		.amdhsa_user_sgpr_count 15
		.amdhsa_user_sgpr_dispatch_ptr 1
		.amdhsa_user_sgpr_queue_ptr 0
		.amdhsa_user_sgpr_kernarg_segment_ptr 1
		.amdhsa_user_sgpr_dispatch_id 0
		.amdhsa_user_sgpr_private_segment_size 0
		.amdhsa_wavefront_size32 1
		.amdhsa_uses_dynamic_stack 0
		.amdhsa_enable_private_segment 0
		.amdhsa_system_sgpr_workgroup_id_x 1
		.amdhsa_system_sgpr_workgroup_id_y 0
		.amdhsa_system_sgpr_workgroup_id_z 0
		.amdhsa_system_sgpr_workgroup_info 0
		.amdhsa_system_vgpr_workitem_id 2
		.amdhsa_next_free_vgpr 69
		.amdhsa_next_free_sgpr 18
		.amdhsa_reserve_vcc 1
		.amdhsa_float_round_mode_32 0
		.amdhsa_float_round_mode_16_64 0
		.amdhsa_float_denorm_mode_32 3
		.amdhsa_float_denorm_mode_16_64 3
		.amdhsa_dx10_clamp 1
		.amdhsa_ieee_mode 1
		.amdhsa_fp16_overflow 0
		.amdhsa_workgroup_processor_mode 1
		.amdhsa_memory_ordered 1
		.amdhsa_forward_progress 0
		.amdhsa_shared_vgpr_count 0
		.amdhsa_exception_fp_ieee_invalid_op 0
		.amdhsa_exception_fp_denorm_src 0
		.amdhsa_exception_fp_ieee_div_zero 0
		.amdhsa_exception_fp_ieee_overflow 0
		.amdhsa_exception_fp_ieee_underflow 0
		.amdhsa_exception_fp_ieee_inexact 0
		.amdhsa_exception_int_div_zero 0
	.end_amdhsa_kernel
	.section	.text._ZN9rocsparseL19gebsrmvn_3xn_kernelILj128ELj8ELj32E21rocsparse_complex_numIdEEEvi20rocsparse_direction_NS_24const_host_device_scalarIT2_EEPKiS8_PKS5_SA_S6_PS5_21rocsparse_index_base_b,"axG",@progbits,_ZN9rocsparseL19gebsrmvn_3xn_kernelILj128ELj8ELj32E21rocsparse_complex_numIdEEEvi20rocsparse_direction_NS_24const_host_device_scalarIT2_EEPKiS8_PKS5_SA_S6_PS5_21rocsparse_index_base_b,comdat
.Lfunc_end144:
	.size	_ZN9rocsparseL19gebsrmvn_3xn_kernelILj128ELj8ELj32E21rocsparse_complex_numIdEEEvi20rocsparse_direction_NS_24const_host_device_scalarIT2_EEPKiS8_PKS5_SA_S6_PS5_21rocsparse_index_base_b, .Lfunc_end144-_ZN9rocsparseL19gebsrmvn_3xn_kernelILj128ELj8ELj32E21rocsparse_complex_numIdEEEvi20rocsparse_direction_NS_24const_host_device_scalarIT2_EEPKiS8_PKS5_SA_S6_PS5_21rocsparse_index_base_b
                                        ; -- End function
	.section	.AMDGPU.csdata,"",@progbits
; Kernel info:
; codeLenInByte = 3436
; NumSgprs: 20
; NumVgprs: 69
; ScratchSize: 0
; MemoryBound: 0
; FloatMode: 240
; IeeeMode: 1
; LDSByteSize: 2048 bytes/workgroup (compile time only)
; SGPRBlocks: 2
; VGPRBlocks: 8
; NumSGPRsForWavesPerEU: 20
; NumVGPRsForWavesPerEU: 69
; Occupancy: 16
; WaveLimiterHint : 1
; COMPUTE_PGM_RSRC2:SCRATCH_EN: 0
; COMPUTE_PGM_RSRC2:USER_SGPR: 15
; COMPUTE_PGM_RSRC2:TRAP_HANDLER: 0
; COMPUTE_PGM_RSRC2:TGID_X_EN: 1
; COMPUTE_PGM_RSRC2:TGID_Y_EN: 0
; COMPUTE_PGM_RSRC2:TGID_Z_EN: 0
; COMPUTE_PGM_RSRC2:TIDIG_COMP_CNT: 2
	.section	.text._ZN9rocsparseL19gebsrmvn_3xn_kernelILj128ELj8ELj64E21rocsparse_complex_numIdEEEvi20rocsparse_direction_NS_24const_host_device_scalarIT2_EEPKiS8_PKS5_SA_S6_PS5_21rocsparse_index_base_b,"axG",@progbits,_ZN9rocsparseL19gebsrmvn_3xn_kernelILj128ELj8ELj64E21rocsparse_complex_numIdEEEvi20rocsparse_direction_NS_24const_host_device_scalarIT2_EEPKiS8_PKS5_SA_S6_PS5_21rocsparse_index_base_b,comdat
	.globl	_ZN9rocsparseL19gebsrmvn_3xn_kernelILj128ELj8ELj64E21rocsparse_complex_numIdEEEvi20rocsparse_direction_NS_24const_host_device_scalarIT2_EEPKiS8_PKS5_SA_S6_PS5_21rocsparse_index_base_b ; -- Begin function _ZN9rocsparseL19gebsrmvn_3xn_kernelILj128ELj8ELj64E21rocsparse_complex_numIdEEEvi20rocsparse_direction_NS_24const_host_device_scalarIT2_EEPKiS8_PKS5_SA_S6_PS5_21rocsparse_index_base_b
	.p2align	8
	.type	_ZN9rocsparseL19gebsrmvn_3xn_kernelILj128ELj8ELj64E21rocsparse_complex_numIdEEEvi20rocsparse_direction_NS_24const_host_device_scalarIT2_EEPKiS8_PKS5_SA_S6_PS5_21rocsparse_index_base_b,@function
_ZN9rocsparseL19gebsrmvn_3xn_kernelILj128ELj8ELj64E21rocsparse_complex_numIdEEEvi20rocsparse_direction_NS_24const_host_device_scalarIT2_EEPKiS8_PKS5_SA_S6_PS5_21rocsparse_index_base_b: ; @_ZN9rocsparseL19gebsrmvn_3xn_kernelILj128ELj8ELj64E21rocsparse_complex_numIdEEEvi20rocsparse_direction_NS_24const_host_device_scalarIT2_EEPKiS8_PKS5_SA_S6_PS5_21rocsparse_index_base_b
; %bb.0:
	s_load_b64 s[12:13], s[2:3], 0x50
	s_load_b64 s[16:17], s[0:1], 0x4
	s_load_b128 s[8:11], s[2:3], 0x8
	v_bfe_u32 v1, v0, 10, 10
	s_mov_b64 s[0:1], src_shared_base
	s_load_b128 s[4:7], s[2:3], 0x38
	v_and_b32_e32 v10, 0x3ff, v0
	v_bfe_u32 v0, v0, 20, 10
	s_waitcnt lgkmcnt(0)
	s_bitcmp1_b32 s13, 0
	v_mul_u32_u24_e32 v1, s17, v1
	s_cselect_b32 s0, -1, 0
	s_delay_alu instid0(SALU_CYCLE_1)
	s_and_b32 vcc_lo, s0, exec_lo
	s_cselect_b32 s13, s1, s9
	s_lshr_b32 s14, s16, 16
	v_dual_mov_b32 v2, s4 :: v_dual_mov_b32 v3, s5
	s_mul_i32 s14, s14, s17
	v_mov_b32_e32 v6, s13
	v_mad_u32_u24 v1, s14, v10, v1
	s_delay_alu instid0(VALU_DEP_1) | instskip(SKIP_1) | instid1(VALU_DEP_2)
	v_add_lshl_u32 v4, v1, v0, 3
	v_dual_mov_b32 v0, s8 :: v_dual_mov_b32 v1, s9
	v_add_nc_u32_e32 v5, 0x400, v4
	ds_store_2addr_stride64_b64 v4, v[2:3], v[0:1] offset1:2
	v_dual_mov_b32 v2, s10 :: v_dual_mov_b32 v3, s11
	v_cndmask_b32_e64 v5, s8, v5, s0
	s_xor_b32 s10, s0, -1
	flat_load_b64 v[0:1], v[5:6]
	s_cbranch_vccnz .LBB145_2
; %bb.1:
	v_dual_mov_b32 v2, s8 :: v_dual_mov_b32 v3, s9
	flat_load_b64 v[2:3], v[2:3] offset:8
.LBB145_2:
	s_and_b32 s8, s0, exec_lo
	s_cselect_b32 s1, s1, s5
	v_cndmask_b32_e64 v4, s4, v4, s0
	v_dual_mov_b32 v5, s1 :: v_dual_mov_b32 v6, s6
	v_mov_b32_e32 v7, s7
	s_and_not1_b32 vcc_lo, exec_lo, s10
	flat_load_b64 v[4:5], v[4:5]
	s_cbranch_vccnz .LBB145_4
; %bb.3:
	v_dual_mov_b32 v7, s5 :: v_dual_mov_b32 v6, s4
	flat_load_b64 v[6:7], v[6:7] offset:8
.LBB145_4:
	s_waitcnt vmcnt(1) lgkmcnt(1)
	v_cmp_eq_f64_e32 vcc_lo, 0, v[0:1]
	v_cmp_eq_f64_e64 s0, 0, v[2:3]
	s_delay_alu instid0(VALU_DEP_1)
	s_and_b32 s4, vcc_lo, s0
	s_mov_b32 s0, -1
	s_and_saveexec_b32 s1, s4
	s_cbranch_execz .LBB145_6
; %bb.5:
	s_waitcnt vmcnt(0) lgkmcnt(0)
	v_cmp_neq_f64_e32 vcc_lo, 1.0, v[4:5]
	v_cmp_neq_f64_e64 s0, 0, v[6:7]
	s_delay_alu instid0(VALU_DEP_1) | instskip(NEXT) | instid1(SALU_CYCLE_1)
	s_or_b32 s0, vcc_lo, s0
	s_or_not1_b32 s0, s0, exec_lo
.LBB145_6:
	s_or_b32 exec_lo, exec_lo, s1
	s_and_saveexec_b32 s1, s0
	s_cbranch_execz .LBB145_29
; %bb.7:
	s_load_b64 s[0:1], s[2:3], 0x0
	v_lshrrev_b32_e32 v8, 6, v10
	s_delay_alu instid0(VALU_DEP_1) | instskip(SKIP_1) | instid1(VALU_DEP_1)
	v_lshl_or_b32 v8, s15, 1, v8
	s_waitcnt lgkmcnt(0)
	v_cmp_gt_i32_e32 vcc_lo, s0, v8
	s_and_b32 exec_lo, exec_lo, vcc_lo
	s_cbranch_execz .LBB145_29
; %bb.8:
	s_load_b256 s[4:11], s[2:3], 0x18
	v_ashrrev_i32_e32 v9, 31, v8
	v_and_b32_e32 v33, 63, v10
	s_cmp_lg_u32 s1, 0
	s_delay_alu instid0(VALU_DEP_2) | instskip(SKIP_1) | instid1(VALU_DEP_1)
	v_lshlrev_b64 v[11:12], 2, v[8:9]
	s_waitcnt lgkmcnt(0)
	v_add_co_u32 v11, vcc_lo, s4, v11
	s_delay_alu instid0(VALU_DEP_2) | instskip(SKIP_4) | instid1(VALU_DEP_2)
	v_add_co_ci_u32_e32 v12, vcc_lo, s5, v12, vcc_lo
	global_load_b64 v[22:23], v[11:12], off
	s_waitcnt vmcnt(0)
	v_subrev_nc_u32_e32 v9, s12, v22
	v_subrev_nc_u32_e32 v30, s12, v23
	v_add_nc_u32_e32 v21, v9, v33
	s_delay_alu instid0(VALU_DEP_1)
	v_cmp_lt_i32_e64 s0, v21, v30
	s_cbranch_scc0 .LBB145_16
; %bb.9:
	v_mov_b32_e32 v9, 0
	v_mov_b32_e32 v10, 0
	s_delay_alu instid0(VALU_DEP_1)
	v_dual_mov_b32 v12, v10 :: v_dual_mov_b32 v11, v9
	v_dual_mov_b32 v14, v10 :: v_dual_mov_b32 v13, v9
	;; [unrolled: 1-line block ×5, first 2 shown]
	s_and_saveexec_b32 s1, s0
	s_cbranch_execz .LBB145_15
; %bb.10:
	v_mul_lo_u32 v11, v22, 24
	v_dual_mov_b32 v9, 0 :: v_dual_mov_b32 v24, v21
	v_dual_mov_b32 v10, 0 :: v_dual_mov_b32 v23, 0
	s_mul_i32 s4, s12, 24
	s_mov_b32 s5, 0
	s_delay_alu instid0(VALU_DEP_1) | instskip(NEXT) | instid1(VALU_DEP_4)
	v_dual_mov_b32 v14, v10 :: v_dual_mov_b32 v13, v9
	v_mad_u32_u24 v19, v33, 24, v11
	v_dual_mov_b32 v12, v10 :: v_dual_mov_b32 v11, v9
	v_dual_mov_b32 v16, v10 :: v_dual_mov_b32 v15, v9
	;; [unrolled: 1-line block ×3, first 2 shown]
	s_delay_alu instid0(VALU_DEP_4)
	v_subrev_nc_u32_e32 v27, s4, v19
	v_dual_mov_b32 v20, v10 :: v_dual_mov_b32 v19, v9
	s_add_u32 s4, s10, 16
	s_addc_u32 s13, s11, 0
.LBB145_11:                             ; =>This Loop Header: Depth=1
                                        ;     Child Loop BB145_12 Depth 2
	v_ashrrev_i32_e32 v25, 31, v24
	s_mov_b32 s14, 0
	s_delay_alu instid0(VALU_DEP_1) | instskip(NEXT) | instid1(VALU_DEP_1)
	v_lshlrev_b64 v[25:26], 2, v[24:25]
	v_add_co_u32 v25, vcc_lo, s6, v25
	s_delay_alu instid0(VALU_DEP_2) | instskip(SKIP_3) | instid1(VALU_DEP_1)
	v_add_co_ci_u32_e32 v26, vcc_lo, s7, v26, vcc_lo
	global_load_b32 v22, v[25:26], off
	s_waitcnt vmcnt(0)
	v_subrev_nc_u32_e32 v22, s12, v22
	v_lshlrev_b32_e32 v22, 3, v22
	s_delay_alu instid0(VALU_DEP_1) | instskip(NEXT) | instid1(VALU_DEP_1)
	v_lshlrev_b64 v[25:26], 4, v[22:23]
	v_add_co_u32 v25, vcc_lo, s4, v25
	s_delay_alu instid0(VALU_DEP_2)
	v_add_co_ci_u32_e32 v26, vcc_lo, s13, v26, vcc_lo
.LBB145_12:                             ;   Parent Loop BB145_11 Depth=1
                                        ; =>  This Inner Loop Header: Depth=2
	v_dual_mov_b32 v29, v23 :: v_dual_add_nc_u32 v22, s14, v27
	s_clause 0x1
	global_load_b128 v[34:37], v[25:26], off
	global_load_b128 v[38:41], v[25:26], off offset:-16
	s_add_i32 s14, s14, 6
	s_delay_alu instid0(SALU_CYCLE_1) | instskip(SKIP_3) | instid1(VALU_DEP_3)
	s_cmp_eq_u32 s14, 24
	v_add_nc_u32_e32 v28, 2, v22
	v_lshlrev_b64 v[31:32], 4, v[22:23]
	v_add_nc_u32_e32 v22, 4, v22
	v_lshlrev_b64 v[28:29], 4, v[28:29]
	s_delay_alu instid0(VALU_DEP_3) | instskip(NEXT) | instid1(VALU_DEP_4)
	v_add_co_u32 v31, vcc_lo, s8, v31
	v_add_co_ci_u32_e32 v32, vcc_lo, s9, v32, vcc_lo
	s_delay_alu instid0(VALU_DEP_3) | instskip(NEXT) | instid1(VALU_DEP_4)
	v_add_co_u32 v28, vcc_lo, s8, v28
	v_add_co_ci_u32_e32 v29, vcc_lo, s9, v29, vcc_lo
	s_clause 0x3
	global_load_b128 v[42:45], v[31:32], off
	global_load_b128 v[46:49], v[31:32], off offset:16
	global_load_b128 v[50:53], v[28:29], off
	global_load_b128 v[54:57], v[28:29], off offset:16
	v_lshlrev_b64 v[28:29], 4, v[22:23]
	s_delay_alu instid0(VALU_DEP_1) | instskip(NEXT) | instid1(VALU_DEP_2)
	v_add_co_u32 v28, vcc_lo, s8, v28
	v_add_co_ci_u32_e32 v29, vcc_lo, s9, v29, vcc_lo
	v_add_co_u32 v25, vcc_lo, v25, 32
	s_clause 0x1
	global_load_b128 v[58:61], v[28:29], off
	global_load_b128 v[62:65], v[28:29], off offset:16
	v_add_co_ci_u32_e32 v26, vcc_lo, 0, v26, vcc_lo
	s_waitcnt vmcnt(5)
	v_fma_f64 v[11:12], v[42:43], v[38:39], v[11:12]
	v_fma_f64 v[9:10], v[44:45], v[38:39], v[9:10]
	s_waitcnt vmcnt(4)
	v_fma_f64 v[17:18], v[46:47], v[38:39], v[17:18]
	v_fma_f64 v[19:20], v[48:49], v[38:39], v[19:20]
	;; [unrolled: 3-line block ×3, first 2 shown]
	v_fma_f64 v[11:12], -v[44:45], v[40:41], v[11:12]
	v_fma_f64 v[9:10], v[42:43], v[40:41], v[9:10]
	v_fma_f64 v[17:18], -v[48:49], v[40:41], v[17:18]
	v_fma_f64 v[19:20], v[46:47], v[40:41], v[19:20]
	;; [unrolled: 2-line block ×3, first 2 shown]
	s_waitcnt vmcnt(2)
	v_fma_f64 v[11:12], v[54:55], v[34:35], v[11:12]
	v_fma_f64 v[9:10], v[56:57], v[34:35], v[9:10]
	s_waitcnt vmcnt(1)
	v_fma_f64 v[17:18], v[58:59], v[34:35], v[17:18]
	v_fma_f64 v[19:20], v[60:61], v[34:35], v[19:20]
	;; [unrolled: 3-line block ×3, first 2 shown]
	v_fma_f64 v[11:12], -v[56:57], v[36:37], v[11:12]
	v_fma_f64 v[9:10], v[54:55], v[36:37], v[9:10]
	v_fma_f64 v[17:18], -v[60:61], v[36:37], v[17:18]
	v_fma_f64 v[19:20], v[58:59], v[36:37], v[19:20]
	;; [unrolled: 2-line block ×3, first 2 shown]
	s_cbranch_scc0 .LBB145_12
; %bb.13:                               ;   in Loop: Header=BB145_11 Depth=1
	v_add_nc_u32_e32 v24, 64, v24
	v_add_nc_u32_e32 v27, 0x600, v27
	s_delay_alu instid0(VALU_DEP_2) | instskip(SKIP_1) | instid1(SALU_CYCLE_1)
	v_cmp_ge_i32_e32 vcc_lo, v24, v30
	s_or_b32 s5, vcc_lo, s5
	s_and_not1_b32 exec_lo, exec_lo, s5
	s_cbranch_execnz .LBB145_11
; %bb.14:
	s_or_b32 exec_lo, exec_lo, s5
.LBB145_15:
	s_delay_alu instid0(SALU_CYCLE_1)
	s_or_b32 exec_lo, exec_lo, s1
	s_cbranch_execz .LBB145_17
	s_branch .LBB145_24
.LBB145_16:
                                        ; implicit-def: $vgpr9_vgpr10
                                        ; implicit-def: $vgpr11_vgpr12
                                        ; implicit-def: $vgpr13_vgpr14
                                        ; implicit-def: $vgpr15_vgpr16
                                        ; implicit-def: $vgpr17_vgpr18
                                        ; implicit-def: $vgpr19_vgpr20
.LBB145_17:
	v_mov_b32_e32 v9, 0
	v_mov_b32_e32 v10, 0
	s_delay_alu instid0(VALU_DEP_1)
	v_dual_mov_b32 v12, v10 :: v_dual_mov_b32 v11, v9
	v_dual_mov_b32 v14, v10 :: v_dual_mov_b32 v13, v9
	;; [unrolled: 1-line block ×5, first 2 shown]
	s_and_saveexec_b32 s4, s0
	s_cbranch_execz .LBB145_23
; %bb.18:
	v_mul_lo_u32 v23, v21, 24
	v_mov_b32_e32 v9, 0
	v_dual_mov_b32 v10, 0 :: v_dual_mov_b32 v25, 0
	s_mov_b32 s5, 0
	s_delay_alu instid0(VALU_DEP_1) | instskip(NEXT) | instid1(VALU_DEP_3)
	v_mov_b32_e32 v20, v10
	v_dual_mov_b32 v12, v10 :: v_dual_mov_b32 v11, v9
	v_dual_mov_b32 v14, v10 :: v_dual_mov_b32 v13, v9
	;; [unrolled: 1-line block ×4, first 2 shown]
	v_add_nc_u32_e32 v26, 16, v23
	v_dual_mov_b32 v19, v9 :: v_dual_add_nc_u32 v28, 8, v23
.LBB145_19:                             ; =>This Loop Header: Depth=1
                                        ;     Child Loop BB145_20 Depth 2
	v_ashrrev_i32_e32 v22, 31, v21
	v_mov_b32_e32 v24, v25
	v_mov_b32_e32 v29, v25
	s_mov_b64 s[0:1], 0
	s_delay_alu instid0(VALU_DEP_3) | instskip(NEXT) | instid1(VALU_DEP_3)
	v_lshlrev_b64 v[31:32], 2, v[21:22]
	v_lshlrev_b64 v[36:37], 4, v[23:24]
	s_delay_alu instid0(VALU_DEP_2) | instskip(NEXT) | instid1(VALU_DEP_3)
	v_add_co_u32 v31, vcc_lo, s6, v31
	v_add_co_ci_u32_e32 v32, vcc_lo, s7, v32, vcc_lo
	global_load_b32 v22, v[31:32], off
	s_waitcnt vmcnt(0)
	v_subrev_nc_u32_e32 v24, s12, v22
	s_delay_alu instid0(VALU_DEP_1) | instskip(NEXT) | instid1(VALU_DEP_1)
	v_dual_mov_b32 v27, v25 :: v_dual_lshlrev_b32 v24, 3, v24
	v_lshlrev_b64 v[31:32], 4, v[26:27]
	s_delay_alu instid0(VALU_DEP_2) | instskip(SKIP_2) | instid1(VALU_DEP_4)
	v_lshlrev_b64 v[38:39], 4, v[24:25]
	v_mov_b32_e32 v24, v23
	v_lshlrev_b64 v[34:35], 4, v[28:29]
	v_add_co_u32 v22, vcc_lo, s8, v31
	v_add_co_ci_u32_e32 v27, vcc_lo, s9, v32, vcc_lo
	s_delay_alu instid0(VALU_DEP_3) | instskip(NEXT) | instid1(VALU_DEP_4)
	v_add_co_u32 v29, vcc_lo, s8, v34
	v_add_co_ci_u32_e32 v31, vcc_lo, s9, v35, vcc_lo
	v_add_co_u32 v32, vcc_lo, s8, v36
	v_add_co_ci_u32_e32 v34, vcc_lo, s9, v37, vcc_lo
	v_add_co_u32 v35, vcc_lo, s10, v38
	v_add_co_ci_u32_e32 v36, vcc_lo, s11, v39, vcc_lo
.LBB145_20:                             ;   Parent Loop BB145_19 Depth=1
                                        ; =>  This Inner Loop Header: Depth=2
	v_dual_mov_b32 v52, v25 :: v_dual_add_nc_u32 v51, 16, v24
	s_delay_alu instid0(VALU_DEP_3) | instskip(SKIP_1) | instid1(VALU_DEP_4)
	v_add_co_u32 v41, vcc_lo, v35, s0
	v_lshlrev_b64 v[53:54], 4, v[24:25]
	v_add_co_ci_u32_e32 v42, vcc_lo, s1, v36, vcc_lo
	v_add_co_u32 v49, vcc_lo, v29, s0
	v_lshlrev_b64 v[51:52], 4, v[51:52]
	v_add_co_ci_u32_e32 v50, vcc_lo, s1, v31, vcc_lo
	v_add_co_u32 v53, vcc_lo, s8, v53
	v_add_co_ci_u32_e32 v54, vcc_lo, s9, v54, vcc_lo
	s_delay_alu instid0(VALU_DEP_4)
	v_add_co_u32 v57, vcc_lo, s8, v51
	v_add_co_ci_u32_e32 v58, vcc_lo, s9, v52, vcc_lo
	s_clause 0x1
	global_load_b128 v[37:40], v[41:42], off offset:16
	global_load_b128 v[41:44], v[41:42], off
	s_clause 0x3
	global_load_b128 v[45:48], v[49:50], off
	global_load_b128 v[49:52], v[49:50], off offset:16
	global_load_b128 v[53:56], v[53:54], off
	global_load_b128 v[57:60], v[57:58], off
	v_add_co_u32 v61, vcc_lo, v22, s0
	v_add_co_ci_u32_e32 v62, vcc_lo, s1, v27, vcc_lo
	v_add_co_u32 v65, vcc_lo, v32, s0
	v_add_co_ci_u32_e32 v66, vcc_lo, s1, v34, vcc_lo
	s_clause 0x1
	global_load_b128 v[61:64], v[61:62], off offset:16
	global_load_b128 v[65:68], v[65:66], off offset:16
	v_add_nc_u32_e32 v24, 2, v24
	s_add_u32 s0, s0, 32
	s_addc_u32 s1, s1, 0
	s_cmpk_eq_i32 s0, 0x80
	s_waitcnt vmcnt(5)
	v_fma_f64 v[17:18], v[45:46], v[41:42], v[17:18]
	v_fma_f64 v[19:20], v[47:48], v[41:42], v[19:20]
	s_waitcnt vmcnt(3)
	v_fma_f64 v[11:12], v[53:54], v[41:42], v[11:12]
	v_fma_f64 v[9:10], v[55:56], v[41:42], v[9:10]
	;; [unrolled: 3-line block ×3, first 2 shown]
	v_fma_f64 v[17:18], -v[47:48], v[43:44], v[17:18]
	v_fma_f64 v[19:20], v[45:46], v[43:44], v[19:20]
	v_fma_f64 v[11:12], -v[55:56], v[43:44], v[11:12]
	v_fma_f64 v[9:10], v[53:54], v[43:44], v[9:10]
	;; [unrolled: 2-line block ×3, first 2 shown]
	v_fma_f64 v[17:18], v[49:50], v[37:38], v[17:18]
	v_fma_f64 v[19:20], v[51:52], v[37:38], v[19:20]
	s_waitcnt vmcnt(0)
	v_fma_f64 v[11:12], v[65:66], v[37:38], v[11:12]
	v_fma_f64 v[9:10], v[67:68], v[37:38], v[9:10]
	;; [unrolled: 1-line block ×4, first 2 shown]
	v_fma_f64 v[17:18], -v[51:52], v[39:40], v[17:18]
	v_fma_f64 v[19:20], v[49:50], v[39:40], v[19:20]
	v_fma_f64 v[11:12], -v[67:68], v[39:40], v[11:12]
	v_fma_f64 v[9:10], v[65:66], v[39:40], v[9:10]
	v_fma_f64 v[13:14], -v[63:64], v[39:40], v[13:14]
	v_fma_f64 v[15:16], v[61:62], v[39:40], v[15:16]
	s_cbranch_scc0 .LBB145_20
; %bb.21:                               ;   in Loop: Header=BB145_19 Depth=1
	v_add_nc_u32_e32 v21, 64, v21
	v_add_nc_u32_e32 v26, 0x600, v26
	;; [unrolled: 1-line block ×4, first 2 shown]
	s_delay_alu instid0(VALU_DEP_4) | instskip(SKIP_1) | instid1(SALU_CYCLE_1)
	v_cmp_ge_i32_e32 vcc_lo, v21, v30
	s_or_b32 s5, vcc_lo, s5
	s_and_not1_b32 exec_lo, exec_lo, s5
	s_cbranch_execnz .LBB145_19
; %bb.22:
	s_or_b32 exec_lo, exec_lo, s5
.LBB145_23:
	s_delay_alu instid0(SALU_CYCLE_1)
	s_or_b32 exec_lo, exec_lo, s4
.LBB145_24:
	v_mbcnt_lo_u32_b32 v34, -1, 0
	s_delay_alu instid0(VALU_DEP_1) | instskip(NEXT) | instid1(VALU_DEP_1)
	v_or_b32_e32 v21, 32, v34
	v_cmp_gt_i32_e32 vcc_lo, 32, v21
	v_cndmask_b32_e32 v21, v34, v21, vcc_lo
	s_delay_alu instid0(VALU_DEP_1)
	v_lshlrev_b32_e32 v32, 2, v21
	ds_bpermute_b32 v21, v32, v11
	ds_bpermute_b32 v22, v32, v12
	ds_bpermute_b32 v23, v32, v9
	ds_bpermute_b32 v24, v32, v10
	ds_bpermute_b32 v25, v32, v17
	ds_bpermute_b32 v26, v32, v18
	ds_bpermute_b32 v27, v32, v19
	ds_bpermute_b32 v28, v32, v20
	ds_bpermute_b32 v29, v32, v13
	ds_bpermute_b32 v30, v32, v14
	ds_bpermute_b32 v31, v32, v15
	ds_bpermute_b32 v32, v32, v16
	s_waitcnt lgkmcnt(10)
	v_add_f64 v[11:12], v[11:12], v[21:22]
	v_xor_b32_e32 v21, 16, v34
	s_waitcnt lgkmcnt(8)
	v_add_f64 v[9:10], v[9:10], v[23:24]
	s_waitcnt lgkmcnt(6)
	v_add_f64 v[17:18], v[17:18], v[25:26]
	s_waitcnt lgkmcnt(4)
	v_add_f64 v[19:20], v[19:20], v[27:28]
	v_cmp_gt_i32_e32 vcc_lo, 32, v21
	s_waitcnt lgkmcnt(2)
	v_add_f64 v[13:14], v[13:14], v[29:30]
	s_waitcnt lgkmcnt(0)
	v_add_f64 v[15:16], v[15:16], v[31:32]
	v_cndmask_b32_e32 v21, v34, v21, vcc_lo
	s_delay_alu instid0(VALU_DEP_1)
	v_lshlrev_b32_e32 v32, 2, v21
	ds_bpermute_b32 v21, v32, v11
	ds_bpermute_b32 v22, v32, v12
	ds_bpermute_b32 v23, v32, v9
	ds_bpermute_b32 v24, v32, v10
	ds_bpermute_b32 v25, v32, v17
	ds_bpermute_b32 v26, v32, v18
	ds_bpermute_b32 v27, v32, v19
	ds_bpermute_b32 v28, v32, v20
	ds_bpermute_b32 v29, v32, v13
	ds_bpermute_b32 v30, v32, v14
	ds_bpermute_b32 v31, v32, v15
	ds_bpermute_b32 v32, v32, v16
	s_waitcnt lgkmcnt(10)
	v_add_f64 v[11:12], v[11:12], v[21:22]
	v_xor_b32_e32 v21, 8, v34
	s_waitcnt lgkmcnt(8)
	v_add_f64 v[9:10], v[9:10], v[23:24]
	s_waitcnt lgkmcnt(6)
	v_add_f64 v[17:18], v[17:18], v[25:26]
	s_waitcnt lgkmcnt(4)
	v_add_f64 v[19:20], v[19:20], v[27:28]
	v_cmp_gt_i32_e32 vcc_lo, 32, v21
	s_waitcnt lgkmcnt(2)
	v_add_f64 v[13:14], v[13:14], v[29:30]
	s_waitcnt lgkmcnt(0)
	v_add_f64 v[15:16], v[15:16], v[31:32]
	;; [unrolled: 29-line block ×3, first 2 shown]
	v_cndmask_b32_e32 v21, v34, v21, vcc_lo
	s_delay_alu instid0(VALU_DEP_1)
	v_lshlrev_b32_e32 v32, 2, v21
	ds_bpermute_b32 v21, v32, v11
	ds_bpermute_b32 v22, v32, v12
	;; [unrolled: 1-line block ×12, first 2 shown]
	s_waitcnt lgkmcnt(10)
	v_add_f64 v[11:12], v[11:12], v[21:22]
	s_waitcnt lgkmcnt(8)
	v_add_f64 v[21:22], v[9:10], v[23:24]
	v_xor_b32_e32 v9, 2, v34
	s_waitcnt lgkmcnt(6)
	v_add_f64 v[17:18], v[17:18], v[25:26]
	s_waitcnt lgkmcnt(4)
	v_add_f64 v[23:24], v[19:20], v[27:28]
	;; [unrolled: 2-line block ×3, first 2 shown]
	v_cmp_gt_i32_e32 vcc_lo, 32, v9
	s_waitcnt lgkmcnt(0)
	v_add_f64 v[15:16], v[15:16], v[31:32]
	v_cndmask_b32_e32 v9, v34, v9, vcc_lo
	s_delay_alu instid0(VALU_DEP_1)
	v_lshlrev_b32_e32 v32, 2, v9
	ds_bpermute_b32 v9, v32, v11
	ds_bpermute_b32 v10, v32, v12
	;; [unrolled: 1-line block ×12, first 2 shown]
	s_waitcnt lgkmcnt(10)
	v_add_f64 v[9:10], v[11:12], v[9:10]
	s_waitcnt lgkmcnt(8)
	v_add_f64 v[19:20], v[21:22], v[19:20]
	v_xor_b32_e32 v21, 1, v34
	s_waitcnt lgkmcnt(6)
	v_add_f64 v[11:12], v[17:18], v[25:26]
	s_waitcnt lgkmcnt(4)
	v_add_f64 v[17:18], v[23:24], v[27:28]
	;; [unrolled: 2-line block ×3, first 2 shown]
	v_cmp_gt_i32_e32 vcc_lo, 32, v21
	s_waitcnt lgkmcnt(0)
	v_add_f64 v[15:16], v[15:16], v[31:32]
	v_cndmask_b32_e32 v21, v34, v21, vcc_lo
	v_cmp_eq_u32_e32 vcc_lo, 63, v33
	s_delay_alu instid0(VALU_DEP_2)
	v_lshlrev_b32_e32 v24, 2, v21
	ds_bpermute_b32 v31, v24, v9
	ds_bpermute_b32 v32, v24, v10
	;; [unrolled: 1-line block ×12, first 2 shown]
	s_and_b32 exec_lo, exec_lo, vcc_lo
	s_cbranch_execz .LBB145_29
; %bb.25:
	v_cmp_eq_f64_e32 vcc_lo, 0, v[4:5]
	v_cmp_eq_f64_e64 s0, 0, v[6:7]
	s_waitcnt lgkmcnt(10)
	v_add_f64 v[9:10], v[9:10], v[31:32]
	s_waitcnt lgkmcnt(8)
	v_add_f64 v[19:20], v[19:20], v[29:30]
	;; [unrolled: 2-line block ×6, first 2 shown]
	s_load_b64 s[2:3], s[2:3], 0x48
	s_and_b32 s0, vcc_lo, s0
	s_delay_alu instid0(SALU_CYCLE_1) | instskip(NEXT) | instid1(SALU_CYCLE_1)
	s_and_saveexec_b32 s1, s0
	s_xor_b32 s0, exec_lo, s1
	s_cbranch_execz .LBB145_27
; %bb.26:
	v_mul_f64 v[4:5], v[19:20], -v[2:3]
	v_mul_f64 v[6:7], v[0:1], v[19:20]
	v_mul_f64 v[19:20], v[17:18], -v[2:3]
	v_mul_f64 v[17:18], v[0:1], v[17:18]
	;; [unrolled: 2-line block ×3, first 2 shown]
	v_fma_f64 v[4:5], v[0:1], v[9:10], v[4:5]
	v_fma_f64 v[6:7], v[2:3], v[9:10], v[6:7]
	;; [unrolled: 1-line block ×6, first 2 shown]
	v_lshl_add_u32 v13, v8, 1, v8
                                        ; implicit-def: $vgpr8
                                        ; implicit-def: $vgpr19_vgpr20
                                        ; implicit-def: $vgpr17_vgpr18
                                        ; implicit-def: $vgpr15_vgpr16
	s_delay_alu instid0(VALU_DEP_1) | instskip(NEXT) | instid1(VALU_DEP_1)
	v_ashrrev_i32_e32 v14, 31, v13
	v_lshlrev_b64 v[13:14], 4, v[13:14]
	s_waitcnt lgkmcnt(0)
	s_delay_alu instid0(VALU_DEP_1) | instskip(NEXT) | instid1(VALU_DEP_2)
	v_add_co_u32 v13, vcc_lo, s2, v13
	v_add_co_ci_u32_e32 v14, vcc_lo, s3, v14, vcc_lo
	s_clause 0x2
	global_store_b128 v[13:14], v[4:7], off
	global_store_b128 v[13:14], v[9:12], off offset:16
	global_store_b128 v[13:14], v[0:3], off offset:32
                                        ; implicit-def: $vgpr0_vgpr1
                                        ; implicit-def: $vgpr2_vgpr3
                                        ; implicit-def: $vgpr4_vgpr5
                                        ; implicit-def: $vgpr6_vgpr7
                                        ; implicit-def: $vgpr9_vgpr10
                                        ; implicit-def: $vgpr11_vgpr12
                                        ; implicit-def: $vgpr13_vgpr14
.LBB145_27:
	s_and_not1_saveexec_b32 s0, s0
	s_cbranch_execz .LBB145_29
; %bb.28:
	v_lshl_add_u32 v21, v8, 1, v8
	v_mul_f64 v[35:36], v[19:20], -v[2:3]
	v_mul_f64 v[19:20], v[0:1], v[19:20]
	v_mul_f64 v[37:38], v[17:18], -v[2:3]
	v_mul_f64 v[17:18], v[0:1], v[17:18]
	v_ashrrev_i32_e32 v22, 31, v21
	v_mul_f64 v[39:40], v[15:16], -v[2:3]
	v_mul_f64 v[15:16], v[0:1], v[15:16]
	s_delay_alu instid0(VALU_DEP_3) | instskip(SKIP_1) | instid1(VALU_DEP_1)
	v_lshlrev_b64 v[21:22], 4, v[21:22]
	s_waitcnt lgkmcnt(0)
	v_add_co_u32 v33, vcc_lo, s2, v21
	s_delay_alu instid0(VALU_DEP_2)
	v_add_co_ci_u32_e32 v34, vcc_lo, s3, v22, vcc_lo
	s_clause 0x2
	global_load_b128 v[21:24], v[33:34], off
	global_load_b128 v[25:28], v[33:34], off offset:16
	global_load_b128 v[29:32], v[33:34], off offset:32
	v_fma_f64 v[35:36], v[0:1], v[9:10], v[35:36]
	v_fma_f64 v[8:9], v[2:3], v[9:10], v[19:20]
	;; [unrolled: 1-line block ×6, first 2 shown]
	s_waitcnt vmcnt(2)
	v_fma_f64 v[12:13], v[4:5], v[21:22], v[35:36]
	v_fma_f64 v[8:9], v[6:7], v[21:22], v[8:9]
	s_waitcnt vmcnt(1)
	v_fma_f64 v[14:15], v[4:5], v[25:26], v[19:20]
	v_fma_f64 v[10:11], v[6:7], v[25:26], v[10:11]
	;; [unrolled: 3-line block ×3, first 2 shown]
	v_fma_f64 v[0:1], -v[6:7], v[23:24], v[12:13]
	v_fma_f64 v[2:3], v[4:5], v[23:24], v[8:9]
	v_fma_f64 v[8:9], -v[6:7], v[27:28], v[14:15]
	v_fma_f64 v[10:11], v[4:5], v[27:28], v[10:11]
	;; [unrolled: 2-line block ×3, first 2 shown]
	s_clause 0x2
	global_store_b128 v[33:34], v[0:3], off
	global_store_b128 v[33:34], v[8:11], off offset:16
	global_store_b128 v[33:34], v[12:15], off offset:32
.LBB145_29:
	s_nop 0
	s_sendmsg sendmsg(MSG_DEALLOC_VGPRS)
	s_endpgm
	.section	.rodata,"a",@progbits
	.p2align	6, 0x0
	.amdhsa_kernel _ZN9rocsparseL19gebsrmvn_3xn_kernelILj128ELj8ELj64E21rocsparse_complex_numIdEEEvi20rocsparse_direction_NS_24const_host_device_scalarIT2_EEPKiS8_PKS5_SA_S6_PS5_21rocsparse_index_base_b
		.amdhsa_group_segment_fixed_size 2048
		.amdhsa_private_segment_fixed_size 0
		.amdhsa_kernarg_size 88
		.amdhsa_user_sgpr_count 15
		.amdhsa_user_sgpr_dispatch_ptr 1
		.amdhsa_user_sgpr_queue_ptr 0
		.amdhsa_user_sgpr_kernarg_segment_ptr 1
		.amdhsa_user_sgpr_dispatch_id 0
		.amdhsa_user_sgpr_private_segment_size 0
		.amdhsa_wavefront_size32 1
		.amdhsa_uses_dynamic_stack 0
		.amdhsa_enable_private_segment 0
		.amdhsa_system_sgpr_workgroup_id_x 1
		.amdhsa_system_sgpr_workgroup_id_y 0
		.amdhsa_system_sgpr_workgroup_id_z 0
		.amdhsa_system_sgpr_workgroup_info 0
		.amdhsa_system_vgpr_workitem_id 2
		.amdhsa_next_free_vgpr 69
		.amdhsa_next_free_sgpr 18
		.amdhsa_reserve_vcc 1
		.amdhsa_float_round_mode_32 0
		.amdhsa_float_round_mode_16_64 0
		.amdhsa_float_denorm_mode_32 3
		.amdhsa_float_denorm_mode_16_64 3
		.amdhsa_dx10_clamp 1
		.amdhsa_ieee_mode 1
		.amdhsa_fp16_overflow 0
		.amdhsa_workgroup_processor_mode 1
		.amdhsa_memory_ordered 1
		.amdhsa_forward_progress 0
		.amdhsa_shared_vgpr_count 0
		.amdhsa_exception_fp_ieee_invalid_op 0
		.amdhsa_exception_fp_denorm_src 0
		.amdhsa_exception_fp_ieee_div_zero 0
		.amdhsa_exception_fp_ieee_overflow 0
		.amdhsa_exception_fp_ieee_underflow 0
		.amdhsa_exception_fp_ieee_inexact 0
		.amdhsa_exception_int_div_zero 0
	.end_amdhsa_kernel
	.section	.text._ZN9rocsparseL19gebsrmvn_3xn_kernelILj128ELj8ELj64E21rocsparse_complex_numIdEEEvi20rocsparse_direction_NS_24const_host_device_scalarIT2_EEPKiS8_PKS5_SA_S6_PS5_21rocsparse_index_base_b,"axG",@progbits,_ZN9rocsparseL19gebsrmvn_3xn_kernelILj128ELj8ELj64E21rocsparse_complex_numIdEEEvi20rocsparse_direction_NS_24const_host_device_scalarIT2_EEPKiS8_PKS5_SA_S6_PS5_21rocsparse_index_base_b,comdat
.Lfunc_end145:
	.size	_ZN9rocsparseL19gebsrmvn_3xn_kernelILj128ELj8ELj64E21rocsparse_complex_numIdEEEvi20rocsparse_direction_NS_24const_host_device_scalarIT2_EEPKiS8_PKS5_SA_S6_PS5_21rocsparse_index_base_b, .Lfunc_end145-_ZN9rocsparseL19gebsrmvn_3xn_kernelILj128ELj8ELj64E21rocsparse_complex_numIdEEEvi20rocsparse_direction_NS_24const_host_device_scalarIT2_EEPKiS8_PKS5_SA_S6_PS5_21rocsparse_index_base_b
                                        ; -- End function
	.section	.AMDGPU.csdata,"",@progbits
; Kernel info:
; codeLenInByte = 3624
; NumSgprs: 20
; NumVgprs: 69
; ScratchSize: 0
; MemoryBound: 0
; FloatMode: 240
; IeeeMode: 1
; LDSByteSize: 2048 bytes/workgroup (compile time only)
; SGPRBlocks: 2
; VGPRBlocks: 8
; NumSGPRsForWavesPerEU: 20
; NumVGPRsForWavesPerEU: 69
; Occupancy: 16
; WaveLimiterHint : 1
; COMPUTE_PGM_RSRC2:SCRATCH_EN: 0
; COMPUTE_PGM_RSRC2:USER_SGPR: 15
; COMPUTE_PGM_RSRC2:TRAP_HANDLER: 0
; COMPUTE_PGM_RSRC2:TGID_X_EN: 1
; COMPUTE_PGM_RSRC2:TGID_Y_EN: 0
; COMPUTE_PGM_RSRC2:TGID_Z_EN: 0
; COMPUTE_PGM_RSRC2:TIDIG_COMP_CNT: 2
	.section	.text._ZN9rocsparseL23gebsrmvn_general_kernelILj48ELj16E21rocsparse_complex_numIdEEEvi20rocsparse_direction_NS_24const_host_device_scalarIT1_EEPKiS8_PKS5_iiSA_S6_PS5_21rocsparse_index_base_b,"axG",@progbits,_ZN9rocsparseL23gebsrmvn_general_kernelILj48ELj16E21rocsparse_complex_numIdEEEvi20rocsparse_direction_NS_24const_host_device_scalarIT1_EEPKiS8_PKS5_iiSA_S6_PS5_21rocsparse_index_base_b,comdat
	.globl	_ZN9rocsparseL23gebsrmvn_general_kernelILj48ELj16E21rocsparse_complex_numIdEEEvi20rocsparse_direction_NS_24const_host_device_scalarIT1_EEPKiS8_PKS5_iiSA_S6_PS5_21rocsparse_index_base_b ; -- Begin function _ZN9rocsparseL23gebsrmvn_general_kernelILj48ELj16E21rocsparse_complex_numIdEEEvi20rocsparse_direction_NS_24const_host_device_scalarIT1_EEPKiS8_PKS5_iiSA_S6_PS5_21rocsparse_index_base_b
	.p2align	8
	.type	_ZN9rocsparseL23gebsrmvn_general_kernelILj48ELj16E21rocsparse_complex_numIdEEEvi20rocsparse_direction_NS_24const_host_device_scalarIT1_EEPKiS8_PKS5_iiSA_S6_PS5_21rocsparse_index_base_b,@function
_ZN9rocsparseL23gebsrmvn_general_kernelILj48ELj16E21rocsparse_complex_numIdEEEvi20rocsparse_direction_NS_24const_host_device_scalarIT1_EEPKiS8_PKS5_iiSA_S6_PS5_21rocsparse_index_base_b: ; @_ZN9rocsparseL23gebsrmvn_general_kernelILj48ELj16E21rocsparse_complex_numIdEEEvi20rocsparse_direction_NS_24const_host_device_scalarIT1_EEPKiS8_PKS5_iiSA_S6_PS5_21rocsparse_index_base_b
; %bb.0:
	s_mov_b32 s16, s15
	s_load_b64 s[12:13], s[2:3], 0x58
	s_load_b64 s[14:15], s[0:1], 0x4
	s_load_b128 s[8:11], s[2:3], 0x8
	v_bfe_u32 v2, v0, 10, 10
	s_mov_b64 s[0:1], src_shared_base
	s_load_b128 s[4:7], s[2:3], 0x40
	v_and_b32_e32 v1, 0x3ff, v0
	v_bfe_u32 v0, v0, 20, 10
	s_waitcnt lgkmcnt(0)
	s_bitcmp1_b32 s13, 0
	v_mul_u32_u24_e32 v2, s15, v2
	s_cselect_b32 s0, -1, 0
	s_delay_alu instid0(SALU_CYCLE_1)
	s_and_b32 vcc_lo, s0, exec_lo
	s_cselect_b32 s13, s1, s9
	s_lshr_b32 s14, s14, 16
	v_dual_mov_b32 v4, s4 :: v_dual_mov_b32 v5, s5
	s_mul_i32 s14, s14, s15
	v_mov_b32_e32 v7, s13
	v_mad_u32_u24 v2, s14, v1, v2
	s_delay_alu instid0(VALU_DEP_1) | instskip(SKIP_1) | instid1(VALU_DEP_2)
	v_add_lshl_u32 v0, v2, v0, 3
	v_dual_mov_b32 v2, s8 :: v_dual_mov_b32 v3, s9
	v_add_nc_u32_e32 v6, 0x180, v0
	ds_store_2addr_b64 v0, v[4:5], v[2:3] offset1:48
	v_cndmask_b32_e64 v6, s8, v6, s0
	flat_load_b64 v[4:5], v[6:7]
	v_dual_mov_b32 v6, s10 :: v_dual_mov_b32 v7, s11
	s_xor_b32 s10, s0, -1
	s_cbranch_vccnz .LBB146_2
; %bb.1:
	v_dual_mov_b32 v2, s8 :: v_dual_mov_b32 v3, s9
	flat_load_b64 v[6:7], v[2:3] offset:8
.LBB146_2:
	s_and_b32 s8, s0, exec_lo
	s_cselect_b32 s1, s1, s5
	v_cndmask_b32_e64 v2, s4, v0, s0
	v_mov_b32_e32 v3, s1
	v_dual_mov_b32 v11, s7 :: v_dual_mov_b32 v10, s6
	s_and_not1_b32 vcc_lo, exec_lo, s10
	flat_load_b64 v[8:9], v[2:3]
	s_cbranch_vccnz .LBB146_4
; %bb.3:
	v_dual_mov_b32 v2, s4 :: v_dual_mov_b32 v3, s5
	flat_load_b64 v[10:11], v[2:3] offset:8
.LBB146_4:
	s_waitcnt vmcnt(1) lgkmcnt(1)
	v_cmp_eq_f64_e32 vcc_lo, 0, v[4:5]
	v_cmp_eq_f64_e64 s0, 0, v[6:7]
	s_delay_alu instid0(VALU_DEP_1)
	s_and_b32 s4, vcc_lo, s0
	s_mov_b32 s0, -1
	s_and_saveexec_b32 s1, s4
	s_cbranch_execz .LBB146_6
; %bb.5:
	s_waitcnt vmcnt(0) lgkmcnt(0)
	v_cmp_neq_f64_e32 vcc_lo, 1.0, v[8:9]
	v_cmp_neq_f64_e64 s0, 0, v[10:11]
	s_delay_alu instid0(VALU_DEP_1) | instskip(NEXT) | instid1(SALU_CYCLE_1)
	s_or_b32 s0, vcc_lo, s0
	s_or_not1_b32 s0, s0, exec_lo
.LBB146_6:
	s_or_b32 exec_lo, exec_lo, s1
	s_and_saveexec_b32 s1, s0
	s_cbranch_execz .LBB146_26
; %bb.7:
	s_load_b64 s[6:7], s[2:3], 0x30
	v_lshrrev_b32_e32 v12, 4, v1
	s_waitcnt lgkmcnt(0)
	s_delay_alu instid0(VALU_DEP_1)
	v_cmp_gt_i32_e32 vcc_lo, s6, v12
	s_and_b32 exec_lo, exec_lo, vcc_lo
	s_cbranch_execz .LBB146_26
; %bb.8:
	s_clause 0x1
	s_load_b128 s[8:11], s[2:3], 0x18
	s_load_b32 s5, s[2:3], 0x4
	s_ashr_i32 s17, s16, 31
	s_waitcnt vmcnt(0)
	v_cmp_eq_f64_e32 vcc_lo, 0, v[8:9]
	s_lshl_b64 s[0:1], s[16:17], 2
	v_cmp_eq_f64_e64 s4, 0, v[10:11]
	v_mbcnt_lo_u32_b32 v2, -1, 0
	v_and_b32_e32 v17, 15, v1
	s_mov_b32 s13, 0
	s_mul_i32 s16, s16, s6
	s_mul_i32 s22, s7, 3
	v_xor_b32_e32 v0, 8, v2
	v_xor_b32_e32 v1, 4, v2
	;; [unrolled: 1-line block ×4, first 2 shown]
	s_mul_i32 s23, s7, s6
	s_waitcnt lgkmcnt(0)
	s_add_u32 s0, s8, s0
	s_addc_u32 s1, s9, s1
	s_load_b64 s[20:21], s[0:1], 0x0
	s_load_b64 s[8:9], s[2:3], 0x28
	v_cmp_gt_i32_e64 s1, 32, v0
	s_clause 0x1
	s_load_b64 s[14:15], s[2:3], 0x50
	s_load_b64 s[2:3], s[2:3], 0x38
	v_cmp_gt_i32_e64 s0, s7, v17
	v_cndmask_b32_e64 v14, v2, v0, s1
	v_cmp_gt_i32_e64 s1, 32, v1
	s_delay_alu instid0(VALU_DEP_2) | instskip(NEXT) | instid1(VALU_DEP_2)
	v_lshlrev_b32_e32 v18, 2, v14
	v_cndmask_b32_e64 v15, v2, v1, s1
	v_cmp_gt_i32_e64 s1, 32, v3
	s_delay_alu instid0(VALU_DEP_2) | instskip(NEXT) | instid1(VALU_DEP_2)
	v_lshlrev_b32_e32 v19, 2, v15
	v_cndmask_b32_e64 v3, v2, v3, s1
	s_waitcnt lgkmcnt(0)
	s_sub_i32 s17, s20, s12
	v_cmp_gt_i32_e64 s1, 32, v13
	v_mad_u64_u32 v[0:1], null, s6, s17, v[12:13]
	s_sub_i32 s18, s21, s12
	s_cmp_lt_i32 s20, s21
	s_delay_alu instid0(VALU_DEP_2) | instskip(SKIP_3) | instid1(VALU_DEP_4)
	v_cndmask_b32_e64 v1, v2, v13, s1
	v_lshlrev_b32_e32 v20, 2, v3
	v_cmp_eq_u32_e64 s1, 15, v17
	s_cselect_b32 s19, -1, 0
	v_mul_lo_u32 v22, s7, v0
	v_lshlrev_b32_e32 v21, 2, v1
	s_cmp_lg_u32 s5, 0
	s_cselect_b32 s20, -1, 0
	s_and_b32 s21, vcc_lo, s4
	s_branch .LBB146_10
.LBB146_9:                              ;   in Loop: Header=BB146_10 Depth=1
	s_or_b32 exec_lo, exec_lo, s4
	v_add_nc_u32_e32 v12, 3, v12
	v_add_nc_u32_e32 v22, s22, v22
	s_delay_alu instid0(VALU_DEP_2) | instskip(SKIP_1) | instid1(SALU_CYCLE_1)
	v_cmp_le_i32_e32 vcc_lo, s6, v12
	s_or_b32 s13, vcc_lo, s13
	s_and_not1_b32 exec_lo, exec_lo, s13
	s_cbranch_execz .LBB146_26
.LBB146_10:                             ; =>This Loop Header: Depth=1
                                        ;     Child Loop BB146_14 Depth 2
                                        ;       Child Loop BB146_17 Depth 3
	v_mov_b32_e32 v0, 0
	v_mov_b32_e32 v1, 0
	s_and_not1_b32 vcc_lo, exec_lo, s19
	s_delay_alu instid0(VALU_DEP_1)
	v_dual_mov_b32 v3, v1 :: v_dual_mov_b32 v2, v0
	s_cbranch_vccnz .LBB146_21
; %bb.11:                               ;   in Loop: Header=BB146_10 Depth=1
	s_waitcnt lgkmcnt(1)
	v_dual_mov_b32 v0, 0 :: v_dual_mov_b32 v15, v22
	v_mov_b32_e32 v1, 0
	s_mov_b32 s4, s17
	s_delay_alu instid0(VALU_DEP_1)
	v_dual_mov_b32 v3, v1 :: v_dual_mov_b32 v2, v0
	s_branch .LBB146_14
.LBB146_12:                             ;   in Loop: Header=BB146_14 Depth=2
	s_set_inst_prefetch_distance 0x2
	s_or_b32 exec_lo, exec_lo, s25
.LBB146_13:                             ;   in Loop: Header=BB146_14 Depth=2
	s_delay_alu instid0(SALU_CYCLE_1) | instskip(SKIP_2) | instid1(SALU_CYCLE_1)
	s_or_b32 exec_lo, exec_lo, s24
	v_add_nc_u32_e32 v15, s23, v15
	s_add_i32 s4, s4, 1
	s_cmp_ge_i32 s4, s18
	s_cbranch_scc1 .LBB146_21
.LBB146_14:                             ;   Parent Loop BB146_10 Depth=1
                                        ; =>  This Loop Header: Depth=2
                                        ;       Child Loop BB146_17 Depth 3
	s_and_saveexec_b32 s24, s0
	s_cbranch_execz .LBB146_13
; %bb.15:                               ;   in Loop: Header=BB146_14 Depth=2
	s_ashr_i32 s5, s4, 31
	s_waitcnt lgkmcnt(0)
	v_mov_b32_e32 v16, v17
	s_lshl_b64 s[26:27], s[4:5], 2
	s_mov_b32 s25, 0
	s_add_u32 s26, s10, s26
	s_addc_u32 s27, s11, s27
	s_load_b32 s5, s[26:27], 0x0
	s_waitcnt lgkmcnt(0)
	s_sub_i32 s26, s5, s12
	s_mul_i32 s5, s4, s7
	s_mul_i32 s26, s26, s7
	s_set_inst_prefetch_distance 0x1
	s_branch .LBB146_17
	.p2align	6
.LBB146_16:                             ;   in Loop: Header=BB146_17 Depth=3
	v_add_nc_u32_e32 v23, s26, v16
	s_delay_alu instid0(VALU_DEP_2) | instskip(SKIP_1) | instid1(VALU_DEP_3)
	v_ashrrev_i32_e32 v14, 31, v13
	v_add_nc_u32_e32 v16, 16, v16
	v_ashrrev_i32_e32 v24, 31, v23
	s_delay_alu instid0(VALU_DEP_3) | instskip(NEXT) | instid1(VALU_DEP_2)
	v_lshlrev_b64 v[13:14], 4, v[13:14]
	v_lshlrev_b64 v[23:24], 4, v[23:24]
	s_delay_alu instid0(VALU_DEP_2) | instskip(NEXT) | instid1(VALU_DEP_3)
	v_add_co_u32 v13, vcc_lo, s8, v13
	v_add_co_ci_u32_e32 v14, vcc_lo, s9, v14, vcc_lo
	s_delay_alu instid0(VALU_DEP_3) | instskip(NEXT) | instid1(VALU_DEP_4)
	v_add_co_u32 v27, vcc_lo, s2, v23
	v_add_co_ci_u32_e32 v28, vcc_lo, s3, v24, vcc_lo
	v_cmp_le_i32_e32 vcc_lo, s7, v16
	global_load_b128 v[23:26], v[13:14], off
	global_load_b128 v[27:30], v[27:28], off
	s_or_b32 s25, vcc_lo, s25
	s_waitcnt vmcnt(0)
	v_fma_f64 v[2:3], v[23:24], v[27:28], v[2:3]
	v_fma_f64 v[0:1], v[25:26], v[27:28], v[0:1]
	s_delay_alu instid0(VALU_DEP_2) | instskip(NEXT) | instid1(VALU_DEP_2)
	v_fma_f64 v[2:3], -v[25:26], v[29:30], v[2:3]
	v_fma_f64 v[0:1], v[23:24], v[29:30], v[0:1]
	s_and_not1_b32 exec_lo, exec_lo, s25
	s_cbranch_execz .LBB146_12
.LBB146_17:                             ;   Parent Loop BB146_10 Depth=1
                                        ;     Parent Loop BB146_14 Depth=2
                                        ; =>    This Inner Loop Header: Depth=3
	s_and_b32 vcc_lo, exec_lo, s20
	s_cbranch_vccz .LBB146_19
; %bb.18:                               ;   in Loop: Header=BB146_17 Depth=3
	v_add_nc_u32_e32 v23, s5, v16
	s_delay_alu instid0(VALU_DEP_1)
	v_mad_u64_u32 v[13:14], null, v23, s6, v[12:13]
	s_cbranch_execnz .LBB146_16
	s_branch .LBB146_20
.LBB146_19:                             ;   in Loop: Header=BB146_17 Depth=3
                                        ; implicit-def: $vgpr13
.LBB146_20:                             ;   in Loop: Header=BB146_17 Depth=3
	v_add_nc_u32_e32 v13, v15, v16
	s_branch .LBB146_16
.LBB146_21:                             ;   in Loop: Header=BB146_10 Depth=1
	s_waitcnt lgkmcnt(3)
	ds_bpermute_b32 v13, v18, v2
	s_waitcnt lgkmcnt(3)
	ds_bpermute_b32 v14, v18, v3
	;; [unrolled: 2-line block ×4, first 2 shown]
	s_waitcnt lgkmcnt(2)
	v_add_f64 v[2:3], v[2:3], v[13:14]
	s_waitcnt lgkmcnt(0)
	v_add_f64 v[0:1], v[0:1], v[15:16]
	ds_bpermute_b32 v13, v19, v2
	ds_bpermute_b32 v14, v19, v3
	ds_bpermute_b32 v15, v19, v0
	ds_bpermute_b32 v16, v19, v1
	s_waitcnt lgkmcnt(2)
	v_add_f64 v[2:3], v[2:3], v[13:14]
	s_waitcnt lgkmcnt(0)
	v_add_f64 v[13:14], v[0:1], v[15:16]
	ds_bpermute_b32 v0, v20, v2
	ds_bpermute_b32 v1, v20, v3
	ds_bpermute_b32 v15, v20, v13
	ds_bpermute_b32 v16, v20, v14
	;; [unrolled: 8-line block ×3, first 2 shown]
	s_and_saveexec_b32 s4, s1
	s_cbranch_execz .LBB146_9
; %bb.22:                               ;   in Loop: Header=BB146_10 Depth=1
	s_waitcnt lgkmcnt(0)
	v_add_f64 v[2:3], v[2:3], v[15:16]
	v_add_f64 v[13:14], v[0:1], v[13:14]
	s_delay_alu instid0(VALU_DEP_2) | instskip(SKIP_1) | instid1(VALU_DEP_2)
	v_mul_f64 v[0:1], v[2:3], -v[6:7]
	v_mul_f64 v[2:3], v[4:5], v[2:3]
	v_fma_f64 v[0:1], v[4:5], v[13:14], v[0:1]
	s_delay_alu instid0(VALU_DEP_2) | instskip(SKIP_1) | instid1(VALU_DEP_1)
	v_fma_f64 v[2:3], v[6:7], v[13:14], v[2:3]
	v_add_nc_u32_e32 v13, s16, v12
	v_ashrrev_i32_e32 v14, 31, v13
	s_and_saveexec_b32 s5, s21
	s_delay_alu instid0(SALU_CYCLE_1)
	s_xor_b32 s5, exec_lo, s5
	s_cbranch_execz .LBB146_24
; %bb.23:                               ;   in Loop: Header=BB146_10 Depth=1
	s_delay_alu instid0(VALU_DEP_1) | instskip(NEXT) | instid1(VALU_DEP_1)
	v_lshlrev_b64 v[13:14], 4, v[13:14]
	v_add_co_u32 v13, vcc_lo, s14, v13
	s_delay_alu instid0(VALU_DEP_2)
	v_add_co_ci_u32_e32 v14, vcc_lo, s15, v14, vcc_lo
	global_store_b128 v[13:14], v[0:3], off
                                        ; implicit-def: $vgpr13
                                        ; implicit-def: $vgpr0_vgpr1
.LBB146_24:                             ;   in Loop: Header=BB146_10 Depth=1
	s_and_not1_saveexec_b32 s5, s5
	s_cbranch_execz .LBB146_9
; %bb.25:                               ;   in Loop: Header=BB146_10 Depth=1
	v_lshlrev_b64 v[13:14], 4, v[13:14]
	s_delay_alu instid0(VALU_DEP_1) | instskip(NEXT) | instid1(VALU_DEP_2)
	v_add_co_u32 v23, vcc_lo, s14, v13
	v_add_co_ci_u32_e32 v24, vcc_lo, s15, v14, vcc_lo
	global_load_b128 v[13:16], v[23:24], off
	s_waitcnt vmcnt(0)
	v_fma_f64 v[0:1], v[8:9], v[13:14], v[0:1]
	v_fma_f64 v[2:3], v[10:11], v[13:14], v[2:3]
	s_delay_alu instid0(VALU_DEP_2) | instskip(NEXT) | instid1(VALU_DEP_2)
	v_fma_f64 v[0:1], -v[10:11], v[15:16], v[0:1]
	v_fma_f64 v[2:3], v[8:9], v[15:16], v[2:3]
	global_store_b128 v[23:24], v[0:3], off
	s_branch .LBB146_9
.LBB146_26:
	s_nop 0
	s_sendmsg sendmsg(MSG_DEALLOC_VGPRS)
	s_endpgm
	.section	.rodata,"a",@progbits
	.p2align	6, 0x0
	.amdhsa_kernel _ZN9rocsparseL23gebsrmvn_general_kernelILj48ELj16E21rocsparse_complex_numIdEEEvi20rocsparse_direction_NS_24const_host_device_scalarIT1_EEPKiS8_PKS5_iiSA_S6_PS5_21rocsparse_index_base_b
		.amdhsa_group_segment_fixed_size 768
		.amdhsa_private_segment_fixed_size 0
		.amdhsa_kernarg_size 96
		.amdhsa_user_sgpr_count 15
		.amdhsa_user_sgpr_dispatch_ptr 1
		.amdhsa_user_sgpr_queue_ptr 0
		.amdhsa_user_sgpr_kernarg_segment_ptr 1
		.amdhsa_user_sgpr_dispatch_id 0
		.amdhsa_user_sgpr_private_segment_size 0
		.amdhsa_wavefront_size32 1
		.amdhsa_uses_dynamic_stack 0
		.amdhsa_enable_private_segment 0
		.amdhsa_system_sgpr_workgroup_id_x 1
		.amdhsa_system_sgpr_workgroup_id_y 0
		.amdhsa_system_sgpr_workgroup_id_z 0
		.amdhsa_system_sgpr_workgroup_info 0
		.amdhsa_system_vgpr_workitem_id 2
		.amdhsa_next_free_vgpr 31
		.amdhsa_next_free_sgpr 28
		.amdhsa_reserve_vcc 1
		.amdhsa_float_round_mode_32 0
		.amdhsa_float_round_mode_16_64 0
		.amdhsa_float_denorm_mode_32 3
		.amdhsa_float_denorm_mode_16_64 3
		.amdhsa_dx10_clamp 1
		.amdhsa_ieee_mode 1
		.amdhsa_fp16_overflow 0
		.amdhsa_workgroup_processor_mode 1
		.amdhsa_memory_ordered 1
		.amdhsa_forward_progress 0
		.amdhsa_shared_vgpr_count 0
		.amdhsa_exception_fp_ieee_invalid_op 0
		.amdhsa_exception_fp_denorm_src 0
		.amdhsa_exception_fp_ieee_div_zero 0
		.amdhsa_exception_fp_ieee_overflow 0
		.amdhsa_exception_fp_ieee_underflow 0
		.amdhsa_exception_fp_ieee_inexact 0
		.amdhsa_exception_int_div_zero 0
	.end_amdhsa_kernel
	.section	.text._ZN9rocsparseL23gebsrmvn_general_kernelILj48ELj16E21rocsparse_complex_numIdEEEvi20rocsparse_direction_NS_24const_host_device_scalarIT1_EEPKiS8_PKS5_iiSA_S6_PS5_21rocsparse_index_base_b,"axG",@progbits,_ZN9rocsparseL23gebsrmvn_general_kernelILj48ELj16E21rocsparse_complex_numIdEEEvi20rocsparse_direction_NS_24const_host_device_scalarIT1_EEPKiS8_PKS5_iiSA_S6_PS5_21rocsparse_index_base_b,comdat
.Lfunc_end146:
	.size	_ZN9rocsparseL23gebsrmvn_general_kernelILj48ELj16E21rocsparse_complex_numIdEEEvi20rocsparse_direction_NS_24const_host_device_scalarIT1_EEPKiS8_PKS5_iiSA_S6_PS5_21rocsparse_index_base_b, .Lfunc_end146-_ZN9rocsparseL23gebsrmvn_general_kernelILj48ELj16E21rocsparse_complex_numIdEEEvi20rocsparse_direction_NS_24const_host_device_scalarIT1_EEPKiS8_PKS5_iiSA_S6_PS5_21rocsparse_index_base_b
                                        ; -- End function
	.section	.AMDGPU.csdata,"",@progbits
; Kernel info:
; codeLenInByte = 1496
; NumSgprs: 30
; NumVgprs: 31
; ScratchSize: 0
; MemoryBound: 0
; FloatMode: 240
; IeeeMode: 1
; LDSByteSize: 768 bytes/workgroup (compile time only)
; SGPRBlocks: 3
; VGPRBlocks: 3
; NumSGPRsForWavesPerEU: 30
; NumVGPRsForWavesPerEU: 31
; Occupancy: 16
; WaveLimiterHint : 1
; COMPUTE_PGM_RSRC2:SCRATCH_EN: 0
; COMPUTE_PGM_RSRC2:USER_SGPR: 15
; COMPUTE_PGM_RSRC2:TRAP_HANDLER: 0
; COMPUTE_PGM_RSRC2:TGID_X_EN: 1
; COMPUTE_PGM_RSRC2:TGID_Y_EN: 0
; COMPUTE_PGM_RSRC2:TGID_Z_EN: 0
; COMPUTE_PGM_RSRC2:TIDIG_COMP_CNT: 2
	.section	.text._ZN9rocsparseL23gebsrmvn_general_kernelILj96ELj32E21rocsparse_complex_numIdEEEvi20rocsparse_direction_NS_24const_host_device_scalarIT1_EEPKiS8_PKS5_iiSA_S6_PS5_21rocsparse_index_base_b,"axG",@progbits,_ZN9rocsparseL23gebsrmvn_general_kernelILj96ELj32E21rocsparse_complex_numIdEEEvi20rocsparse_direction_NS_24const_host_device_scalarIT1_EEPKiS8_PKS5_iiSA_S6_PS5_21rocsparse_index_base_b,comdat
	.globl	_ZN9rocsparseL23gebsrmvn_general_kernelILj96ELj32E21rocsparse_complex_numIdEEEvi20rocsparse_direction_NS_24const_host_device_scalarIT1_EEPKiS8_PKS5_iiSA_S6_PS5_21rocsparse_index_base_b ; -- Begin function _ZN9rocsparseL23gebsrmvn_general_kernelILj96ELj32E21rocsparse_complex_numIdEEEvi20rocsparse_direction_NS_24const_host_device_scalarIT1_EEPKiS8_PKS5_iiSA_S6_PS5_21rocsparse_index_base_b
	.p2align	8
	.type	_ZN9rocsparseL23gebsrmvn_general_kernelILj96ELj32E21rocsparse_complex_numIdEEEvi20rocsparse_direction_NS_24const_host_device_scalarIT1_EEPKiS8_PKS5_iiSA_S6_PS5_21rocsparse_index_base_b,@function
_ZN9rocsparseL23gebsrmvn_general_kernelILj96ELj32E21rocsparse_complex_numIdEEEvi20rocsparse_direction_NS_24const_host_device_scalarIT1_EEPKiS8_PKS5_iiSA_S6_PS5_21rocsparse_index_base_b: ; @_ZN9rocsparseL23gebsrmvn_general_kernelILj96ELj32E21rocsparse_complex_numIdEEEvi20rocsparse_direction_NS_24const_host_device_scalarIT1_EEPKiS8_PKS5_iiSA_S6_PS5_21rocsparse_index_base_b
; %bb.0:
	s_mov_b32 s16, s15
	s_load_b64 s[12:13], s[2:3], 0x58
	s_load_b64 s[14:15], s[0:1], 0x4
	s_load_b128 s[8:11], s[2:3], 0x8
	v_bfe_u32 v2, v0, 10, 10
	s_mov_b64 s[0:1], src_shared_base
	s_load_b128 s[4:7], s[2:3], 0x40
	v_and_b32_e32 v1, 0x3ff, v0
	v_bfe_u32 v0, v0, 20, 10
	s_waitcnt lgkmcnt(0)
	s_bitcmp1_b32 s13, 0
	v_mul_u32_u24_e32 v2, s15, v2
	s_cselect_b32 s0, -1, 0
	s_delay_alu instid0(SALU_CYCLE_1)
	s_and_b32 vcc_lo, s0, exec_lo
	s_cselect_b32 s13, s1, s9
	s_lshr_b32 s14, s14, 16
	v_dual_mov_b32 v4, s4 :: v_dual_mov_b32 v5, s5
	s_mul_i32 s14, s14, s15
	v_mov_b32_e32 v7, s13
	v_mad_u32_u24 v2, s14, v1, v2
	s_delay_alu instid0(VALU_DEP_1) | instskip(SKIP_1) | instid1(VALU_DEP_2)
	v_add_lshl_u32 v0, v2, v0, 3
	v_dual_mov_b32 v2, s8 :: v_dual_mov_b32 v3, s9
	v_add_nc_u32_e32 v6, 0x300, v0
	ds_store_2addr_b64 v0, v[4:5], v[2:3] offset1:96
	v_cndmask_b32_e64 v6, s8, v6, s0
	flat_load_b64 v[4:5], v[6:7]
	v_dual_mov_b32 v6, s10 :: v_dual_mov_b32 v7, s11
	s_xor_b32 s10, s0, -1
	s_cbranch_vccnz .LBB147_2
; %bb.1:
	v_dual_mov_b32 v2, s8 :: v_dual_mov_b32 v3, s9
	flat_load_b64 v[6:7], v[2:3] offset:8
.LBB147_2:
	s_and_b32 s8, s0, exec_lo
	s_cselect_b32 s1, s1, s5
	v_cndmask_b32_e64 v2, s4, v0, s0
	v_mov_b32_e32 v3, s1
	v_dual_mov_b32 v11, s7 :: v_dual_mov_b32 v10, s6
	s_and_not1_b32 vcc_lo, exec_lo, s10
	flat_load_b64 v[8:9], v[2:3]
	s_cbranch_vccnz .LBB147_4
; %bb.3:
	v_dual_mov_b32 v2, s4 :: v_dual_mov_b32 v3, s5
	flat_load_b64 v[10:11], v[2:3] offset:8
.LBB147_4:
	s_waitcnt vmcnt(1) lgkmcnt(1)
	v_cmp_eq_f64_e32 vcc_lo, 0, v[4:5]
	v_cmp_eq_f64_e64 s0, 0, v[6:7]
	s_delay_alu instid0(VALU_DEP_1)
	s_and_b32 s4, vcc_lo, s0
	s_mov_b32 s0, -1
	s_and_saveexec_b32 s1, s4
	s_cbranch_execz .LBB147_6
; %bb.5:
	s_waitcnt vmcnt(0) lgkmcnt(0)
	v_cmp_neq_f64_e32 vcc_lo, 1.0, v[8:9]
	v_cmp_neq_f64_e64 s0, 0, v[10:11]
	s_delay_alu instid0(VALU_DEP_1) | instskip(NEXT) | instid1(SALU_CYCLE_1)
	s_or_b32 s0, vcc_lo, s0
	s_or_not1_b32 s0, s0, exec_lo
.LBB147_6:
	s_or_b32 exec_lo, exec_lo, s1
	s_and_saveexec_b32 s1, s0
	s_cbranch_execz .LBB147_26
; %bb.7:
	s_load_b64 s[8:9], s[2:3], 0x30
	v_lshrrev_b32_e32 v12, 5, v1
	s_waitcnt lgkmcnt(0)
	s_delay_alu instid0(VALU_DEP_1)
	v_cmp_gt_i32_e32 vcc_lo, s8, v12
	s_and_b32 exec_lo, exec_lo, vcc_lo
	s_cbranch_execz .LBB147_26
; %bb.8:
	s_clause 0x1
	s_load_b128 s[4:7], s[2:3], 0x18
	s_load_b64 s[10:11], s[2:3], 0x28
	v_mbcnt_lo_u32_b32 v2, -1, 0
	s_ashr_i32 s17, s16, 31
	v_and_b32_e32 v17, 31, v1
	s_lshl_b64 s[0:1], s[16:17], 2
	s_waitcnt vmcnt(0)
	v_cmp_eq_f64_e32 vcc_lo, 0, v[8:9]
	v_xor_b32_e32 v0, 16, v2
	v_xor_b32_e32 v1, 8, v2
	;; [unrolled: 1-line block ×4, first 2 shown]
	s_load_b32 s22, s[2:3], 0x4
	v_xor_b32_e32 v14, 1, v2
	s_mov_b32 s13, 0
	s_mul_i32 s16, s16, s8
	s_mul_i32 s23, s9, s8
	s_waitcnt lgkmcnt(0)
	s_add_u32 s0, s4, s0
	s_addc_u32 s1, s5, s1
	v_cmp_eq_f64_e64 s4, 0, v[10:11]
	s_load_b64 s[20:21], s[0:1], 0x0
	v_cmp_gt_i32_e64 s1, 32, v0
	s_clause 0x1
	s_load_b64 s[14:15], s[2:3], 0x50
	s_load_b64 s[2:3], s[2:3], 0x38
	v_cmp_gt_i32_e64 s0, s9, v17
	v_cndmask_b32_e64 v15, v2, v0, s1
	v_cmp_gt_i32_e64 s1, 32, v1
	s_delay_alu instid0(VALU_DEP_2) | instskip(NEXT) | instid1(VALU_DEP_2)
	v_lshlrev_b32_e32 v18, 2, v15
	v_cndmask_b32_e64 v16, v2, v1, s1
	v_cmp_gt_i32_e64 s1, 32, v3
	s_delay_alu instid0(VALU_DEP_2) | instskip(NEXT) | instid1(VALU_DEP_2)
	v_lshlrev_b32_e32 v19, 2, v16
	v_cndmask_b32_e64 v3, v2, v3, s1
	v_cmp_gt_i32_e64 s1, 32, v13
	s_waitcnt lgkmcnt(0)
	s_sub_i32 s17, s20, s12
	s_sub_i32 s18, s21, s12
	s_cmp_lt_i32 s20, s21
	v_lshlrev_b32_e32 v20, 2, v3
	v_cndmask_b32_e64 v13, v2, v13, s1
	v_cmp_gt_i32_e64 s1, 32, v14
	s_cselect_b32 s19, -1, 0
	s_cmp_lg_u32 s22, 0
	s_mul_i32 s22, s9, 3
	v_mad_u64_u32 v[0:1], null, s8, s17, v[12:13]
	v_cndmask_b32_e64 v1, v2, v14, s1
	v_lshlrev_b32_e32 v21, 2, v13
	v_cmp_eq_u32_e64 s1, 31, v17
	s_cselect_b32 s20, -1, 0
	s_delay_alu instid0(VALU_DEP_3)
	v_lshlrev_b32_e32 v22, 2, v1
	v_mul_lo_u32 v23, s9, v0
	s_and_b32 s21, vcc_lo, s4
	s_branch .LBB147_10
.LBB147_9:                              ;   in Loop: Header=BB147_10 Depth=1
	s_or_b32 exec_lo, exec_lo, s4
	v_add_nc_u32_e32 v12, 3, v12
	v_add_nc_u32_e32 v23, s22, v23
	s_delay_alu instid0(VALU_DEP_2) | instskip(SKIP_1) | instid1(SALU_CYCLE_1)
	v_cmp_le_i32_e32 vcc_lo, s8, v12
	s_or_b32 s13, vcc_lo, s13
	s_and_not1_b32 exec_lo, exec_lo, s13
	s_cbranch_execz .LBB147_26
.LBB147_10:                             ; =>This Loop Header: Depth=1
                                        ;     Child Loop BB147_14 Depth 2
                                        ;       Child Loop BB147_17 Depth 3
	v_mov_b32_e32 v0, 0
	v_mov_b32_e32 v1, 0
	s_and_not1_b32 vcc_lo, exec_lo, s19
	s_delay_alu instid0(VALU_DEP_1)
	v_dual_mov_b32 v3, v1 :: v_dual_mov_b32 v2, v0
	s_cbranch_vccnz .LBB147_21
; %bb.11:                               ;   in Loop: Header=BB147_10 Depth=1
	s_waitcnt lgkmcnt(1)
	v_dual_mov_b32 v0, 0 :: v_dual_mov_b32 v15, v23
	v_mov_b32_e32 v1, 0
	s_mov_b32 s4, s17
	s_delay_alu instid0(VALU_DEP_1)
	v_dual_mov_b32 v3, v1 :: v_dual_mov_b32 v2, v0
	s_branch .LBB147_14
.LBB147_12:                             ;   in Loop: Header=BB147_14 Depth=2
	s_set_inst_prefetch_distance 0x2
	s_or_b32 exec_lo, exec_lo, s25
.LBB147_13:                             ;   in Loop: Header=BB147_14 Depth=2
	s_delay_alu instid0(SALU_CYCLE_1) | instskip(SKIP_2) | instid1(SALU_CYCLE_1)
	s_or_b32 exec_lo, exec_lo, s24
	v_add_nc_u32_e32 v15, s23, v15
	s_add_i32 s4, s4, 1
	s_cmp_ge_i32 s4, s18
	s_cbranch_scc1 .LBB147_21
.LBB147_14:                             ;   Parent Loop BB147_10 Depth=1
                                        ; =>  This Loop Header: Depth=2
                                        ;       Child Loop BB147_17 Depth 3
	s_and_saveexec_b32 s24, s0
	s_cbranch_execz .LBB147_13
; %bb.15:                               ;   in Loop: Header=BB147_14 Depth=2
	s_ashr_i32 s5, s4, 31
	s_waitcnt lgkmcnt(0)
	v_mov_b32_e32 v16, v17
	s_lshl_b64 s[26:27], s[4:5], 2
	s_mov_b32 s25, 0
	s_add_u32 s26, s6, s26
	s_addc_u32 s27, s7, s27
	s_load_b32 s5, s[26:27], 0x0
	s_waitcnt lgkmcnt(0)
	s_sub_i32 s26, s5, s12
	s_mul_i32 s5, s4, s9
	s_mul_i32 s26, s26, s9
	s_set_inst_prefetch_distance 0x1
	s_branch .LBB147_17
	.p2align	6
.LBB147_16:                             ;   in Loop: Header=BB147_17 Depth=3
	v_add_nc_u32_e32 v24, s26, v16
	s_delay_alu instid0(VALU_DEP_2) | instskip(SKIP_1) | instid1(VALU_DEP_3)
	v_ashrrev_i32_e32 v14, 31, v13
	v_add_nc_u32_e32 v16, 32, v16
	v_ashrrev_i32_e32 v25, 31, v24
	s_delay_alu instid0(VALU_DEP_3) | instskip(NEXT) | instid1(VALU_DEP_2)
	v_lshlrev_b64 v[13:14], 4, v[13:14]
	v_lshlrev_b64 v[24:25], 4, v[24:25]
	s_delay_alu instid0(VALU_DEP_2) | instskip(NEXT) | instid1(VALU_DEP_3)
	v_add_co_u32 v13, vcc_lo, s10, v13
	v_add_co_ci_u32_e32 v14, vcc_lo, s11, v14, vcc_lo
	s_delay_alu instid0(VALU_DEP_3) | instskip(NEXT) | instid1(VALU_DEP_4)
	v_add_co_u32 v28, vcc_lo, s2, v24
	v_add_co_ci_u32_e32 v29, vcc_lo, s3, v25, vcc_lo
	v_cmp_le_i32_e32 vcc_lo, s9, v16
	global_load_b128 v[24:27], v[13:14], off
	global_load_b128 v[28:31], v[28:29], off
	s_or_b32 s25, vcc_lo, s25
	s_waitcnt vmcnt(0)
	v_fma_f64 v[2:3], v[24:25], v[28:29], v[2:3]
	v_fma_f64 v[0:1], v[26:27], v[28:29], v[0:1]
	s_delay_alu instid0(VALU_DEP_2) | instskip(NEXT) | instid1(VALU_DEP_2)
	v_fma_f64 v[2:3], -v[26:27], v[30:31], v[2:3]
	v_fma_f64 v[0:1], v[24:25], v[30:31], v[0:1]
	s_and_not1_b32 exec_lo, exec_lo, s25
	s_cbranch_execz .LBB147_12
.LBB147_17:                             ;   Parent Loop BB147_10 Depth=1
                                        ;     Parent Loop BB147_14 Depth=2
                                        ; =>    This Inner Loop Header: Depth=3
	s_and_b32 vcc_lo, exec_lo, s20
	s_cbranch_vccz .LBB147_19
; %bb.18:                               ;   in Loop: Header=BB147_17 Depth=3
	v_add_nc_u32_e32 v24, s5, v16
	s_delay_alu instid0(VALU_DEP_1)
	v_mad_u64_u32 v[13:14], null, v24, s8, v[12:13]
	s_cbranch_execnz .LBB147_16
	s_branch .LBB147_20
.LBB147_19:                             ;   in Loop: Header=BB147_17 Depth=3
                                        ; implicit-def: $vgpr13
.LBB147_20:                             ;   in Loop: Header=BB147_17 Depth=3
	v_add_nc_u32_e32 v13, v15, v16
	s_branch .LBB147_16
.LBB147_21:                             ;   in Loop: Header=BB147_10 Depth=1
	s_waitcnt lgkmcnt(3)
	ds_bpermute_b32 v13, v18, v2
	s_waitcnt lgkmcnt(3)
	ds_bpermute_b32 v14, v18, v3
	;; [unrolled: 2-line block ×4, first 2 shown]
	s_waitcnt lgkmcnt(2)
	v_add_f64 v[2:3], v[2:3], v[13:14]
	s_waitcnt lgkmcnt(0)
	v_add_f64 v[0:1], v[0:1], v[15:16]
	ds_bpermute_b32 v13, v19, v2
	ds_bpermute_b32 v14, v19, v3
	ds_bpermute_b32 v15, v19, v0
	ds_bpermute_b32 v16, v19, v1
	s_waitcnt lgkmcnt(2)
	v_add_f64 v[2:3], v[2:3], v[13:14]
	s_waitcnt lgkmcnt(0)
	v_add_f64 v[0:1], v[0:1], v[15:16]
	ds_bpermute_b32 v13, v20, v2
	ds_bpermute_b32 v14, v20, v3
	ds_bpermute_b32 v15, v20, v0
	ds_bpermute_b32 v16, v20, v1
	;; [unrolled: 8-line block ×4, first 2 shown]
	s_and_saveexec_b32 s4, s1
	s_cbranch_execz .LBB147_9
; %bb.22:                               ;   in Loop: Header=BB147_10 Depth=1
	s_waitcnt lgkmcnt(0)
	v_add_f64 v[2:3], v[2:3], v[15:16]
	v_add_f64 v[13:14], v[0:1], v[13:14]
	s_delay_alu instid0(VALU_DEP_2) | instskip(SKIP_1) | instid1(VALU_DEP_2)
	v_mul_f64 v[0:1], v[2:3], -v[6:7]
	v_mul_f64 v[2:3], v[4:5], v[2:3]
	v_fma_f64 v[0:1], v[4:5], v[13:14], v[0:1]
	s_delay_alu instid0(VALU_DEP_2) | instskip(SKIP_1) | instid1(VALU_DEP_1)
	v_fma_f64 v[2:3], v[6:7], v[13:14], v[2:3]
	v_add_nc_u32_e32 v13, s16, v12
	v_ashrrev_i32_e32 v14, 31, v13
	s_and_saveexec_b32 s5, s21
	s_delay_alu instid0(SALU_CYCLE_1)
	s_xor_b32 s5, exec_lo, s5
	s_cbranch_execz .LBB147_24
; %bb.23:                               ;   in Loop: Header=BB147_10 Depth=1
	s_delay_alu instid0(VALU_DEP_1) | instskip(NEXT) | instid1(VALU_DEP_1)
	v_lshlrev_b64 v[13:14], 4, v[13:14]
	v_add_co_u32 v13, vcc_lo, s14, v13
	s_delay_alu instid0(VALU_DEP_2)
	v_add_co_ci_u32_e32 v14, vcc_lo, s15, v14, vcc_lo
	global_store_b128 v[13:14], v[0:3], off
                                        ; implicit-def: $vgpr13
                                        ; implicit-def: $vgpr0_vgpr1
.LBB147_24:                             ;   in Loop: Header=BB147_10 Depth=1
	s_and_not1_saveexec_b32 s5, s5
	s_cbranch_execz .LBB147_9
; %bb.25:                               ;   in Loop: Header=BB147_10 Depth=1
	v_lshlrev_b64 v[13:14], 4, v[13:14]
	s_delay_alu instid0(VALU_DEP_1) | instskip(NEXT) | instid1(VALU_DEP_2)
	v_add_co_u32 v24, vcc_lo, s14, v13
	v_add_co_ci_u32_e32 v25, vcc_lo, s15, v14, vcc_lo
	global_load_b128 v[13:16], v[24:25], off
	s_waitcnt vmcnt(0)
	v_fma_f64 v[0:1], v[8:9], v[13:14], v[0:1]
	v_fma_f64 v[2:3], v[10:11], v[13:14], v[2:3]
	s_delay_alu instid0(VALU_DEP_2) | instskip(NEXT) | instid1(VALU_DEP_2)
	v_fma_f64 v[0:1], -v[10:11], v[15:16], v[0:1]
	v_fma_f64 v[2:3], v[8:9], v[15:16], v[2:3]
	global_store_b128 v[24:25], v[0:3], off
	s_branch .LBB147_9
.LBB147_26:
	s_nop 0
	s_sendmsg sendmsg(MSG_DEALLOC_VGPRS)
	s_endpgm
	.section	.rodata,"a",@progbits
	.p2align	6, 0x0
	.amdhsa_kernel _ZN9rocsparseL23gebsrmvn_general_kernelILj96ELj32E21rocsparse_complex_numIdEEEvi20rocsparse_direction_NS_24const_host_device_scalarIT1_EEPKiS8_PKS5_iiSA_S6_PS5_21rocsparse_index_base_b
		.amdhsa_group_segment_fixed_size 1536
		.amdhsa_private_segment_fixed_size 0
		.amdhsa_kernarg_size 96
		.amdhsa_user_sgpr_count 15
		.amdhsa_user_sgpr_dispatch_ptr 1
		.amdhsa_user_sgpr_queue_ptr 0
		.amdhsa_user_sgpr_kernarg_segment_ptr 1
		.amdhsa_user_sgpr_dispatch_id 0
		.amdhsa_user_sgpr_private_segment_size 0
		.amdhsa_wavefront_size32 1
		.amdhsa_uses_dynamic_stack 0
		.amdhsa_enable_private_segment 0
		.amdhsa_system_sgpr_workgroup_id_x 1
		.amdhsa_system_sgpr_workgroup_id_y 0
		.amdhsa_system_sgpr_workgroup_id_z 0
		.amdhsa_system_sgpr_workgroup_info 0
		.amdhsa_system_vgpr_workitem_id 2
		.amdhsa_next_free_vgpr 32
		.amdhsa_next_free_sgpr 28
		.amdhsa_reserve_vcc 1
		.amdhsa_float_round_mode_32 0
		.amdhsa_float_round_mode_16_64 0
		.amdhsa_float_denorm_mode_32 3
		.amdhsa_float_denorm_mode_16_64 3
		.amdhsa_dx10_clamp 1
		.amdhsa_ieee_mode 1
		.amdhsa_fp16_overflow 0
		.amdhsa_workgroup_processor_mode 1
		.amdhsa_memory_ordered 1
		.amdhsa_forward_progress 0
		.amdhsa_shared_vgpr_count 0
		.amdhsa_exception_fp_ieee_invalid_op 0
		.amdhsa_exception_fp_denorm_src 0
		.amdhsa_exception_fp_ieee_div_zero 0
		.amdhsa_exception_fp_ieee_overflow 0
		.amdhsa_exception_fp_ieee_underflow 0
		.amdhsa_exception_fp_ieee_inexact 0
		.amdhsa_exception_int_div_zero 0
	.end_amdhsa_kernel
	.section	.text._ZN9rocsparseL23gebsrmvn_general_kernelILj96ELj32E21rocsparse_complex_numIdEEEvi20rocsparse_direction_NS_24const_host_device_scalarIT1_EEPKiS8_PKS5_iiSA_S6_PS5_21rocsparse_index_base_b,"axG",@progbits,_ZN9rocsparseL23gebsrmvn_general_kernelILj96ELj32E21rocsparse_complex_numIdEEEvi20rocsparse_direction_NS_24const_host_device_scalarIT1_EEPKiS8_PKS5_iiSA_S6_PS5_21rocsparse_index_base_b,comdat
.Lfunc_end147:
	.size	_ZN9rocsparseL23gebsrmvn_general_kernelILj96ELj32E21rocsparse_complex_numIdEEEvi20rocsparse_direction_NS_24const_host_device_scalarIT1_EEPKiS8_PKS5_iiSA_S6_PS5_21rocsparse_index_base_b, .Lfunc_end147-_ZN9rocsparseL23gebsrmvn_general_kernelILj96ELj32E21rocsparse_complex_numIdEEEvi20rocsparse_direction_NS_24const_host_device_scalarIT1_EEPKiS8_PKS5_iiSA_S6_PS5_21rocsparse_index_base_b
                                        ; -- End function
	.section	.AMDGPU.csdata,"",@progbits
; Kernel info:
; codeLenInByte = 1576
; NumSgprs: 30
; NumVgprs: 32
; ScratchSize: 0
; MemoryBound: 0
; FloatMode: 240
; IeeeMode: 1
; LDSByteSize: 1536 bytes/workgroup (compile time only)
; SGPRBlocks: 3
; VGPRBlocks: 3
; NumSGPRsForWavesPerEU: 30
; NumVGPRsForWavesPerEU: 32
; Occupancy: 16
; WaveLimiterHint : 1
; COMPUTE_PGM_RSRC2:SCRATCH_EN: 0
; COMPUTE_PGM_RSRC2:USER_SGPR: 15
; COMPUTE_PGM_RSRC2:TRAP_HANDLER: 0
; COMPUTE_PGM_RSRC2:TGID_X_EN: 1
; COMPUTE_PGM_RSRC2:TGID_Y_EN: 0
; COMPUTE_PGM_RSRC2:TGID_Z_EN: 0
; COMPUTE_PGM_RSRC2:TIDIG_COMP_CNT: 2
	.text
	.p2alignl 7, 3214868480
	.fill 96, 4, 3214868480
	.type	__hip_cuid_b509fbf2168ad679,@object ; @__hip_cuid_b509fbf2168ad679
	.section	.bss,"aw",@nobits
	.globl	__hip_cuid_b509fbf2168ad679
__hip_cuid_b509fbf2168ad679:
	.byte	0                               ; 0x0
	.size	__hip_cuid_b509fbf2168ad679, 1

	.ident	"AMD clang version 19.0.0git (https://github.com/RadeonOpenCompute/llvm-project roc-6.4.0 25133 c7fe45cf4b819c5991fe208aaa96edf142730f1d)"
	.section	".note.GNU-stack","",@progbits
	.addrsig
	.addrsig_sym __hip_cuid_b509fbf2168ad679
	.amdgpu_metadata
---
amdhsa.kernels:
  - .args:
      - .offset:         0
        .size:           4
        .value_kind:     by_value
      - .offset:         4
        .size:           4
        .value_kind:     by_value
      - .offset:         8
        .size:           8
        .value_kind:     by_value
      - .actual_access:  read_only
        .address_space:  global
        .offset:         16
        .size:           8
        .value_kind:     global_buffer
      - .actual_access:  read_only
        .address_space:  global
        .offset:         24
        .size:           8
        .value_kind:     global_buffer
      - .actual_access:  read_only
        .address_space:  global
        .offset:         32
        .size:           8
        .value_kind:     global_buffer
      - .actual_access:  read_only
        .address_space:  global
        .offset:         40
        .size:           8
        .value_kind:     global_buffer
      - .offset:         48
        .size:           8
        .value_kind:     by_value
      - .address_space:  global
        .offset:         56
        .size:           8
        .value_kind:     global_buffer
      - .offset:         64
        .size:           4
        .value_kind:     by_value
      - .offset:         68
        .size:           1
        .value_kind:     by_value
    .group_segment_fixed_size: 0
    .kernarg_segment_align: 8
    .kernarg_segment_size: 72
    .language:       OpenCL C
    .language_version:
      - 2
      - 0
    .max_flat_workgroup_size: 128
    .name:           _ZN9rocsparseL19gebsrmvn_3xn_kernelILj128ELj1ELj4EfEEvi20rocsparse_direction_NS_24const_host_device_scalarIT2_EEPKiS6_PKS3_S8_S4_PS3_21rocsparse_index_base_b
    .private_segment_fixed_size: 0
    .sgpr_count:     22
    .sgpr_spill_count: 0
    .symbol:         _ZN9rocsparseL19gebsrmvn_3xn_kernelILj128ELj1ELj4EfEEvi20rocsparse_direction_NS_24const_host_device_scalarIT2_EEPKiS6_PKS3_S8_S4_PS3_21rocsparse_index_base_b.kd
    .uniform_work_group_size: 1
    .uses_dynamic_stack: false
    .vgpr_count:     19
    .vgpr_spill_count: 0
    .wavefront_size: 32
    .workgroup_processor_mode: 1
  - .args:
      - .offset:         0
        .size:           4
        .value_kind:     by_value
      - .offset:         4
        .size:           4
        .value_kind:     by_value
      - .offset:         8
        .size:           8
        .value_kind:     by_value
      - .actual_access:  read_only
        .address_space:  global
        .offset:         16
        .size:           8
        .value_kind:     global_buffer
      - .actual_access:  read_only
        .address_space:  global
        .offset:         24
        .size:           8
        .value_kind:     global_buffer
      - .actual_access:  read_only
        .address_space:  global
        .offset:         32
        .size:           8
        .value_kind:     global_buffer
      - .actual_access:  read_only
        .address_space:  global
        .offset:         40
        .size:           8
        .value_kind:     global_buffer
      - .offset:         48
        .size:           8
        .value_kind:     by_value
      - .address_space:  global
        .offset:         56
        .size:           8
        .value_kind:     global_buffer
      - .offset:         64
        .size:           4
        .value_kind:     by_value
      - .offset:         68
        .size:           1
        .value_kind:     by_value
    .group_segment_fixed_size: 0
    .kernarg_segment_align: 8
    .kernarg_segment_size: 72
    .language:       OpenCL C
    .language_version:
      - 2
      - 0
    .max_flat_workgroup_size: 128
    .name:           _ZN9rocsparseL19gebsrmvn_3xn_kernelILj128ELj1ELj8EfEEvi20rocsparse_direction_NS_24const_host_device_scalarIT2_EEPKiS6_PKS3_S8_S4_PS3_21rocsparse_index_base_b
    .private_segment_fixed_size: 0
    .sgpr_count:     22
    .sgpr_spill_count: 0
    .symbol:         _ZN9rocsparseL19gebsrmvn_3xn_kernelILj128ELj1ELj8EfEEvi20rocsparse_direction_NS_24const_host_device_scalarIT2_EEPKiS6_PKS3_S8_S4_PS3_21rocsparse_index_base_b.kd
    .uniform_work_group_size: 1
    .uses_dynamic_stack: false
    .vgpr_count:     19
    .vgpr_spill_count: 0
    .wavefront_size: 32
    .workgroup_processor_mode: 1
  - .args:
      - .offset:         0
        .size:           4
        .value_kind:     by_value
      - .offset:         4
        .size:           4
        .value_kind:     by_value
      - .offset:         8
        .size:           8
        .value_kind:     by_value
      - .actual_access:  read_only
        .address_space:  global
        .offset:         16
        .size:           8
        .value_kind:     global_buffer
      - .actual_access:  read_only
        .address_space:  global
        .offset:         24
        .size:           8
        .value_kind:     global_buffer
      - .actual_access:  read_only
        .address_space:  global
        .offset:         32
        .size:           8
        .value_kind:     global_buffer
      - .actual_access:  read_only
        .address_space:  global
        .offset:         40
        .size:           8
        .value_kind:     global_buffer
      - .offset:         48
        .size:           8
        .value_kind:     by_value
      - .address_space:  global
        .offset:         56
        .size:           8
        .value_kind:     global_buffer
      - .offset:         64
        .size:           4
        .value_kind:     by_value
      - .offset:         68
        .size:           1
        .value_kind:     by_value
    .group_segment_fixed_size: 0
    .kernarg_segment_align: 8
    .kernarg_segment_size: 72
    .language:       OpenCL C
    .language_version:
      - 2
      - 0
    .max_flat_workgroup_size: 128
    .name:           _ZN9rocsparseL19gebsrmvn_3xn_kernelILj128ELj1ELj16EfEEvi20rocsparse_direction_NS_24const_host_device_scalarIT2_EEPKiS6_PKS3_S8_S4_PS3_21rocsparse_index_base_b
    .private_segment_fixed_size: 0
    .sgpr_count:     22
    .sgpr_spill_count: 0
    .symbol:         _ZN9rocsparseL19gebsrmvn_3xn_kernelILj128ELj1ELj16EfEEvi20rocsparse_direction_NS_24const_host_device_scalarIT2_EEPKiS6_PKS3_S8_S4_PS3_21rocsparse_index_base_b.kd
    .uniform_work_group_size: 1
    .uses_dynamic_stack: false
    .vgpr_count:     19
    .vgpr_spill_count: 0
    .wavefront_size: 32
    .workgroup_processor_mode: 1
  - .args:
      - .offset:         0
        .size:           4
        .value_kind:     by_value
      - .offset:         4
        .size:           4
        .value_kind:     by_value
      - .offset:         8
        .size:           8
        .value_kind:     by_value
      - .actual_access:  read_only
        .address_space:  global
        .offset:         16
        .size:           8
        .value_kind:     global_buffer
      - .actual_access:  read_only
        .address_space:  global
        .offset:         24
        .size:           8
        .value_kind:     global_buffer
      - .actual_access:  read_only
        .address_space:  global
        .offset:         32
        .size:           8
        .value_kind:     global_buffer
      - .actual_access:  read_only
        .address_space:  global
        .offset:         40
        .size:           8
        .value_kind:     global_buffer
      - .offset:         48
        .size:           8
        .value_kind:     by_value
      - .address_space:  global
        .offset:         56
        .size:           8
        .value_kind:     global_buffer
      - .offset:         64
        .size:           4
        .value_kind:     by_value
      - .offset:         68
        .size:           1
        .value_kind:     by_value
    .group_segment_fixed_size: 0
    .kernarg_segment_align: 8
    .kernarg_segment_size: 72
    .language:       OpenCL C
    .language_version:
      - 2
      - 0
    .max_flat_workgroup_size: 128
    .name:           _ZN9rocsparseL19gebsrmvn_3xn_kernelILj128ELj1ELj32EfEEvi20rocsparse_direction_NS_24const_host_device_scalarIT2_EEPKiS6_PKS3_S8_S4_PS3_21rocsparse_index_base_b
    .private_segment_fixed_size: 0
    .sgpr_count:     22
    .sgpr_spill_count: 0
    .symbol:         _ZN9rocsparseL19gebsrmvn_3xn_kernelILj128ELj1ELj32EfEEvi20rocsparse_direction_NS_24const_host_device_scalarIT2_EEPKiS6_PKS3_S8_S4_PS3_21rocsparse_index_base_b.kd
    .uniform_work_group_size: 1
    .uses_dynamic_stack: false
    .vgpr_count:     19
    .vgpr_spill_count: 0
    .wavefront_size: 32
    .workgroup_processor_mode: 1
  - .args:
      - .offset:         0
        .size:           4
        .value_kind:     by_value
      - .offset:         4
        .size:           4
        .value_kind:     by_value
      - .offset:         8
        .size:           8
        .value_kind:     by_value
      - .actual_access:  read_only
        .address_space:  global
        .offset:         16
        .size:           8
        .value_kind:     global_buffer
      - .actual_access:  read_only
        .address_space:  global
        .offset:         24
        .size:           8
        .value_kind:     global_buffer
      - .actual_access:  read_only
        .address_space:  global
        .offset:         32
        .size:           8
        .value_kind:     global_buffer
      - .actual_access:  read_only
        .address_space:  global
        .offset:         40
        .size:           8
        .value_kind:     global_buffer
      - .offset:         48
        .size:           8
        .value_kind:     by_value
      - .address_space:  global
        .offset:         56
        .size:           8
        .value_kind:     global_buffer
      - .offset:         64
        .size:           4
        .value_kind:     by_value
      - .offset:         68
        .size:           1
        .value_kind:     by_value
    .group_segment_fixed_size: 0
    .kernarg_segment_align: 8
    .kernarg_segment_size: 72
    .language:       OpenCL C
    .language_version:
      - 2
      - 0
    .max_flat_workgroup_size: 128
    .name:           _ZN9rocsparseL19gebsrmvn_3xn_kernelILj128ELj1ELj64EfEEvi20rocsparse_direction_NS_24const_host_device_scalarIT2_EEPKiS6_PKS3_S8_S4_PS3_21rocsparse_index_base_b
    .private_segment_fixed_size: 0
    .sgpr_count:     22
    .sgpr_spill_count: 0
    .symbol:         _ZN9rocsparseL19gebsrmvn_3xn_kernelILj128ELj1ELj64EfEEvi20rocsparse_direction_NS_24const_host_device_scalarIT2_EEPKiS6_PKS3_S8_S4_PS3_21rocsparse_index_base_b.kd
    .uniform_work_group_size: 1
    .uses_dynamic_stack: false
    .vgpr_count:     19
    .vgpr_spill_count: 0
    .wavefront_size: 32
    .workgroup_processor_mode: 1
  - .args:
      - .offset:         0
        .size:           4
        .value_kind:     by_value
      - .offset:         4
        .size:           4
        .value_kind:     by_value
      - .offset:         8
        .size:           8
        .value_kind:     by_value
      - .actual_access:  read_only
        .address_space:  global
        .offset:         16
        .size:           8
        .value_kind:     global_buffer
      - .actual_access:  read_only
        .address_space:  global
        .offset:         24
        .size:           8
        .value_kind:     global_buffer
      - .actual_access:  read_only
        .address_space:  global
        .offset:         32
        .size:           8
        .value_kind:     global_buffer
      - .actual_access:  read_only
        .address_space:  global
        .offset:         40
        .size:           8
        .value_kind:     global_buffer
      - .offset:         48
        .size:           8
        .value_kind:     by_value
      - .address_space:  global
        .offset:         56
        .size:           8
        .value_kind:     global_buffer
      - .offset:         64
        .size:           4
        .value_kind:     by_value
      - .offset:         68
        .size:           1
        .value_kind:     by_value
    .group_segment_fixed_size: 0
    .kernarg_segment_align: 8
    .kernarg_segment_size: 72
    .language:       OpenCL C
    .language_version:
      - 2
      - 0
    .max_flat_workgroup_size: 128
    .name:           _ZN9rocsparseL19gebsrmvn_3xn_kernelILj128ELj2ELj4EfEEvi20rocsparse_direction_NS_24const_host_device_scalarIT2_EEPKiS6_PKS3_S8_S4_PS3_21rocsparse_index_base_b
    .private_segment_fixed_size: 0
    .sgpr_count:     22
    .sgpr_spill_count: 0
    .symbol:         _ZN9rocsparseL19gebsrmvn_3xn_kernelILj128ELj2ELj4EfEEvi20rocsparse_direction_NS_24const_host_device_scalarIT2_EEPKiS6_PKS3_S8_S4_PS3_21rocsparse_index_base_b.kd
    .uniform_work_group_size: 1
    .uses_dynamic_stack: false
    .vgpr_count:     24
    .vgpr_spill_count: 0
    .wavefront_size: 32
    .workgroup_processor_mode: 1
  - .args:
      - .offset:         0
        .size:           4
        .value_kind:     by_value
      - .offset:         4
        .size:           4
        .value_kind:     by_value
      - .offset:         8
        .size:           8
        .value_kind:     by_value
      - .actual_access:  read_only
        .address_space:  global
        .offset:         16
        .size:           8
        .value_kind:     global_buffer
      - .actual_access:  read_only
        .address_space:  global
        .offset:         24
        .size:           8
        .value_kind:     global_buffer
      - .actual_access:  read_only
        .address_space:  global
        .offset:         32
        .size:           8
        .value_kind:     global_buffer
      - .actual_access:  read_only
        .address_space:  global
        .offset:         40
        .size:           8
        .value_kind:     global_buffer
      - .offset:         48
        .size:           8
        .value_kind:     by_value
      - .address_space:  global
        .offset:         56
        .size:           8
        .value_kind:     global_buffer
      - .offset:         64
        .size:           4
        .value_kind:     by_value
      - .offset:         68
        .size:           1
        .value_kind:     by_value
    .group_segment_fixed_size: 0
    .kernarg_segment_align: 8
    .kernarg_segment_size: 72
    .language:       OpenCL C
    .language_version:
      - 2
      - 0
    .max_flat_workgroup_size: 128
    .name:           _ZN9rocsparseL19gebsrmvn_3xn_kernelILj128ELj2ELj8EfEEvi20rocsparse_direction_NS_24const_host_device_scalarIT2_EEPKiS6_PKS3_S8_S4_PS3_21rocsparse_index_base_b
    .private_segment_fixed_size: 0
    .sgpr_count:     22
    .sgpr_spill_count: 0
    .symbol:         _ZN9rocsparseL19gebsrmvn_3xn_kernelILj128ELj2ELj8EfEEvi20rocsparse_direction_NS_24const_host_device_scalarIT2_EEPKiS6_PKS3_S8_S4_PS3_21rocsparse_index_base_b.kd
    .uniform_work_group_size: 1
    .uses_dynamic_stack: false
    .vgpr_count:     24
    .vgpr_spill_count: 0
    .wavefront_size: 32
    .workgroup_processor_mode: 1
  - .args:
      - .offset:         0
        .size:           4
        .value_kind:     by_value
      - .offset:         4
        .size:           4
        .value_kind:     by_value
      - .offset:         8
        .size:           8
        .value_kind:     by_value
      - .actual_access:  read_only
        .address_space:  global
        .offset:         16
        .size:           8
        .value_kind:     global_buffer
      - .actual_access:  read_only
        .address_space:  global
        .offset:         24
        .size:           8
        .value_kind:     global_buffer
      - .actual_access:  read_only
        .address_space:  global
        .offset:         32
        .size:           8
        .value_kind:     global_buffer
      - .actual_access:  read_only
        .address_space:  global
        .offset:         40
        .size:           8
        .value_kind:     global_buffer
      - .offset:         48
        .size:           8
        .value_kind:     by_value
      - .address_space:  global
        .offset:         56
        .size:           8
        .value_kind:     global_buffer
      - .offset:         64
        .size:           4
        .value_kind:     by_value
      - .offset:         68
        .size:           1
        .value_kind:     by_value
    .group_segment_fixed_size: 0
    .kernarg_segment_align: 8
    .kernarg_segment_size: 72
    .language:       OpenCL C
    .language_version:
      - 2
      - 0
    .max_flat_workgroup_size: 128
    .name:           _ZN9rocsparseL19gebsrmvn_3xn_kernelILj128ELj2ELj16EfEEvi20rocsparse_direction_NS_24const_host_device_scalarIT2_EEPKiS6_PKS3_S8_S4_PS3_21rocsparse_index_base_b
    .private_segment_fixed_size: 0
    .sgpr_count:     22
    .sgpr_spill_count: 0
    .symbol:         _ZN9rocsparseL19gebsrmvn_3xn_kernelILj128ELj2ELj16EfEEvi20rocsparse_direction_NS_24const_host_device_scalarIT2_EEPKiS6_PKS3_S8_S4_PS3_21rocsparse_index_base_b.kd
    .uniform_work_group_size: 1
    .uses_dynamic_stack: false
    .vgpr_count:     24
    .vgpr_spill_count: 0
    .wavefront_size: 32
    .workgroup_processor_mode: 1
  - .args:
      - .offset:         0
        .size:           4
        .value_kind:     by_value
      - .offset:         4
        .size:           4
        .value_kind:     by_value
      - .offset:         8
        .size:           8
        .value_kind:     by_value
      - .actual_access:  read_only
        .address_space:  global
        .offset:         16
        .size:           8
        .value_kind:     global_buffer
      - .actual_access:  read_only
        .address_space:  global
        .offset:         24
        .size:           8
        .value_kind:     global_buffer
      - .actual_access:  read_only
        .address_space:  global
        .offset:         32
        .size:           8
        .value_kind:     global_buffer
      - .actual_access:  read_only
        .address_space:  global
        .offset:         40
        .size:           8
        .value_kind:     global_buffer
      - .offset:         48
        .size:           8
        .value_kind:     by_value
      - .address_space:  global
        .offset:         56
        .size:           8
        .value_kind:     global_buffer
      - .offset:         64
        .size:           4
        .value_kind:     by_value
      - .offset:         68
        .size:           1
        .value_kind:     by_value
    .group_segment_fixed_size: 0
    .kernarg_segment_align: 8
    .kernarg_segment_size: 72
    .language:       OpenCL C
    .language_version:
      - 2
      - 0
    .max_flat_workgroup_size: 128
    .name:           _ZN9rocsparseL19gebsrmvn_3xn_kernelILj128ELj2ELj32EfEEvi20rocsparse_direction_NS_24const_host_device_scalarIT2_EEPKiS6_PKS3_S8_S4_PS3_21rocsparse_index_base_b
    .private_segment_fixed_size: 0
    .sgpr_count:     22
    .sgpr_spill_count: 0
    .symbol:         _ZN9rocsparseL19gebsrmvn_3xn_kernelILj128ELj2ELj32EfEEvi20rocsparse_direction_NS_24const_host_device_scalarIT2_EEPKiS6_PKS3_S8_S4_PS3_21rocsparse_index_base_b.kd
    .uniform_work_group_size: 1
    .uses_dynamic_stack: false
    .vgpr_count:     24
    .vgpr_spill_count: 0
    .wavefront_size: 32
    .workgroup_processor_mode: 1
  - .args:
      - .offset:         0
        .size:           4
        .value_kind:     by_value
      - .offset:         4
        .size:           4
        .value_kind:     by_value
      - .offset:         8
        .size:           8
        .value_kind:     by_value
      - .actual_access:  read_only
        .address_space:  global
        .offset:         16
        .size:           8
        .value_kind:     global_buffer
      - .actual_access:  read_only
        .address_space:  global
        .offset:         24
        .size:           8
        .value_kind:     global_buffer
      - .actual_access:  read_only
        .address_space:  global
        .offset:         32
        .size:           8
        .value_kind:     global_buffer
      - .actual_access:  read_only
        .address_space:  global
        .offset:         40
        .size:           8
        .value_kind:     global_buffer
      - .offset:         48
        .size:           8
        .value_kind:     by_value
      - .address_space:  global
        .offset:         56
        .size:           8
        .value_kind:     global_buffer
      - .offset:         64
        .size:           4
        .value_kind:     by_value
      - .offset:         68
        .size:           1
        .value_kind:     by_value
    .group_segment_fixed_size: 0
    .kernarg_segment_align: 8
    .kernarg_segment_size: 72
    .language:       OpenCL C
    .language_version:
      - 2
      - 0
    .max_flat_workgroup_size: 128
    .name:           _ZN9rocsparseL19gebsrmvn_3xn_kernelILj128ELj2ELj64EfEEvi20rocsparse_direction_NS_24const_host_device_scalarIT2_EEPKiS6_PKS3_S8_S4_PS3_21rocsparse_index_base_b
    .private_segment_fixed_size: 0
    .sgpr_count:     22
    .sgpr_spill_count: 0
    .symbol:         _ZN9rocsparseL19gebsrmvn_3xn_kernelILj128ELj2ELj64EfEEvi20rocsparse_direction_NS_24const_host_device_scalarIT2_EEPKiS6_PKS3_S8_S4_PS3_21rocsparse_index_base_b.kd
    .uniform_work_group_size: 1
    .uses_dynamic_stack: false
    .vgpr_count:     24
    .vgpr_spill_count: 0
    .wavefront_size: 32
    .workgroup_processor_mode: 1
  - .args:
      - .offset:         0
        .size:           4
        .value_kind:     by_value
      - .offset:         4
        .size:           4
        .value_kind:     by_value
      - .offset:         8
        .size:           8
        .value_kind:     by_value
      - .actual_access:  read_only
        .address_space:  global
        .offset:         16
        .size:           8
        .value_kind:     global_buffer
      - .actual_access:  read_only
        .address_space:  global
        .offset:         24
        .size:           8
        .value_kind:     global_buffer
      - .actual_access:  read_only
        .address_space:  global
        .offset:         32
        .size:           8
        .value_kind:     global_buffer
      - .actual_access:  read_only
        .address_space:  global
        .offset:         40
        .size:           8
        .value_kind:     global_buffer
      - .offset:         48
        .size:           8
        .value_kind:     by_value
      - .address_space:  global
        .offset:         56
        .size:           8
        .value_kind:     global_buffer
      - .offset:         64
        .size:           4
        .value_kind:     by_value
      - .offset:         68
        .size:           1
        .value_kind:     by_value
    .group_segment_fixed_size: 0
    .kernarg_segment_align: 8
    .kernarg_segment_size: 72
    .language:       OpenCL C
    .language_version:
      - 2
      - 0
    .max_flat_workgroup_size: 128
    .name:           _ZN9rocsparseL19gebsrmvn_3xn_kernelILj128ELj4ELj4EfEEvi20rocsparse_direction_NS_24const_host_device_scalarIT2_EEPKiS6_PKS3_S8_S4_PS3_21rocsparse_index_base_b
    .private_segment_fixed_size: 0
    .sgpr_count:     22
    .sgpr_spill_count: 0
    .symbol:         _ZN9rocsparseL19gebsrmvn_3xn_kernelILj128ELj4ELj4EfEEvi20rocsparse_direction_NS_24const_host_device_scalarIT2_EEPKiS6_PKS3_S8_S4_PS3_21rocsparse_index_base_b.kd
    .uniform_work_group_size: 1
    .uses_dynamic_stack: false
    .vgpr_count:     32
    .vgpr_spill_count: 0
    .wavefront_size: 32
    .workgroup_processor_mode: 1
  - .args:
      - .offset:         0
        .size:           4
        .value_kind:     by_value
      - .offset:         4
        .size:           4
        .value_kind:     by_value
      - .offset:         8
        .size:           8
        .value_kind:     by_value
      - .actual_access:  read_only
        .address_space:  global
        .offset:         16
        .size:           8
        .value_kind:     global_buffer
      - .actual_access:  read_only
        .address_space:  global
        .offset:         24
        .size:           8
        .value_kind:     global_buffer
      - .actual_access:  read_only
        .address_space:  global
        .offset:         32
        .size:           8
        .value_kind:     global_buffer
      - .actual_access:  read_only
        .address_space:  global
        .offset:         40
        .size:           8
        .value_kind:     global_buffer
      - .offset:         48
        .size:           8
        .value_kind:     by_value
      - .address_space:  global
        .offset:         56
        .size:           8
        .value_kind:     global_buffer
      - .offset:         64
        .size:           4
        .value_kind:     by_value
      - .offset:         68
        .size:           1
        .value_kind:     by_value
    .group_segment_fixed_size: 0
    .kernarg_segment_align: 8
    .kernarg_segment_size: 72
    .language:       OpenCL C
    .language_version:
      - 2
      - 0
    .max_flat_workgroup_size: 128
    .name:           _ZN9rocsparseL19gebsrmvn_3xn_kernelILj128ELj4ELj8EfEEvi20rocsparse_direction_NS_24const_host_device_scalarIT2_EEPKiS6_PKS3_S8_S4_PS3_21rocsparse_index_base_b
    .private_segment_fixed_size: 0
    .sgpr_count:     22
    .sgpr_spill_count: 0
    .symbol:         _ZN9rocsparseL19gebsrmvn_3xn_kernelILj128ELj4ELj8EfEEvi20rocsparse_direction_NS_24const_host_device_scalarIT2_EEPKiS6_PKS3_S8_S4_PS3_21rocsparse_index_base_b.kd
    .uniform_work_group_size: 1
    .uses_dynamic_stack: false
    .vgpr_count:     32
    .vgpr_spill_count: 0
    .wavefront_size: 32
    .workgroup_processor_mode: 1
  - .args:
      - .offset:         0
        .size:           4
        .value_kind:     by_value
      - .offset:         4
        .size:           4
        .value_kind:     by_value
      - .offset:         8
        .size:           8
        .value_kind:     by_value
      - .actual_access:  read_only
        .address_space:  global
        .offset:         16
        .size:           8
        .value_kind:     global_buffer
      - .actual_access:  read_only
        .address_space:  global
        .offset:         24
        .size:           8
        .value_kind:     global_buffer
      - .actual_access:  read_only
        .address_space:  global
        .offset:         32
        .size:           8
        .value_kind:     global_buffer
      - .actual_access:  read_only
        .address_space:  global
        .offset:         40
        .size:           8
        .value_kind:     global_buffer
      - .offset:         48
        .size:           8
        .value_kind:     by_value
      - .address_space:  global
        .offset:         56
        .size:           8
        .value_kind:     global_buffer
      - .offset:         64
        .size:           4
        .value_kind:     by_value
      - .offset:         68
        .size:           1
        .value_kind:     by_value
    .group_segment_fixed_size: 0
    .kernarg_segment_align: 8
    .kernarg_segment_size: 72
    .language:       OpenCL C
    .language_version:
      - 2
      - 0
    .max_flat_workgroup_size: 128
    .name:           _ZN9rocsparseL19gebsrmvn_3xn_kernelILj128ELj4ELj16EfEEvi20rocsparse_direction_NS_24const_host_device_scalarIT2_EEPKiS6_PKS3_S8_S4_PS3_21rocsparse_index_base_b
    .private_segment_fixed_size: 0
    .sgpr_count:     22
    .sgpr_spill_count: 0
    .symbol:         _ZN9rocsparseL19gebsrmvn_3xn_kernelILj128ELj4ELj16EfEEvi20rocsparse_direction_NS_24const_host_device_scalarIT2_EEPKiS6_PKS3_S8_S4_PS3_21rocsparse_index_base_b.kd
    .uniform_work_group_size: 1
    .uses_dynamic_stack: false
    .vgpr_count:     32
    .vgpr_spill_count: 0
    .wavefront_size: 32
    .workgroup_processor_mode: 1
  - .args:
      - .offset:         0
        .size:           4
        .value_kind:     by_value
      - .offset:         4
        .size:           4
        .value_kind:     by_value
      - .offset:         8
        .size:           8
        .value_kind:     by_value
      - .actual_access:  read_only
        .address_space:  global
        .offset:         16
        .size:           8
        .value_kind:     global_buffer
      - .actual_access:  read_only
        .address_space:  global
        .offset:         24
        .size:           8
        .value_kind:     global_buffer
      - .actual_access:  read_only
        .address_space:  global
        .offset:         32
        .size:           8
        .value_kind:     global_buffer
      - .actual_access:  read_only
        .address_space:  global
        .offset:         40
        .size:           8
        .value_kind:     global_buffer
      - .offset:         48
        .size:           8
        .value_kind:     by_value
      - .address_space:  global
        .offset:         56
        .size:           8
        .value_kind:     global_buffer
      - .offset:         64
        .size:           4
        .value_kind:     by_value
      - .offset:         68
        .size:           1
        .value_kind:     by_value
    .group_segment_fixed_size: 0
    .kernarg_segment_align: 8
    .kernarg_segment_size: 72
    .language:       OpenCL C
    .language_version:
      - 2
      - 0
    .max_flat_workgroup_size: 128
    .name:           _ZN9rocsparseL19gebsrmvn_3xn_kernelILj128ELj4ELj32EfEEvi20rocsparse_direction_NS_24const_host_device_scalarIT2_EEPKiS6_PKS3_S8_S4_PS3_21rocsparse_index_base_b
    .private_segment_fixed_size: 0
    .sgpr_count:     22
    .sgpr_spill_count: 0
    .symbol:         _ZN9rocsparseL19gebsrmvn_3xn_kernelILj128ELj4ELj32EfEEvi20rocsparse_direction_NS_24const_host_device_scalarIT2_EEPKiS6_PKS3_S8_S4_PS3_21rocsparse_index_base_b.kd
    .uniform_work_group_size: 1
    .uses_dynamic_stack: false
    .vgpr_count:     32
    .vgpr_spill_count: 0
    .wavefront_size: 32
    .workgroup_processor_mode: 1
  - .args:
      - .offset:         0
        .size:           4
        .value_kind:     by_value
      - .offset:         4
        .size:           4
        .value_kind:     by_value
      - .offset:         8
        .size:           8
        .value_kind:     by_value
      - .actual_access:  read_only
        .address_space:  global
        .offset:         16
        .size:           8
        .value_kind:     global_buffer
      - .actual_access:  read_only
        .address_space:  global
        .offset:         24
        .size:           8
        .value_kind:     global_buffer
      - .actual_access:  read_only
        .address_space:  global
        .offset:         32
        .size:           8
        .value_kind:     global_buffer
      - .actual_access:  read_only
        .address_space:  global
        .offset:         40
        .size:           8
        .value_kind:     global_buffer
      - .offset:         48
        .size:           8
        .value_kind:     by_value
      - .address_space:  global
        .offset:         56
        .size:           8
        .value_kind:     global_buffer
      - .offset:         64
        .size:           4
        .value_kind:     by_value
      - .offset:         68
        .size:           1
        .value_kind:     by_value
    .group_segment_fixed_size: 0
    .kernarg_segment_align: 8
    .kernarg_segment_size: 72
    .language:       OpenCL C
    .language_version:
      - 2
      - 0
    .max_flat_workgroup_size: 128
    .name:           _ZN9rocsparseL19gebsrmvn_3xn_kernelILj128ELj4ELj64EfEEvi20rocsparse_direction_NS_24const_host_device_scalarIT2_EEPKiS6_PKS3_S8_S4_PS3_21rocsparse_index_base_b
    .private_segment_fixed_size: 0
    .sgpr_count:     22
    .sgpr_spill_count: 0
    .symbol:         _ZN9rocsparseL19gebsrmvn_3xn_kernelILj128ELj4ELj64EfEEvi20rocsparse_direction_NS_24const_host_device_scalarIT2_EEPKiS6_PKS3_S8_S4_PS3_21rocsparse_index_base_b.kd
    .uniform_work_group_size: 1
    .uses_dynamic_stack: false
    .vgpr_count:     32
    .vgpr_spill_count: 0
    .wavefront_size: 32
    .workgroup_processor_mode: 1
  - .args:
      - .offset:         0
        .size:           4
        .value_kind:     by_value
      - .offset:         4
        .size:           4
        .value_kind:     by_value
      - .offset:         8
        .size:           8
        .value_kind:     by_value
      - .actual_access:  read_only
        .address_space:  global
        .offset:         16
        .size:           8
        .value_kind:     global_buffer
      - .actual_access:  read_only
        .address_space:  global
        .offset:         24
        .size:           8
        .value_kind:     global_buffer
      - .actual_access:  read_only
        .address_space:  global
        .offset:         32
        .size:           8
        .value_kind:     global_buffer
      - .actual_access:  read_only
        .address_space:  global
        .offset:         40
        .size:           8
        .value_kind:     global_buffer
      - .offset:         48
        .size:           8
        .value_kind:     by_value
      - .address_space:  global
        .offset:         56
        .size:           8
        .value_kind:     global_buffer
      - .offset:         64
        .size:           4
        .value_kind:     by_value
      - .offset:         68
        .size:           1
        .value_kind:     by_value
    .group_segment_fixed_size: 0
    .kernarg_segment_align: 8
    .kernarg_segment_size: 72
    .language:       OpenCL C
    .language_version:
      - 2
      - 0
    .max_flat_workgroup_size: 128
    .name:           _ZN9rocsparseL19gebsrmvn_3xn_kernelILj128ELj5ELj4EfEEvi20rocsparse_direction_NS_24const_host_device_scalarIT2_EEPKiS6_PKS3_S8_S4_PS3_21rocsparse_index_base_b
    .private_segment_fixed_size: 0
    .sgpr_count:     22
    .sgpr_spill_count: 0
    .symbol:         _ZN9rocsparseL19gebsrmvn_3xn_kernelILj128ELj5ELj4EfEEvi20rocsparse_direction_NS_24const_host_device_scalarIT2_EEPKiS6_PKS3_S8_S4_PS3_21rocsparse_index_base_b.kd
    .uniform_work_group_size: 1
    .uses_dynamic_stack: false
    .vgpr_count:     36
    .vgpr_spill_count: 0
    .wavefront_size: 32
    .workgroup_processor_mode: 1
  - .args:
      - .offset:         0
        .size:           4
        .value_kind:     by_value
      - .offset:         4
        .size:           4
        .value_kind:     by_value
      - .offset:         8
        .size:           8
        .value_kind:     by_value
      - .actual_access:  read_only
        .address_space:  global
        .offset:         16
        .size:           8
        .value_kind:     global_buffer
      - .actual_access:  read_only
        .address_space:  global
        .offset:         24
        .size:           8
        .value_kind:     global_buffer
      - .actual_access:  read_only
        .address_space:  global
        .offset:         32
        .size:           8
        .value_kind:     global_buffer
      - .actual_access:  read_only
        .address_space:  global
        .offset:         40
        .size:           8
        .value_kind:     global_buffer
      - .offset:         48
        .size:           8
        .value_kind:     by_value
      - .address_space:  global
        .offset:         56
        .size:           8
        .value_kind:     global_buffer
      - .offset:         64
        .size:           4
        .value_kind:     by_value
      - .offset:         68
        .size:           1
        .value_kind:     by_value
    .group_segment_fixed_size: 0
    .kernarg_segment_align: 8
    .kernarg_segment_size: 72
    .language:       OpenCL C
    .language_version:
      - 2
      - 0
    .max_flat_workgroup_size: 128
    .name:           _ZN9rocsparseL19gebsrmvn_3xn_kernelILj128ELj5ELj8EfEEvi20rocsparse_direction_NS_24const_host_device_scalarIT2_EEPKiS6_PKS3_S8_S4_PS3_21rocsparse_index_base_b
    .private_segment_fixed_size: 0
    .sgpr_count:     22
    .sgpr_spill_count: 0
    .symbol:         _ZN9rocsparseL19gebsrmvn_3xn_kernelILj128ELj5ELj8EfEEvi20rocsparse_direction_NS_24const_host_device_scalarIT2_EEPKiS6_PKS3_S8_S4_PS3_21rocsparse_index_base_b.kd
    .uniform_work_group_size: 1
    .uses_dynamic_stack: false
    .vgpr_count:     36
    .vgpr_spill_count: 0
    .wavefront_size: 32
    .workgroup_processor_mode: 1
  - .args:
      - .offset:         0
        .size:           4
        .value_kind:     by_value
      - .offset:         4
        .size:           4
        .value_kind:     by_value
      - .offset:         8
        .size:           8
        .value_kind:     by_value
      - .actual_access:  read_only
        .address_space:  global
        .offset:         16
        .size:           8
        .value_kind:     global_buffer
      - .actual_access:  read_only
        .address_space:  global
        .offset:         24
        .size:           8
        .value_kind:     global_buffer
      - .actual_access:  read_only
        .address_space:  global
        .offset:         32
        .size:           8
        .value_kind:     global_buffer
      - .actual_access:  read_only
        .address_space:  global
        .offset:         40
        .size:           8
        .value_kind:     global_buffer
      - .offset:         48
        .size:           8
        .value_kind:     by_value
      - .address_space:  global
        .offset:         56
        .size:           8
        .value_kind:     global_buffer
      - .offset:         64
        .size:           4
        .value_kind:     by_value
      - .offset:         68
        .size:           1
        .value_kind:     by_value
    .group_segment_fixed_size: 0
    .kernarg_segment_align: 8
    .kernarg_segment_size: 72
    .language:       OpenCL C
    .language_version:
      - 2
      - 0
    .max_flat_workgroup_size: 128
    .name:           _ZN9rocsparseL19gebsrmvn_3xn_kernelILj128ELj5ELj16EfEEvi20rocsparse_direction_NS_24const_host_device_scalarIT2_EEPKiS6_PKS3_S8_S4_PS3_21rocsparse_index_base_b
    .private_segment_fixed_size: 0
    .sgpr_count:     22
    .sgpr_spill_count: 0
    .symbol:         _ZN9rocsparseL19gebsrmvn_3xn_kernelILj128ELj5ELj16EfEEvi20rocsparse_direction_NS_24const_host_device_scalarIT2_EEPKiS6_PKS3_S8_S4_PS3_21rocsparse_index_base_b.kd
    .uniform_work_group_size: 1
    .uses_dynamic_stack: false
    .vgpr_count:     36
    .vgpr_spill_count: 0
    .wavefront_size: 32
    .workgroup_processor_mode: 1
  - .args:
      - .offset:         0
        .size:           4
        .value_kind:     by_value
      - .offset:         4
        .size:           4
        .value_kind:     by_value
      - .offset:         8
        .size:           8
        .value_kind:     by_value
      - .actual_access:  read_only
        .address_space:  global
        .offset:         16
        .size:           8
        .value_kind:     global_buffer
      - .actual_access:  read_only
        .address_space:  global
        .offset:         24
        .size:           8
        .value_kind:     global_buffer
      - .actual_access:  read_only
        .address_space:  global
        .offset:         32
        .size:           8
        .value_kind:     global_buffer
      - .actual_access:  read_only
        .address_space:  global
        .offset:         40
        .size:           8
        .value_kind:     global_buffer
      - .offset:         48
        .size:           8
        .value_kind:     by_value
      - .address_space:  global
        .offset:         56
        .size:           8
        .value_kind:     global_buffer
      - .offset:         64
        .size:           4
        .value_kind:     by_value
      - .offset:         68
        .size:           1
        .value_kind:     by_value
    .group_segment_fixed_size: 0
    .kernarg_segment_align: 8
    .kernarg_segment_size: 72
    .language:       OpenCL C
    .language_version:
      - 2
      - 0
    .max_flat_workgroup_size: 128
    .name:           _ZN9rocsparseL19gebsrmvn_3xn_kernelILj128ELj5ELj32EfEEvi20rocsparse_direction_NS_24const_host_device_scalarIT2_EEPKiS6_PKS3_S8_S4_PS3_21rocsparse_index_base_b
    .private_segment_fixed_size: 0
    .sgpr_count:     22
    .sgpr_spill_count: 0
    .symbol:         _ZN9rocsparseL19gebsrmvn_3xn_kernelILj128ELj5ELj32EfEEvi20rocsparse_direction_NS_24const_host_device_scalarIT2_EEPKiS6_PKS3_S8_S4_PS3_21rocsparse_index_base_b.kd
    .uniform_work_group_size: 1
    .uses_dynamic_stack: false
    .vgpr_count:     36
    .vgpr_spill_count: 0
    .wavefront_size: 32
    .workgroup_processor_mode: 1
  - .args:
      - .offset:         0
        .size:           4
        .value_kind:     by_value
      - .offset:         4
        .size:           4
        .value_kind:     by_value
      - .offset:         8
        .size:           8
        .value_kind:     by_value
      - .actual_access:  read_only
        .address_space:  global
        .offset:         16
        .size:           8
        .value_kind:     global_buffer
      - .actual_access:  read_only
        .address_space:  global
        .offset:         24
        .size:           8
        .value_kind:     global_buffer
      - .actual_access:  read_only
        .address_space:  global
        .offset:         32
        .size:           8
        .value_kind:     global_buffer
      - .actual_access:  read_only
        .address_space:  global
        .offset:         40
        .size:           8
        .value_kind:     global_buffer
      - .offset:         48
        .size:           8
        .value_kind:     by_value
      - .address_space:  global
        .offset:         56
        .size:           8
        .value_kind:     global_buffer
      - .offset:         64
        .size:           4
        .value_kind:     by_value
      - .offset:         68
        .size:           1
        .value_kind:     by_value
    .group_segment_fixed_size: 0
    .kernarg_segment_align: 8
    .kernarg_segment_size: 72
    .language:       OpenCL C
    .language_version:
      - 2
      - 0
    .max_flat_workgroup_size: 128
    .name:           _ZN9rocsparseL19gebsrmvn_3xn_kernelILj128ELj5ELj64EfEEvi20rocsparse_direction_NS_24const_host_device_scalarIT2_EEPKiS6_PKS3_S8_S4_PS3_21rocsparse_index_base_b
    .private_segment_fixed_size: 0
    .sgpr_count:     22
    .sgpr_spill_count: 0
    .symbol:         _ZN9rocsparseL19gebsrmvn_3xn_kernelILj128ELj5ELj64EfEEvi20rocsparse_direction_NS_24const_host_device_scalarIT2_EEPKiS6_PKS3_S8_S4_PS3_21rocsparse_index_base_b.kd
    .uniform_work_group_size: 1
    .uses_dynamic_stack: false
    .vgpr_count:     36
    .vgpr_spill_count: 0
    .wavefront_size: 32
    .workgroup_processor_mode: 1
  - .args:
      - .offset:         0
        .size:           4
        .value_kind:     by_value
      - .offset:         4
        .size:           4
        .value_kind:     by_value
      - .offset:         8
        .size:           8
        .value_kind:     by_value
      - .actual_access:  read_only
        .address_space:  global
        .offset:         16
        .size:           8
        .value_kind:     global_buffer
      - .actual_access:  read_only
        .address_space:  global
        .offset:         24
        .size:           8
        .value_kind:     global_buffer
      - .actual_access:  read_only
        .address_space:  global
        .offset:         32
        .size:           8
        .value_kind:     global_buffer
      - .actual_access:  read_only
        .address_space:  global
        .offset:         40
        .size:           8
        .value_kind:     global_buffer
      - .offset:         48
        .size:           8
        .value_kind:     by_value
      - .address_space:  global
        .offset:         56
        .size:           8
        .value_kind:     global_buffer
      - .offset:         64
        .size:           4
        .value_kind:     by_value
      - .offset:         68
        .size:           1
        .value_kind:     by_value
    .group_segment_fixed_size: 0
    .kernarg_segment_align: 8
    .kernarg_segment_size: 72
    .language:       OpenCL C
    .language_version:
      - 2
      - 0
    .max_flat_workgroup_size: 128
    .name:           _ZN9rocsparseL19gebsrmvn_3xn_kernelILj128ELj6ELj4EfEEvi20rocsparse_direction_NS_24const_host_device_scalarIT2_EEPKiS6_PKS3_S8_S4_PS3_21rocsparse_index_base_b
    .private_segment_fixed_size: 0
    .sgpr_count:     22
    .sgpr_spill_count: 0
    .symbol:         _ZN9rocsparseL19gebsrmvn_3xn_kernelILj128ELj6ELj4EfEEvi20rocsparse_direction_NS_24const_host_device_scalarIT2_EEPKiS6_PKS3_S8_S4_PS3_21rocsparse_index_base_b.kd
    .uniform_work_group_size: 1
    .uses_dynamic_stack: false
    .vgpr_count:     39
    .vgpr_spill_count: 0
    .wavefront_size: 32
    .workgroup_processor_mode: 1
  - .args:
      - .offset:         0
        .size:           4
        .value_kind:     by_value
      - .offset:         4
        .size:           4
        .value_kind:     by_value
      - .offset:         8
        .size:           8
        .value_kind:     by_value
      - .actual_access:  read_only
        .address_space:  global
        .offset:         16
        .size:           8
        .value_kind:     global_buffer
      - .actual_access:  read_only
        .address_space:  global
        .offset:         24
        .size:           8
        .value_kind:     global_buffer
      - .actual_access:  read_only
        .address_space:  global
        .offset:         32
        .size:           8
        .value_kind:     global_buffer
      - .actual_access:  read_only
        .address_space:  global
        .offset:         40
        .size:           8
        .value_kind:     global_buffer
      - .offset:         48
        .size:           8
        .value_kind:     by_value
      - .address_space:  global
        .offset:         56
        .size:           8
        .value_kind:     global_buffer
      - .offset:         64
        .size:           4
        .value_kind:     by_value
      - .offset:         68
        .size:           1
        .value_kind:     by_value
    .group_segment_fixed_size: 0
    .kernarg_segment_align: 8
    .kernarg_segment_size: 72
    .language:       OpenCL C
    .language_version:
      - 2
      - 0
    .max_flat_workgroup_size: 128
    .name:           _ZN9rocsparseL19gebsrmvn_3xn_kernelILj128ELj6ELj8EfEEvi20rocsparse_direction_NS_24const_host_device_scalarIT2_EEPKiS6_PKS3_S8_S4_PS3_21rocsparse_index_base_b
    .private_segment_fixed_size: 0
    .sgpr_count:     22
    .sgpr_spill_count: 0
    .symbol:         _ZN9rocsparseL19gebsrmvn_3xn_kernelILj128ELj6ELj8EfEEvi20rocsparse_direction_NS_24const_host_device_scalarIT2_EEPKiS6_PKS3_S8_S4_PS3_21rocsparse_index_base_b.kd
    .uniform_work_group_size: 1
    .uses_dynamic_stack: false
    .vgpr_count:     39
    .vgpr_spill_count: 0
    .wavefront_size: 32
    .workgroup_processor_mode: 1
  - .args:
      - .offset:         0
        .size:           4
        .value_kind:     by_value
      - .offset:         4
        .size:           4
        .value_kind:     by_value
      - .offset:         8
        .size:           8
        .value_kind:     by_value
      - .actual_access:  read_only
        .address_space:  global
        .offset:         16
        .size:           8
        .value_kind:     global_buffer
      - .actual_access:  read_only
        .address_space:  global
        .offset:         24
        .size:           8
        .value_kind:     global_buffer
      - .actual_access:  read_only
        .address_space:  global
        .offset:         32
        .size:           8
        .value_kind:     global_buffer
      - .actual_access:  read_only
        .address_space:  global
        .offset:         40
        .size:           8
        .value_kind:     global_buffer
      - .offset:         48
        .size:           8
        .value_kind:     by_value
      - .address_space:  global
        .offset:         56
        .size:           8
        .value_kind:     global_buffer
      - .offset:         64
        .size:           4
        .value_kind:     by_value
      - .offset:         68
        .size:           1
        .value_kind:     by_value
    .group_segment_fixed_size: 0
    .kernarg_segment_align: 8
    .kernarg_segment_size: 72
    .language:       OpenCL C
    .language_version:
      - 2
      - 0
    .max_flat_workgroup_size: 128
    .name:           _ZN9rocsparseL19gebsrmvn_3xn_kernelILj128ELj6ELj16EfEEvi20rocsparse_direction_NS_24const_host_device_scalarIT2_EEPKiS6_PKS3_S8_S4_PS3_21rocsparse_index_base_b
    .private_segment_fixed_size: 0
    .sgpr_count:     22
    .sgpr_spill_count: 0
    .symbol:         _ZN9rocsparseL19gebsrmvn_3xn_kernelILj128ELj6ELj16EfEEvi20rocsparse_direction_NS_24const_host_device_scalarIT2_EEPKiS6_PKS3_S8_S4_PS3_21rocsparse_index_base_b.kd
    .uniform_work_group_size: 1
    .uses_dynamic_stack: false
    .vgpr_count:     39
    .vgpr_spill_count: 0
    .wavefront_size: 32
    .workgroup_processor_mode: 1
  - .args:
      - .offset:         0
        .size:           4
        .value_kind:     by_value
      - .offset:         4
        .size:           4
        .value_kind:     by_value
      - .offset:         8
        .size:           8
        .value_kind:     by_value
      - .actual_access:  read_only
        .address_space:  global
        .offset:         16
        .size:           8
        .value_kind:     global_buffer
      - .actual_access:  read_only
        .address_space:  global
        .offset:         24
        .size:           8
        .value_kind:     global_buffer
      - .actual_access:  read_only
        .address_space:  global
        .offset:         32
        .size:           8
        .value_kind:     global_buffer
      - .actual_access:  read_only
        .address_space:  global
        .offset:         40
        .size:           8
        .value_kind:     global_buffer
      - .offset:         48
        .size:           8
        .value_kind:     by_value
      - .address_space:  global
        .offset:         56
        .size:           8
        .value_kind:     global_buffer
      - .offset:         64
        .size:           4
        .value_kind:     by_value
      - .offset:         68
        .size:           1
        .value_kind:     by_value
    .group_segment_fixed_size: 0
    .kernarg_segment_align: 8
    .kernarg_segment_size: 72
    .language:       OpenCL C
    .language_version:
      - 2
      - 0
    .max_flat_workgroup_size: 128
    .name:           _ZN9rocsparseL19gebsrmvn_3xn_kernelILj128ELj6ELj32EfEEvi20rocsparse_direction_NS_24const_host_device_scalarIT2_EEPKiS6_PKS3_S8_S4_PS3_21rocsparse_index_base_b
    .private_segment_fixed_size: 0
    .sgpr_count:     22
    .sgpr_spill_count: 0
    .symbol:         _ZN9rocsparseL19gebsrmvn_3xn_kernelILj128ELj6ELj32EfEEvi20rocsparse_direction_NS_24const_host_device_scalarIT2_EEPKiS6_PKS3_S8_S4_PS3_21rocsparse_index_base_b.kd
    .uniform_work_group_size: 1
    .uses_dynamic_stack: false
    .vgpr_count:     39
    .vgpr_spill_count: 0
    .wavefront_size: 32
    .workgroup_processor_mode: 1
  - .args:
      - .offset:         0
        .size:           4
        .value_kind:     by_value
      - .offset:         4
        .size:           4
        .value_kind:     by_value
      - .offset:         8
        .size:           8
        .value_kind:     by_value
      - .actual_access:  read_only
        .address_space:  global
        .offset:         16
        .size:           8
        .value_kind:     global_buffer
      - .actual_access:  read_only
        .address_space:  global
        .offset:         24
        .size:           8
        .value_kind:     global_buffer
      - .actual_access:  read_only
        .address_space:  global
        .offset:         32
        .size:           8
        .value_kind:     global_buffer
      - .actual_access:  read_only
        .address_space:  global
        .offset:         40
        .size:           8
        .value_kind:     global_buffer
      - .offset:         48
        .size:           8
        .value_kind:     by_value
      - .address_space:  global
        .offset:         56
        .size:           8
        .value_kind:     global_buffer
      - .offset:         64
        .size:           4
        .value_kind:     by_value
      - .offset:         68
        .size:           1
        .value_kind:     by_value
    .group_segment_fixed_size: 0
    .kernarg_segment_align: 8
    .kernarg_segment_size: 72
    .language:       OpenCL C
    .language_version:
      - 2
      - 0
    .max_flat_workgroup_size: 128
    .name:           _ZN9rocsparseL19gebsrmvn_3xn_kernelILj128ELj6ELj64EfEEvi20rocsparse_direction_NS_24const_host_device_scalarIT2_EEPKiS6_PKS3_S8_S4_PS3_21rocsparse_index_base_b
    .private_segment_fixed_size: 0
    .sgpr_count:     22
    .sgpr_spill_count: 0
    .symbol:         _ZN9rocsparseL19gebsrmvn_3xn_kernelILj128ELj6ELj64EfEEvi20rocsparse_direction_NS_24const_host_device_scalarIT2_EEPKiS6_PKS3_S8_S4_PS3_21rocsparse_index_base_b.kd
    .uniform_work_group_size: 1
    .uses_dynamic_stack: false
    .vgpr_count:     39
    .vgpr_spill_count: 0
    .wavefront_size: 32
    .workgroup_processor_mode: 1
  - .args:
      - .offset:         0
        .size:           4
        .value_kind:     by_value
      - .offset:         4
        .size:           4
        .value_kind:     by_value
      - .offset:         8
        .size:           8
        .value_kind:     by_value
      - .actual_access:  read_only
        .address_space:  global
        .offset:         16
        .size:           8
        .value_kind:     global_buffer
      - .actual_access:  read_only
        .address_space:  global
        .offset:         24
        .size:           8
        .value_kind:     global_buffer
      - .actual_access:  read_only
        .address_space:  global
        .offset:         32
        .size:           8
        .value_kind:     global_buffer
      - .actual_access:  read_only
        .address_space:  global
        .offset:         40
        .size:           8
        .value_kind:     global_buffer
      - .offset:         48
        .size:           8
        .value_kind:     by_value
      - .address_space:  global
        .offset:         56
        .size:           8
        .value_kind:     global_buffer
      - .offset:         64
        .size:           4
        .value_kind:     by_value
      - .offset:         68
        .size:           1
        .value_kind:     by_value
    .group_segment_fixed_size: 0
    .kernarg_segment_align: 8
    .kernarg_segment_size: 72
    .language:       OpenCL C
    .language_version:
      - 2
      - 0
    .max_flat_workgroup_size: 128
    .name:           _ZN9rocsparseL19gebsrmvn_3xn_kernelILj128ELj7ELj4EfEEvi20rocsparse_direction_NS_24const_host_device_scalarIT2_EEPKiS6_PKS3_S8_S4_PS3_21rocsparse_index_base_b
    .private_segment_fixed_size: 0
    .sgpr_count:     22
    .sgpr_spill_count: 0
    .symbol:         _ZN9rocsparseL19gebsrmvn_3xn_kernelILj128ELj7ELj4EfEEvi20rocsparse_direction_NS_24const_host_device_scalarIT2_EEPKiS6_PKS3_S8_S4_PS3_21rocsparse_index_base_b.kd
    .uniform_work_group_size: 1
    .uses_dynamic_stack: false
    .vgpr_count:     44
    .vgpr_spill_count: 0
    .wavefront_size: 32
    .workgroup_processor_mode: 1
  - .args:
      - .offset:         0
        .size:           4
        .value_kind:     by_value
      - .offset:         4
        .size:           4
        .value_kind:     by_value
      - .offset:         8
        .size:           8
        .value_kind:     by_value
      - .actual_access:  read_only
        .address_space:  global
        .offset:         16
        .size:           8
        .value_kind:     global_buffer
      - .actual_access:  read_only
        .address_space:  global
        .offset:         24
        .size:           8
        .value_kind:     global_buffer
      - .actual_access:  read_only
        .address_space:  global
        .offset:         32
        .size:           8
        .value_kind:     global_buffer
      - .actual_access:  read_only
        .address_space:  global
        .offset:         40
        .size:           8
        .value_kind:     global_buffer
      - .offset:         48
        .size:           8
        .value_kind:     by_value
      - .address_space:  global
        .offset:         56
        .size:           8
        .value_kind:     global_buffer
      - .offset:         64
        .size:           4
        .value_kind:     by_value
      - .offset:         68
        .size:           1
        .value_kind:     by_value
    .group_segment_fixed_size: 0
    .kernarg_segment_align: 8
    .kernarg_segment_size: 72
    .language:       OpenCL C
    .language_version:
      - 2
      - 0
    .max_flat_workgroup_size: 128
    .name:           _ZN9rocsparseL19gebsrmvn_3xn_kernelILj128ELj7ELj8EfEEvi20rocsparse_direction_NS_24const_host_device_scalarIT2_EEPKiS6_PKS3_S8_S4_PS3_21rocsparse_index_base_b
    .private_segment_fixed_size: 0
    .sgpr_count:     22
    .sgpr_spill_count: 0
    .symbol:         _ZN9rocsparseL19gebsrmvn_3xn_kernelILj128ELj7ELj8EfEEvi20rocsparse_direction_NS_24const_host_device_scalarIT2_EEPKiS6_PKS3_S8_S4_PS3_21rocsparse_index_base_b.kd
    .uniform_work_group_size: 1
    .uses_dynamic_stack: false
    .vgpr_count:     44
    .vgpr_spill_count: 0
    .wavefront_size: 32
    .workgroup_processor_mode: 1
  - .args:
      - .offset:         0
        .size:           4
        .value_kind:     by_value
      - .offset:         4
        .size:           4
        .value_kind:     by_value
      - .offset:         8
        .size:           8
        .value_kind:     by_value
      - .actual_access:  read_only
        .address_space:  global
        .offset:         16
        .size:           8
        .value_kind:     global_buffer
      - .actual_access:  read_only
        .address_space:  global
        .offset:         24
        .size:           8
        .value_kind:     global_buffer
      - .actual_access:  read_only
        .address_space:  global
        .offset:         32
        .size:           8
        .value_kind:     global_buffer
      - .actual_access:  read_only
        .address_space:  global
        .offset:         40
        .size:           8
        .value_kind:     global_buffer
      - .offset:         48
        .size:           8
        .value_kind:     by_value
      - .address_space:  global
        .offset:         56
        .size:           8
        .value_kind:     global_buffer
      - .offset:         64
        .size:           4
        .value_kind:     by_value
      - .offset:         68
        .size:           1
        .value_kind:     by_value
    .group_segment_fixed_size: 0
    .kernarg_segment_align: 8
    .kernarg_segment_size: 72
    .language:       OpenCL C
    .language_version:
      - 2
      - 0
    .max_flat_workgroup_size: 128
    .name:           _ZN9rocsparseL19gebsrmvn_3xn_kernelILj128ELj7ELj16EfEEvi20rocsparse_direction_NS_24const_host_device_scalarIT2_EEPKiS6_PKS3_S8_S4_PS3_21rocsparse_index_base_b
    .private_segment_fixed_size: 0
    .sgpr_count:     22
    .sgpr_spill_count: 0
    .symbol:         _ZN9rocsparseL19gebsrmvn_3xn_kernelILj128ELj7ELj16EfEEvi20rocsparse_direction_NS_24const_host_device_scalarIT2_EEPKiS6_PKS3_S8_S4_PS3_21rocsparse_index_base_b.kd
    .uniform_work_group_size: 1
    .uses_dynamic_stack: false
    .vgpr_count:     44
    .vgpr_spill_count: 0
    .wavefront_size: 32
    .workgroup_processor_mode: 1
  - .args:
      - .offset:         0
        .size:           4
        .value_kind:     by_value
      - .offset:         4
        .size:           4
        .value_kind:     by_value
      - .offset:         8
        .size:           8
        .value_kind:     by_value
      - .actual_access:  read_only
        .address_space:  global
        .offset:         16
        .size:           8
        .value_kind:     global_buffer
      - .actual_access:  read_only
        .address_space:  global
        .offset:         24
        .size:           8
        .value_kind:     global_buffer
      - .actual_access:  read_only
        .address_space:  global
        .offset:         32
        .size:           8
        .value_kind:     global_buffer
      - .actual_access:  read_only
        .address_space:  global
        .offset:         40
        .size:           8
        .value_kind:     global_buffer
      - .offset:         48
        .size:           8
        .value_kind:     by_value
      - .address_space:  global
        .offset:         56
        .size:           8
        .value_kind:     global_buffer
      - .offset:         64
        .size:           4
        .value_kind:     by_value
      - .offset:         68
        .size:           1
        .value_kind:     by_value
    .group_segment_fixed_size: 0
    .kernarg_segment_align: 8
    .kernarg_segment_size: 72
    .language:       OpenCL C
    .language_version:
      - 2
      - 0
    .max_flat_workgroup_size: 128
    .name:           _ZN9rocsparseL19gebsrmvn_3xn_kernelILj128ELj7ELj32EfEEvi20rocsparse_direction_NS_24const_host_device_scalarIT2_EEPKiS6_PKS3_S8_S4_PS3_21rocsparse_index_base_b
    .private_segment_fixed_size: 0
    .sgpr_count:     22
    .sgpr_spill_count: 0
    .symbol:         _ZN9rocsparseL19gebsrmvn_3xn_kernelILj128ELj7ELj32EfEEvi20rocsparse_direction_NS_24const_host_device_scalarIT2_EEPKiS6_PKS3_S8_S4_PS3_21rocsparse_index_base_b.kd
    .uniform_work_group_size: 1
    .uses_dynamic_stack: false
    .vgpr_count:     44
    .vgpr_spill_count: 0
    .wavefront_size: 32
    .workgroup_processor_mode: 1
  - .args:
      - .offset:         0
        .size:           4
        .value_kind:     by_value
      - .offset:         4
        .size:           4
        .value_kind:     by_value
      - .offset:         8
        .size:           8
        .value_kind:     by_value
      - .actual_access:  read_only
        .address_space:  global
        .offset:         16
        .size:           8
        .value_kind:     global_buffer
      - .actual_access:  read_only
        .address_space:  global
        .offset:         24
        .size:           8
        .value_kind:     global_buffer
      - .actual_access:  read_only
        .address_space:  global
        .offset:         32
        .size:           8
        .value_kind:     global_buffer
      - .actual_access:  read_only
        .address_space:  global
        .offset:         40
        .size:           8
        .value_kind:     global_buffer
      - .offset:         48
        .size:           8
        .value_kind:     by_value
      - .address_space:  global
        .offset:         56
        .size:           8
        .value_kind:     global_buffer
      - .offset:         64
        .size:           4
        .value_kind:     by_value
      - .offset:         68
        .size:           1
        .value_kind:     by_value
    .group_segment_fixed_size: 0
    .kernarg_segment_align: 8
    .kernarg_segment_size: 72
    .language:       OpenCL C
    .language_version:
      - 2
      - 0
    .max_flat_workgroup_size: 128
    .name:           _ZN9rocsparseL19gebsrmvn_3xn_kernelILj128ELj7ELj64EfEEvi20rocsparse_direction_NS_24const_host_device_scalarIT2_EEPKiS6_PKS3_S8_S4_PS3_21rocsparse_index_base_b
    .private_segment_fixed_size: 0
    .sgpr_count:     22
    .sgpr_spill_count: 0
    .symbol:         _ZN9rocsparseL19gebsrmvn_3xn_kernelILj128ELj7ELj64EfEEvi20rocsparse_direction_NS_24const_host_device_scalarIT2_EEPKiS6_PKS3_S8_S4_PS3_21rocsparse_index_base_b.kd
    .uniform_work_group_size: 1
    .uses_dynamic_stack: false
    .vgpr_count:     44
    .vgpr_spill_count: 0
    .wavefront_size: 32
    .workgroup_processor_mode: 1
  - .args:
      - .offset:         0
        .size:           4
        .value_kind:     by_value
      - .offset:         4
        .size:           4
        .value_kind:     by_value
      - .offset:         8
        .size:           8
        .value_kind:     by_value
      - .actual_access:  read_only
        .address_space:  global
        .offset:         16
        .size:           8
        .value_kind:     global_buffer
      - .actual_access:  read_only
        .address_space:  global
        .offset:         24
        .size:           8
        .value_kind:     global_buffer
      - .actual_access:  read_only
        .address_space:  global
        .offset:         32
        .size:           8
        .value_kind:     global_buffer
      - .actual_access:  read_only
        .address_space:  global
        .offset:         40
        .size:           8
        .value_kind:     global_buffer
      - .offset:         48
        .size:           8
        .value_kind:     by_value
      - .address_space:  global
        .offset:         56
        .size:           8
        .value_kind:     global_buffer
      - .offset:         64
        .size:           4
        .value_kind:     by_value
      - .offset:         68
        .size:           1
        .value_kind:     by_value
    .group_segment_fixed_size: 0
    .kernarg_segment_align: 8
    .kernarg_segment_size: 72
    .language:       OpenCL C
    .language_version:
      - 2
      - 0
    .max_flat_workgroup_size: 128
    .name:           _ZN9rocsparseL19gebsrmvn_3xn_kernelILj128ELj8ELj4EfEEvi20rocsparse_direction_NS_24const_host_device_scalarIT2_EEPKiS6_PKS3_S8_S4_PS3_21rocsparse_index_base_b
    .private_segment_fixed_size: 0
    .sgpr_count:     22
    .sgpr_spill_count: 0
    .symbol:         _ZN9rocsparseL19gebsrmvn_3xn_kernelILj128ELj8ELj4EfEEvi20rocsparse_direction_NS_24const_host_device_scalarIT2_EEPKiS6_PKS3_S8_S4_PS3_21rocsparse_index_base_b.kd
    .uniform_work_group_size: 1
    .uses_dynamic_stack: false
    .vgpr_count:     48
    .vgpr_spill_count: 0
    .wavefront_size: 32
    .workgroup_processor_mode: 1
  - .args:
      - .offset:         0
        .size:           4
        .value_kind:     by_value
      - .offset:         4
        .size:           4
        .value_kind:     by_value
      - .offset:         8
        .size:           8
        .value_kind:     by_value
      - .actual_access:  read_only
        .address_space:  global
        .offset:         16
        .size:           8
        .value_kind:     global_buffer
      - .actual_access:  read_only
        .address_space:  global
        .offset:         24
        .size:           8
        .value_kind:     global_buffer
      - .actual_access:  read_only
        .address_space:  global
        .offset:         32
        .size:           8
        .value_kind:     global_buffer
      - .actual_access:  read_only
        .address_space:  global
        .offset:         40
        .size:           8
        .value_kind:     global_buffer
      - .offset:         48
        .size:           8
        .value_kind:     by_value
      - .address_space:  global
        .offset:         56
        .size:           8
        .value_kind:     global_buffer
      - .offset:         64
        .size:           4
        .value_kind:     by_value
      - .offset:         68
        .size:           1
        .value_kind:     by_value
    .group_segment_fixed_size: 0
    .kernarg_segment_align: 8
    .kernarg_segment_size: 72
    .language:       OpenCL C
    .language_version:
      - 2
      - 0
    .max_flat_workgroup_size: 128
    .name:           _ZN9rocsparseL19gebsrmvn_3xn_kernelILj128ELj8ELj8EfEEvi20rocsparse_direction_NS_24const_host_device_scalarIT2_EEPKiS6_PKS3_S8_S4_PS3_21rocsparse_index_base_b
    .private_segment_fixed_size: 0
    .sgpr_count:     22
    .sgpr_spill_count: 0
    .symbol:         _ZN9rocsparseL19gebsrmvn_3xn_kernelILj128ELj8ELj8EfEEvi20rocsparse_direction_NS_24const_host_device_scalarIT2_EEPKiS6_PKS3_S8_S4_PS3_21rocsparse_index_base_b.kd
    .uniform_work_group_size: 1
    .uses_dynamic_stack: false
    .vgpr_count:     48
    .vgpr_spill_count: 0
    .wavefront_size: 32
    .workgroup_processor_mode: 1
  - .args:
      - .offset:         0
        .size:           4
        .value_kind:     by_value
      - .offset:         4
        .size:           4
        .value_kind:     by_value
      - .offset:         8
        .size:           8
        .value_kind:     by_value
      - .actual_access:  read_only
        .address_space:  global
        .offset:         16
        .size:           8
        .value_kind:     global_buffer
      - .actual_access:  read_only
        .address_space:  global
        .offset:         24
        .size:           8
        .value_kind:     global_buffer
      - .actual_access:  read_only
        .address_space:  global
        .offset:         32
        .size:           8
        .value_kind:     global_buffer
      - .actual_access:  read_only
        .address_space:  global
        .offset:         40
        .size:           8
        .value_kind:     global_buffer
      - .offset:         48
        .size:           8
        .value_kind:     by_value
      - .address_space:  global
        .offset:         56
        .size:           8
        .value_kind:     global_buffer
      - .offset:         64
        .size:           4
        .value_kind:     by_value
      - .offset:         68
        .size:           1
        .value_kind:     by_value
    .group_segment_fixed_size: 0
    .kernarg_segment_align: 8
    .kernarg_segment_size: 72
    .language:       OpenCL C
    .language_version:
      - 2
      - 0
    .max_flat_workgroup_size: 128
    .name:           _ZN9rocsparseL19gebsrmvn_3xn_kernelILj128ELj8ELj16EfEEvi20rocsparse_direction_NS_24const_host_device_scalarIT2_EEPKiS6_PKS3_S8_S4_PS3_21rocsparse_index_base_b
    .private_segment_fixed_size: 0
    .sgpr_count:     22
    .sgpr_spill_count: 0
    .symbol:         _ZN9rocsparseL19gebsrmvn_3xn_kernelILj128ELj8ELj16EfEEvi20rocsparse_direction_NS_24const_host_device_scalarIT2_EEPKiS6_PKS3_S8_S4_PS3_21rocsparse_index_base_b.kd
    .uniform_work_group_size: 1
    .uses_dynamic_stack: false
    .vgpr_count:     48
    .vgpr_spill_count: 0
    .wavefront_size: 32
    .workgroup_processor_mode: 1
  - .args:
      - .offset:         0
        .size:           4
        .value_kind:     by_value
      - .offset:         4
        .size:           4
        .value_kind:     by_value
      - .offset:         8
        .size:           8
        .value_kind:     by_value
      - .actual_access:  read_only
        .address_space:  global
        .offset:         16
        .size:           8
        .value_kind:     global_buffer
      - .actual_access:  read_only
        .address_space:  global
        .offset:         24
        .size:           8
        .value_kind:     global_buffer
      - .actual_access:  read_only
        .address_space:  global
        .offset:         32
        .size:           8
        .value_kind:     global_buffer
      - .actual_access:  read_only
        .address_space:  global
        .offset:         40
        .size:           8
        .value_kind:     global_buffer
      - .offset:         48
        .size:           8
        .value_kind:     by_value
      - .address_space:  global
        .offset:         56
        .size:           8
        .value_kind:     global_buffer
      - .offset:         64
        .size:           4
        .value_kind:     by_value
      - .offset:         68
        .size:           1
        .value_kind:     by_value
    .group_segment_fixed_size: 0
    .kernarg_segment_align: 8
    .kernarg_segment_size: 72
    .language:       OpenCL C
    .language_version:
      - 2
      - 0
    .max_flat_workgroup_size: 128
    .name:           _ZN9rocsparseL19gebsrmvn_3xn_kernelILj128ELj8ELj32EfEEvi20rocsparse_direction_NS_24const_host_device_scalarIT2_EEPKiS6_PKS3_S8_S4_PS3_21rocsparse_index_base_b
    .private_segment_fixed_size: 0
    .sgpr_count:     22
    .sgpr_spill_count: 0
    .symbol:         _ZN9rocsparseL19gebsrmvn_3xn_kernelILj128ELj8ELj32EfEEvi20rocsparse_direction_NS_24const_host_device_scalarIT2_EEPKiS6_PKS3_S8_S4_PS3_21rocsparse_index_base_b.kd
    .uniform_work_group_size: 1
    .uses_dynamic_stack: false
    .vgpr_count:     48
    .vgpr_spill_count: 0
    .wavefront_size: 32
    .workgroup_processor_mode: 1
  - .args:
      - .offset:         0
        .size:           4
        .value_kind:     by_value
      - .offset:         4
        .size:           4
        .value_kind:     by_value
      - .offset:         8
        .size:           8
        .value_kind:     by_value
      - .actual_access:  read_only
        .address_space:  global
        .offset:         16
        .size:           8
        .value_kind:     global_buffer
      - .actual_access:  read_only
        .address_space:  global
        .offset:         24
        .size:           8
        .value_kind:     global_buffer
      - .actual_access:  read_only
        .address_space:  global
        .offset:         32
        .size:           8
        .value_kind:     global_buffer
      - .actual_access:  read_only
        .address_space:  global
        .offset:         40
        .size:           8
        .value_kind:     global_buffer
      - .offset:         48
        .size:           8
        .value_kind:     by_value
      - .address_space:  global
        .offset:         56
        .size:           8
        .value_kind:     global_buffer
      - .offset:         64
        .size:           4
        .value_kind:     by_value
      - .offset:         68
        .size:           1
        .value_kind:     by_value
    .group_segment_fixed_size: 0
    .kernarg_segment_align: 8
    .kernarg_segment_size: 72
    .language:       OpenCL C
    .language_version:
      - 2
      - 0
    .max_flat_workgroup_size: 128
    .name:           _ZN9rocsparseL19gebsrmvn_3xn_kernelILj128ELj8ELj64EfEEvi20rocsparse_direction_NS_24const_host_device_scalarIT2_EEPKiS6_PKS3_S8_S4_PS3_21rocsparse_index_base_b
    .private_segment_fixed_size: 0
    .sgpr_count:     22
    .sgpr_spill_count: 0
    .symbol:         _ZN9rocsparseL19gebsrmvn_3xn_kernelILj128ELj8ELj64EfEEvi20rocsparse_direction_NS_24const_host_device_scalarIT2_EEPKiS6_PKS3_S8_S4_PS3_21rocsparse_index_base_b.kd
    .uniform_work_group_size: 1
    .uses_dynamic_stack: false
    .vgpr_count:     48
    .vgpr_spill_count: 0
    .wavefront_size: 32
    .workgroup_processor_mode: 1
  - .args:
      - .offset:         0
        .size:           4
        .value_kind:     by_value
      - .offset:         4
        .size:           4
        .value_kind:     by_value
      - .offset:         8
        .size:           8
        .value_kind:     by_value
      - .actual_access:  read_only
        .address_space:  global
        .offset:         16
        .size:           8
        .value_kind:     global_buffer
      - .actual_access:  read_only
        .address_space:  global
        .offset:         24
        .size:           8
        .value_kind:     global_buffer
      - .actual_access:  read_only
        .address_space:  global
        .offset:         32
        .size:           8
        .value_kind:     global_buffer
      - .offset:         40
        .size:           4
        .value_kind:     by_value
      - .offset:         44
        .size:           4
        .value_kind:     by_value
      - .actual_access:  read_only
        .address_space:  global
        .offset:         48
        .size:           8
        .value_kind:     global_buffer
      - .offset:         56
        .size:           8
        .value_kind:     by_value
      - .address_space:  global
        .offset:         64
        .size:           8
        .value_kind:     global_buffer
      - .offset:         72
        .size:           4
        .value_kind:     by_value
      - .offset:         76
        .size:           1
        .value_kind:     by_value
    .group_segment_fixed_size: 0
    .kernarg_segment_align: 8
    .kernarg_segment_size: 80
    .language:       OpenCL C
    .language_version:
      - 2
      - 0
    .max_flat_workgroup_size: 48
    .name:           _ZN9rocsparseL23gebsrmvn_general_kernelILj48ELj16EfEEvi20rocsparse_direction_NS_24const_host_device_scalarIT1_EEPKiS6_PKS3_iiS8_S4_PS3_21rocsparse_index_base_b
    .private_segment_fixed_size: 0
    .sgpr_count:     32
    .sgpr_spill_count: 0
    .symbol:         _ZN9rocsparseL23gebsrmvn_general_kernelILj48ELj16EfEEvi20rocsparse_direction_NS_24const_host_device_scalarIT1_EEPKiS6_PKS3_iiS8_S4_PS3_21rocsparse_index_base_b.kd
    .uniform_work_group_size: 1
    .uses_dynamic_stack: false
    .vgpr_count:     14
    .vgpr_spill_count: 0
    .wavefront_size: 32
    .workgroup_processor_mode: 1
  - .args:
      - .offset:         0
        .size:           4
        .value_kind:     by_value
      - .offset:         4
        .size:           4
        .value_kind:     by_value
      - .offset:         8
        .size:           8
        .value_kind:     by_value
      - .actual_access:  read_only
        .address_space:  global
        .offset:         16
        .size:           8
        .value_kind:     global_buffer
      - .actual_access:  read_only
        .address_space:  global
        .offset:         24
        .size:           8
        .value_kind:     global_buffer
      - .actual_access:  read_only
        .address_space:  global
        .offset:         32
        .size:           8
        .value_kind:     global_buffer
      - .offset:         40
        .size:           4
        .value_kind:     by_value
      - .offset:         44
        .size:           4
        .value_kind:     by_value
      - .actual_access:  read_only
        .address_space:  global
        .offset:         48
        .size:           8
        .value_kind:     global_buffer
      - .offset:         56
        .size:           8
        .value_kind:     by_value
      - .address_space:  global
        .offset:         64
        .size:           8
        .value_kind:     global_buffer
      - .offset:         72
        .size:           4
        .value_kind:     by_value
      - .offset:         76
        .size:           1
        .value_kind:     by_value
    .group_segment_fixed_size: 0
    .kernarg_segment_align: 8
    .kernarg_segment_size: 80
    .language:       OpenCL C
    .language_version:
      - 2
      - 0
    .max_flat_workgroup_size: 96
    .name:           _ZN9rocsparseL23gebsrmvn_general_kernelILj96ELj32EfEEvi20rocsparse_direction_NS_24const_host_device_scalarIT1_EEPKiS6_PKS3_iiS8_S4_PS3_21rocsparse_index_base_b
    .private_segment_fixed_size: 0
    .sgpr_count:     32
    .sgpr_spill_count: 0
    .symbol:         _ZN9rocsparseL23gebsrmvn_general_kernelILj96ELj32EfEEvi20rocsparse_direction_NS_24const_host_device_scalarIT1_EEPKiS6_PKS3_iiS8_S4_PS3_21rocsparse_index_base_b.kd
    .uniform_work_group_size: 1
    .uses_dynamic_stack: false
    .vgpr_count:     15
    .vgpr_spill_count: 0
    .wavefront_size: 32
    .workgroup_processor_mode: 1
  - .args:
      - .offset:         0
        .size:           4
        .value_kind:     by_value
      - .offset:         4
        .size:           4
        .value_kind:     by_value
      - .offset:         8
        .size:           8
        .value_kind:     by_value
      - .actual_access:  read_only
        .address_space:  global
        .offset:         16
        .size:           8
        .value_kind:     global_buffer
      - .actual_access:  read_only
        .address_space:  global
        .offset:         24
        .size:           8
        .value_kind:     global_buffer
      - .actual_access:  read_only
        .address_space:  global
        .offset:         32
        .size:           8
        .value_kind:     global_buffer
      - .actual_access:  read_only
        .address_space:  global
        .offset:         40
        .size:           8
        .value_kind:     global_buffer
      - .offset:         48
        .size:           8
        .value_kind:     by_value
      - .address_space:  global
        .offset:         56
        .size:           8
        .value_kind:     global_buffer
      - .offset:         64
        .size:           4
        .value_kind:     by_value
      - .offset:         68
        .size:           1
        .value_kind:     by_value
    .group_segment_fixed_size: 0
    .kernarg_segment_align: 8
    .kernarg_segment_size: 72
    .language:       OpenCL C
    .language_version:
      - 2
      - 0
    .max_flat_workgroup_size: 128
    .name:           _ZN9rocsparseL19gebsrmvn_3xn_kernelILj128ELj1ELj4EdEEvi20rocsparse_direction_NS_24const_host_device_scalarIT2_EEPKiS6_PKS3_S8_S4_PS3_21rocsparse_index_base_b
    .private_segment_fixed_size: 0
    .sgpr_count:     18
    .sgpr_spill_count: 0
    .symbol:         _ZN9rocsparseL19gebsrmvn_3xn_kernelILj128ELj1ELj4EdEEvi20rocsparse_direction_NS_24const_host_device_scalarIT2_EEPKiS6_PKS3_S8_S4_PS3_21rocsparse_index_base_b.kd
    .uniform_work_group_size: 1
    .uses_dynamic_stack: false
    .vgpr_count:     27
    .vgpr_spill_count: 0
    .wavefront_size: 32
    .workgroup_processor_mode: 1
  - .args:
      - .offset:         0
        .size:           4
        .value_kind:     by_value
      - .offset:         4
        .size:           4
        .value_kind:     by_value
      - .offset:         8
        .size:           8
        .value_kind:     by_value
      - .actual_access:  read_only
        .address_space:  global
        .offset:         16
        .size:           8
        .value_kind:     global_buffer
      - .actual_access:  read_only
        .address_space:  global
        .offset:         24
        .size:           8
        .value_kind:     global_buffer
      - .actual_access:  read_only
        .address_space:  global
        .offset:         32
        .size:           8
        .value_kind:     global_buffer
      - .actual_access:  read_only
        .address_space:  global
        .offset:         40
        .size:           8
        .value_kind:     global_buffer
      - .offset:         48
        .size:           8
        .value_kind:     by_value
      - .address_space:  global
        .offset:         56
        .size:           8
        .value_kind:     global_buffer
      - .offset:         64
        .size:           4
        .value_kind:     by_value
      - .offset:         68
        .size:           1
        .value_kind:     by_value
    .group_segment_fixed_size: 0
    .kernarg_segment_align: 8
    .kernarg_segment_size: 72
    .language:       OpenCL C
    .language_version:
      - 2
      - 0
    .max_flat_workgroup_size: 128
    .name:           _ZN9rocsparseL19gebsrmvn_3xn_kernelILj128ELj1ELj8EdEEvi20rocsparse_direction_NS_24const_host_device_scalarIT2_EEPKiS6_PKS3_S8_S4_PS3_21rocsparse_index_base_b
    .private_segment_fixed_size: 0
    .sgpr_count:     18
    .sgpr_spill_count: 0
    .symbol:         _ZN9rocsparseL19gebsrmvn_3xn_kernelILj128ELj1ELj8EdEEvi20rocsparse_direction_NS_24const_host_device_scalarIT2_EEPKiS6_PKS3_S8_S4_PS3_21rocsparse_index_base_b.kd
    .uniform_work_group_size: 1
    .uses_dynamic_stack: false
    .vgpr_count:     27
    .vgpr_spill_count: 0
    .wavefront_size: 32
    .workgroup_processor_mode: 1
  - .args:
      - .offset:         0
        .size:           4
        .value_kind:     by_value
      - .offset:         4
        .size:           4
        .value_kind:     by_value
      - .offset:         8
        .size:           8
        .value_kind:     by_value
      - .actual_access:  read_only
        .address_space:  global
        .offset:         16
        .size:           8
        .value_kind:     global_buffer
      - .actual_access:  read_only
        .address_space:  global
        .offset:         24
        .size:           8
        .value_kind:     global_buffer
      - .actual_access:  read_only
        .address_space:  global
        .offset:         32
        .size:           8
        .value_kind:     global_buffer
      - .actual_access:  read_only
        .address_space:  global
        .offset:         40
        .size:           8
        .value_kind:     global_buffer
      - .offset:         48
        .size:           8
        .value_kind:     by_value
      - .address_space:  global
        .offset:         56
        .size:           8
        .value_kind:     global_buffer
      - .offset:         64
        .size:           4
        .value_kind:     by_value
      - .offset:         68
        .size:           1
        .value_kind:     by_value
    .group_segment_fixed_size: 0
    .kernarg_segment_align: 8
    .kernarg_segment_size: 72
    .language:       OpenCL C
    .language_version:
      - 2
      - 0
    .max_flat_workgroup_size: 128
    .name:           _ZN9rocsparseL19gebsrmvn_3xn_kernelILj128ELj1ELj16EdEEvi20rocsparse_direction_NS_24const_host_device_scalarIT2_EEPKiS6_PKS3_S8_S4_PS3_21rocsparse_index_base_b
    .private_segment_fixed_size: 0
    .sgpr_count:     18
    .sgpr_spill_count: 0
    .symbol:         _ZN9rocsparseL19gebsrmvn_3xn_kernelILj128ELj1ELj16EdEEvi20rocsparse_direction_NS_24const_host_device_scalarIT2_EEPKiS6_PKS3_S8_S4_PS3_21rocsparse_index_base_b.kd
    .uniform_work_group_size: 1
    .uses_dynamic_stack: false
    .vgpr_count:     27
    .vgpr_spill_count: 0
    .wavefront_size: 32
    .workgroup_processor_mode: 1
  - .args:
      - .offset:         0
        .size:           4
        .value_kind:     by_value
      - .offset:         4
        .size:           4
        .value_kind:     by_value
      - .offset:         8
        .size:           8
        .value_kind:     by_value
      - .actual_access:  read_only
        .address_space:  global
        .offset:         16
        .size:           8
        .value_kind:     global_buffer
      - .actual_access:  read_only
        .address_space:  global
        .offset:         24
        .size:           8
        .value_kind:     global_buffer
      - .actual_access:  read_only
        .address_space:  global
        .offset:         32
        .size:           8
        .value_kind:     global_buffer
      - .actual_access:  read_only
        .address_space:  global
        .offset:         40
        .size:           8
        .value_kind:     global_buffer
      - .offset:         48
        .size:           8
        .value_kind:     by_value
      - .address_space:  global
        .offset:         56
        .size:           8
        .value_kind:     global_buffer
      - .offset:         64
        .size:           4
        .value_kind:     by_value
      - .offset:         68
        .size:           1
        .value_kind:     by_value
    .group_segment_fixed_size: 0
    .kernarg_segment_align: 8
    .kernarg_segment_size: 72
    .language:       OpenCL C
    .language_version:
      - 2
      - 0
    .max_flat_workgroup_size: 128
    .name:           _ZN9rocsparseL19gebsrmvn_3xn_kernelILj128ELj1ELj32EdEEvi20rocsparse_direction_NS_24const_host_device_scalarIT2_EEPKiS6_PKS3_S8_S4_PS3_21rocsparse_index_base_b
    .private_segment_fixed_size: 0
    .sgpr_count:     18
    .sgpr_spill_count: 0
    .symbol:         _ZN9rocsparseL19gebsrmvn_3xn_kernelILj128ELj1ELj32EdEEvi20rocsparse_direction_NS_24const_host_device_scalarIT2_EEPKiS6_PKS3_S8_S4_PS3_21rocsparse_index_base_b.kd
    .uniform_work_group_size: 1
    .uses_dynamic_stack: false
    .vgpr_count:     27
    .vgpr_spill_count: 0
    .wavefront_size: 32
    .workgroup_processor_mode: 1
  - .args:
      - .offset:         0
        .size:           4
        .value_kind:     by_value
      - .offset:         4
        .size:           4
        .value_kind:     by_value
      - .offset:         8
        .size:           8
        .value_kind:     by_value
      - .actual_access:  read_only
        .address_space:  global
        .offset:         16
        .size:           8
        .value_kind:     global_buffer
      - .actual_access:  read_only
        .address_space:  global
        .offset:         24
        .size:           8
        .value_kind:     global_buffer
      - .actual_access:  read_only
        .address_space:  global
        .offset:         32
        .size:           8
        .value_kind:     global_buffer
      - .actual_access:  read_only
        .address_space:  global
        .offset:         40
        .size:           8
        .value_kind:     global_buffer
      - .offset:         48
        .size:           8
        .value_kind:     by_value
      - .address_space:  global
        .offset:         56
        .size:           8
        .value_kind:     global_buffer
      - .offset:         64
        .size:           4
        .value_kind:     by_value
      - .offset:         68
        .size:           1
        .value_kind:     by_value
    .group_segment_fixed_size: 0
    .kernarg_segment_align: 8
    .kernarg_segment_size: 72
    .language:       OpenCL C
    .language_version:
      - 2
      - 0
    .max_flat_workgroup_size: 128
    .name:           _ZN9rocsparseL19gebsrmvn_3xn_kernelILj128ELj1ELj64EdEEvi20rocsparse_direction_NS_24const_host_device_scalarIT2_EEPKiS6_PKS3_S8_S4_PS3_21rocsparse_index_base_b
    .private_segment_fixed_size: 0
    .sgpr_count:     18
    .sgpr_spill_count: 0
    .symbol:         _ZN9rocsparseL19gebsrmvn_3xn_kernelILj128ELj1ELj64EdEEvi20rocsparse_direction_NS_24const_host_device_scalarIT2_EEPKiS6_PKS3_S8_S4_PS3_21rocsparse_index_base_b.kd
    .uniform_work_group_size: 1
    .uses_dynamic_stack: false
    .vgpr_count:     27
    .vgpr_spill_count: 0
    .wavefront_size: 32
    .workgroup_processor_mode: 1
  - .args:
      - .offset:         0
        .size:           4
        .value_kind:     by_value
      - .offset:         4
        .size:           4
        .value_kind:     by_value
      - .offset:         8
        .size:           8
        .value_kind:     by_value
      - .actual_access:  read_only
        .address_space:  global
        .offset:         16
        .size:           8
        .value_kind:     global_buffer
      - .actual_access:  read_only
        .address_space:  global
        .offset:         24
        .size:           8
        .value_kind:     global_buffer
      - .actual_access:  read_only
        .address_space:  global
        .offset:         32
        .size:           8
        .value_kind:     global_buffer
      - .actual_access:  read_only
        .address_space:  global
        .offset:         40
        .size:           8
        .value_kind:     global_buffer
      - .offset:         48
        .size:           8
        .value_kind:     by_value
      - .address_space:  global
        .offset:         56
        .size:           8
        .value_kind:     global_buffer
      - .offset:         64
        .size:           4
        .value_kind:     by_value
      - .offset:         68
        .size:           1
        .value_kind:     by_value
    .group_segment_fixed_size: 0
    .kernarg_segment_align: 8
    .kernarg_segment_size: 72
    .language:       OpenCL C
    .language_version:
      - 2
      - 0
    .max_flat_workgroup_size: 128
    .name:           _ZN9rocsparseL19gebsrmvn_3xn_kernelILj128ELj2ELj4EdEEvi20rocsparse_direction_NS_24const_host_device_scalarIT2_EEPKiS6_PKS3_S8_S4_PS3_21rocsparse_index_base_b
    .private_segment_fixed_size: 0
    .sgpr_count:     18
    .sgpr_spill_count: 0
    .symbol:         _ZN9rocsparseL19gebsrmvn_3xn_kernelILj128ELj2ELj4EdEEvi20rocsparse_direction_NS_24const_host_device_scalarIT2_EEPKiS6_PKS3_S8_S4_PS3_21rocsparse_index_base_b.kd
    .uniform_work_group_size: 1
    .uses_dynamic_stack: false
    .vgpr_count:     36
    .vgpr_spill_count: 0
    .wavefront_size: 32
    .workgroup_processor_mode: 1
  - .args:
      - .offset:         0
        .size:           4
        .value_kind:     by_value
      - .offset:         4
        .size:           4
        .value_kind:     by_value
      - .offset:         8
        .size:           8
        .value_kind:     by_value
      - .actual_access:  read_only
        .address_space:  global
        .offset:         16
        .size:           8
        .value_kind:     global_buffer
      - .actual_access:  read_only
        .address_space:  global
        .offset:         24
        .size:           8
        .value_kind:     global_buffer
      - .actual_access:  read_only
        .address_space:  global
        .offset:         32
        .size:           8
        .value_kind:     global_buffer
      - .actual_access:  read_only
        .address_space:  global
        .offset:         40
        .size:           8
        .value_kind:     global_buffer
      - .offset:         48
        .size:           8
        .value_kind:     by_value
      - .address_space:  global
        .offset:         56
        .size:           8
        .value_kind:     global_buffer
      - .offset:         64
        .size:           4
        .value_kind:     by_value
      - .offset:         68
        .size:           1
        .value_kind:     by_value
    .group_segment_fixed_size: 0
    .kernarg_segment_align: 8
    .kernarg_segment_size: 72
    .language:       OpenCL C
    .language_version:
      - 2
      - 0
    .max_flat_workgroup_size: 128
    .name:           _ZN9rocsparseL19gebsrmvn_3xn_kernelILj128ELj2ELj8EdEEvi20rocsparse_direction_NS_24const_host_device_scalarIT2_EEPKiS6_PKS3_S8_S4_PS3_21rocsparse_index_base_b
    .private_segment_fixed_size: 0
    .sgpr_count:     18
    .sgpr_spill_count: 0
    .symbol:         _ZN9rocsparseL19gebsrmvn_3xn_kernelILj128ELj2ELj8EdEEvi20rocsparse_direction_NS_24const_host_device_scalarIT2_EEPKiS6_PKS3_S8_S4_PS3_21rocsparse_index_base_b.kd
    .uniform_work_group_size: 1
    .uses_dynamic_stack: false
    .vgpr_count:     35
    .vgpr_spill_count: 0
    .wavefront_size: 32
    .workgroup_processor_mode: 1
  - .args:
      - .offset:         0
        .size:           4
        .value_kind:     by_value
      - .offset:         4
        .size:           4
        .value_kind:     by_value
      - .offset:         8
        .size:           8
        .value_kind:     by_value
      - .actual_access:  read_only
        .address_space:  global
        .offset:         16
        .size:           8
        .value_kind:     global_buffer
      - .actual_access:  read_only
        .address_space:  global
        .offset:         24
        .size:           8
        .value_kind:     global_buffer
      - .actual_access:  read_only
        .address_space:  global
        .offset:         32
        .size:           8
        .value_kind:     global_buffer
      - .actual_access:  read_only
        .address_space:  global
        .offset:         40
        .size:           8
        .value_kind:     global_buffer
      - .offset:         48
        .size:           8
        .value_kind:     by_value
      - .address_space:  global
        .offset:         56
        .size:           8
        .value_kind:     global_buffer
      - .offset:         64
        .size:           4
        .value_kind:     by_value
      - .offset:         68
        .size:           1
        .value_kind:     by_value
    .group_segment_fixed_size: 0
    .kernarg_segment_align: 8
    .kernarg_segment_size: 72
    .language:       OpenCL C
    .language_version:
      - 2
      - 0
    .max_flat_workgroup_size: 128
    .name:           _ZN9rocsparseL19gebsrmvn_3xn_kernelILj128ELj2ELj16EdEEvi20rocsparse_direction_NS_24const_host_device_scalarIT2_EEPKiS6_PKS3_S8_S4_PS3_21rocsparse_index_base_b
    .private_segment_fixed_size: 0
    .sgpr_count:     18
    .sgpr_spill_count: 0
    .symbol:         _ZN9rocsparseL19gebsrmvn_3xn_kernelILj128ELj2ELj16EdEEvi20rocsparse_direction_NS_24const_host_device_scalarIT2_EEPKiS6_PKS3_S8_S4_PS3_21rocsparse_index_base_b.kd
    .uniform_work_group_size: 1
    .uses_dynamic_stack: false
    .vgpr_count:     35
    .vgpr_spill_count: 0
    .wavefront_size: 32
    .workgroup_processor_mode: 1
  - .args:
      - .offset:         0
        .size:           4
        .value_kind:     by_value
      - .offset:         4
        .size:           4
        .value_kind:     by_value
      - .offset:         8
        .size:           8
        .value_kind:     by_value
      - .actual_access:  read_only
        .address_space:  global
        .offset:         16
        .size:           8
        .value_kind:     global_buffer
      - .actual_access:  read_only
        .address_space:  global
        .offset:         24
        .size:           8
        .value_kind:     global_buffer
      - .actual_access:  read_only
        .address_space:  global
        .offset:         32
        .size:           8
        .value_kind:     global_buffer
      - .actual_access:  read_only
        .address_space:  global
        .offset:         40
        .size:           8
        .value_kind:     global_buffer
      - .offset:         48
        .size:           8
        .value_kind:     by_value
      - .address_space:  global
        .offset:         56
        .size:           8
        .value_kind:     global_buffer
      - .offset:         64
        .size:           4
        .value_kind:     by_value
      - .offset:         68
        .size:           1
        .value_kind:     by_value
    .group_segment_fixed_size: 0
    .kernarg_segment_align: 8
    .kernarg_segment_size: 72
    .language:       OpenCL C
    .language_version:
      - 2
      - 0
    .max_flat_workgroup_size: 128
    .name:           _ZN9rocsparseL19gebsrmvn_3xn_kernelILj128ELj2ELj32EdEEvi20rocsparse_direction_NS_24const_host_device_scalarIT2_EEPKiS6_PKS3_S8_S4_PS3_21rocsparse_index_base_b
    .private_segment_fixed_size: 0
    .sgpr_count:     18
    .sgpr_spill_count: 0
    .symbol:         _ZN9rocsparseL19gebsrmvn_3xn_kernelILj128ELj2ELj32EdEEvi20rocsparse_direction_NS_24const_host_device_scalarIT2_EEPKiS6_PKS3_S8_S4_PS3_21rocsparse_index_base_b.kd
    .uniform_work_group_size: 1
    .uses_dynamic_stack: false
    .vgpr_count:     35
    .vgpr_spill_count: 0
    .wavefront_size: 32
    .workgroup_processor_mode: 1
  - .args:
      - .offset:         0
        .size:           4
        .value_kind:     by_value
      - .offset:         4
        .size:           4
        .value_kind:     by_value
      - .offset:         8
        .size:           8
        .value_kind:     by_value
      - .actual_access:  read_only
        .address_space:  global
        .offset:         16
        .size:           8
        .value_kind:     global_buffer
      - .actual_access:  read_only
        .address_space:  global
        .offset:         24
        .size:           8
        .value_kind:     global_buffer
      - .actual_access:  read_only
        .address_space:  global
        .offset:         32
        .size:           8
        .value_kind:     global_buffer
      - .actual_access:  read_only
        .address_space:  global
        .offset:         40
        .size:           8
        .value_kind:     global_buffer
      - .offset:         48
        .size:           8
        .value_kind:     by_value
      - .address_space:  global
        .offset:         56
        .size:           8
        .value_kind:     global_buffer
      - .offset:         64
        .size:           4
        .value_kind:     by_value
      - .offset:         68
        .size:           1
        .value_kind:     by_value
    .group_segment_fixed_size: 0
    .kernarg_segment_align: 8
    .kernarg_segment_size: 72
    .language:       OpenCL C
    .language_version:
      - 2
      - 0
    .max_flat_workgroup_size: 128
    .name:           _ZN9rocsparseL19gebsrmvn_3xn_kernelILj128ELj2ELj64EdEEvi20rocsparse_direction_NS_24const_host_device_scalarIT2_EEPKiS6_PKS3_S8_S4_PS3_21rocsparse_index_base_b
    .private_segment_fixed_size: 0
    .sgpr_count:     18
    .sgpr_spill_count: 0
    .symbol:         _ZN9rocsparseL19gebsrmvn_3xn_kernelILj128ELj2ELj64EdEEvi20rocsparse_direction_NS_24const_host_device_scalarIT2_EEPKiS6_PKS3_S8_S4_PS3_21rocsparse_index_base_b.kd
    .uniform_work_group_size: 1
    .uses_dynamic_stack: false
    .vgpr_count:     35
    .vgpr_spill_count: 0
    .wavefront_size: 32
    .workgroup_processor_mode: 1
  - .args:
      - .offset:         0
        .size:           4
        .value_kind:     by_value
      - .offset:         4
        .size:           4
        .value_kind:     by_value
      - .offset:         8
        .size:           8
        .value_kind:     by_value
      - .actual_access:  read_only
        .address_space:  global
        .offset:         16
        .size:           8
        .value_kind:     global_buffer
      - .actual_access:  read_only
        .address_space:  global
        .offset:         24
        .size:           8
        .value_kind:     global_buffer
      - .actual_access:  read_only
        .address_space:  global
        .offset:         32
        .size:           8
        .value_kind:     global_buffer
      - .actual_access:  read_only
        .address_space:  global
        .offset:         40
        .size:           8
        .value_kind:     global_buffer
      - .offset:         48
        .size:           8
        .value_kind:     by_value
      - .address_space:  global
        .offset:         56
        .size:           8
        .value_kind:     global_buffer
      - .offset:         64
        .size:           4
        .value_kind:     by_value
      - .offset:         68
        .size:           1
        .value_kind:     by_value
    .group_segment_fixed_size: 0
    .kernarg_segment_align: 8
    .kernarg_segment_size: 72
    .language:       OpenCL C
    .language_version:
      - 2
      - 0
    .max_flat_workgroup_size: 128
    .name:           _ZN9rocsparseL19gebsrmvn_3xn_kernelILj128ELj4ELj4EdEEvi20rocsparse_direction_NS_24const_host_device_scalarIT2_EEPKiS6_PKS3_S8_S4_PS3_21rocsparse_index_base_b
    .private_segment_fixed_size: 0
    .sgpr_count:     18
    .sgpr_spill_count: 0
    .symbol:         _ZN9rocsparseL19gebsrmvn_3xn_kernelILj128ELj4ELj4EdEEvi20rocsparse_direction_NS_24const_host_device_scalarIT2_EEPKiS6_PKS3_S8_S4_PS3_21rocsparse_index_base_b.kd
    .uniform_work_group_size: 1
    .uses_dynamic_stack: false
    .vgpr_count:     52
    .vgpr_spill_count: 0
    .wavefront_size: 32
    .workgroup_processor_mode: 1
  - .args:
      - .offset:         0
        .size:           4
        .value_kind:     by_value
      - .offset:         4
        .size:           4
        .value_kind:     by_value
      - .offset:         8
        .size:           8
        .value_kind:     by_value
      - .actual_access:  read_only
        .address_space:  global
        .offset:         16
        .size:           8
        .value_kind:     global_buffer
      - .actual_access:  read_only
        .address_space:  global
        .offset:         24
        .size:           8
        .value_kind:     global_buffer
      - .actual_access:  read_only
        .address_space:  global
        .offset:         32
        .size:           8
        .value_kind:     global_buffer
      - .actual_access:  read_only
        .address_space:  global
        .offset:         40
        .size:           8
        .value_kind:     global_buffer
      - .offset:         48
        .size:           8
        .value_kind:     by_value
      - .address_space:  global
        .offset:         56
        .size:           8
        .value_kind:     global_buffer
      - .offset:         64
        .size:           4
        .value_kind:     by_value
      - .offset:         68
        .size:           1
        .value_kind:     by_value
    .group_segment_fixed_size: 0
    .kernarg_segment_align: 8
    .kernarg_segment_size: 72
    .language:       OpenCL C
    .language_version:
      - 2
      - 0
    .max_flat_workgroup_size: 128
    .name:           _ZN9rocsparseL19gebsrmvn_3xn_kernelILj128ELj4ELj8EdEEvi20rocsparse_direction_NS_24const_host_device_scalarIT2_EEPKiS6_PKS3_S8_S4_PS3_21rocsparse_index_base_b
    .private_segment_fixed_size: 0
    .sgpr_count:     18
    .sgpr_spill_count: 0
    .symbol:         _ZN9rocsparseL19gebsrmvn_3xn_kernelILj128ELj4ELj8EdEEvi20rocsparse_direction_NS_24const_host_device_scalarIT2_EEPKiS6_PKS3_S8_S4_PS3_21rocsparse_index_base_b.kd
    .uniform_work_group_size: 1
    .uses_dynamic_stack: false
    .vgpr_count:     51
    .vgpr_spill_count: 0
    .wavefront_size: 32
    .workgroup_processor_mode: 1
  - .args:
      - .offset:         0
        .size:           4
        .value_kind:     by_value
      - .offset:         4
        .size:           4
        .value_kind:     by_value
      - .offset:         8
        .size:           8
        .value_kind:     by_value
      - .actual_access:  read_only
        .address_space:  global
        .offset:         16
        .size:           8
        .value_kind:     global_buffer
      - .actual_access:  read_only
        .address_space:  global
        .offset:         24
        .size:           8
        .value_kind:     global_buffer
      - .actual_access:  read_only
        .address_space:  global
        .offset:         32
        .size:           8
        .value_kind:     global_buffer
      - .actual_access:  read_only
        .address_space:  global
        .offset:         40
        .size:           8
        .value_kind:     global_buffer
      - .offset:         48
        .size:           8
        .value_kind:     by_value
      - .address_space:  global
        .offset:         56
        .size:           8
        .value_kind:     global_buffer
      - .offset:         64
        .size:           4
        .value_kind:     by_value
      - .offset:         68
        .size:           1
        .value_kind:     by_value
    .group_segment_fixed_size: 0
    .kernarg_segment_align: 8
    .kernarg_segment_size: 72
    .language:       OpenCL C
    .language_version:
      - 2
      - 0
    .max_flat_workgroup_size: 128
    .name:           _ZN9rocsparseL19gebsrmvn_3xn_kernelILj128ELj4ELj16EdEEvi20rocsparse_direction_NS_24const_host_device_scalarIT2_EEPKiS6_PKS3_S8_S4_PS3_21rocsparse_index_base_b
    .private_segment_fixed_size: 0
    .sgpr_count:     18
    .sgpr_spill_count: 0
    .symbol:         _ZN9rocsparseL19gebsrmvn_3xn_kernelILj128ELj4ELj16EdEEvi20rocsparse_direction_NS_24const_host_device_scalarIT2_EEPKiS6_PKS3_S8_S4_PS3_21rocsparse_index_base_b.kd
    .uniform_work_group_size: 1
    .uses_dynamic_stack: false
    .vgpr_count:     51
    .vgpr_spill_count: 0
    .wavefront_size: 32
    .workgroup_processor_mode: 1
  - .args:
      - .offset:         0
        .size:           4
        .value_kind:     by_value
      - .offset:         4
        .size:           4
        .value_kind:     by_value
      - .offset:         8
        .size:           8
        .value_kind:     by_value
      - .actual_access:  read_only
        .address_space:  global
        .offset:         16
        .size:           8
        .value_kind:     global_buffer
      - .actual_access:  read_only
        .address_space:  global
        .offset:         24
        .size:           8
        .value_kind:     global_buffer
      - .actual_access:  read_only
        .address_space:  global
        .offset:         32
        .size:           8
        .value_kind:     global_buffer
      - .actual_access:  read_only
        .address_space:  global
        .offset:         40
        .size:           8
        .value_kind:     global_buffer
      - .offset:         48
        .size:           8
        .value_kind:     by_value
      - .address_space:  global
        .offset:         56
        .size:           8
        .value_kind:     global_buffer
      - .offset:         64
        .size:           4
        .value_kind:     by_value
      - .offset:         68
        .size:           1
        .value_kind:     by_value
    .group_segment_fixed_size: 0
    .kernarg_segment_align: 8
    .kernarg_segment_size: 72
    .language:       OpenCL C
    .language_version:
      - 2
      - 0
    .max_flat_workgroup_size: 128
    .name:           _ZN9rocsparseL19gebsrmvn_3xn_kernelILj128ELj4ELj32EdEEvi20rocsparse_direction_NS_24const_host_device_scalarIT2_EEPKiS6_PKS3_S8_S4_PS3_21rocsparse_index_base_b
    .private_segment_fixed_size: 0
    .sgpr_count:     18
    .sgpr_spill_count: 0
    .symbol:         _ZN9rocsparseL19gebsrmvn_3xn_kernelILj128ELj4ELj32EdEEvi20rocsparse_direction_NS_24const_host_device_scalarIT2_EEPKiS6_PKS3_S8_S4_PS3_21rocsparse_index_base_b.kd
    .uniform_work_group_size: 1
    .uses_dynamic_stack: false
    .vgpr_count:     51
    .vgpr_spill_count: 0
    .wavefront_size: 32
    .workgroup_processor_mode: 1
  - .args:
      - .offset:         0
        .size:           4
        .value_kind:     by_value
      - .offset:         4
        .size:           4
        .value_kind:     by_value
      - .offset:         8
        .size:           8
        .value_kind:     by_value
      - .actual_access:  read_only
        .address_space:  global
        .offset:         16
        .size:           8
        .value_kind:     global_buffer
      - .actual_access:  read_only
        .address_space:  global
        .offset:         24
        .size:           8
        .value_kind:     global_buffer
      - .actual_access:  read_only
        .address_space:  global
        .offset:         32
        .size:           8
        .value_kind:     global_buffer
      - .actual_access:  read_only
        .address_space:  global
        .offset:         40
        .size:           8
        .value_kind:     global_buffer
      - .offset:         48
        .size:           8
        .value_kind:     by_value
      - .address_space:  global
        .offset:         56
        .size:           8
        .value_kind:     global_buffer
      - .offset:         64
        .size:           4
        .value_kind:     by_value
      - .offset:         68
        .size:           1
        .value_kind:     by_value
    .group_segment_fixed_size: 0
    .kernarg_segment_align: 8
    .kernarg_segment_size: 72
    .language:       OpenCL C
    .language_version:
      - 2
      - 0
    .max_flat_workgroup_size: 128
    .name:           _ZN9rocsparseL19gebsrmvn_3xn_kernelILj128ELj4ELj64EdEEvi20rocsparse_direction_NS_24const_host_device_scalarIT2_EEPKiS6_PKS3_S8_S4_PS3_21rocsparse_index_base_b
    .private_segment_fixed_size: 0
    .sgpr_count:     18
    .sgpr_spill_count: 0
    .symbol:         _ZN9rocsparseL19gebsrmvn_3xn_kernelILj128ELj4ELj64EdEEvi20rocsparse_direction_NS_24const_host_device_scalarIT2_EEPKiS6_PKS3_S8_S4_PS3_21rocsparse_index_base_b.kd
    .uniform_work_group_size: 1
    .uses_dynamic_stack: false
    .vgpr_count:     51
    .vgpr_spill_count: 0
    .wavefront_size: 32
    .workgroup_processor_mode: 1
  - .args:
      - .offset:         0
        .size:           4
        .value_kind:     by_value
      - .offset:         4
        .size:           4
        .value_kind:     by_value
      - .offset:         8
        .size:           8
        .value_kind:     by_value
      - .actual_access:  read_only
        .address_space:  global
        .offset:         16
        .size:           8
        .value_kind:     global_buffer
      - .actual_access:  read_only
        .address_space:  global
        .offset:         24
        .size:           8
        .value_kind:     global_buffer
      - .actual_access:  read_only
        .address_space:  global
        .offset:         32
        .size:           8
        .value_kind:     global_buffer
      - .actual_access:  read_only
        .address_space:  global
        .offset:         40
        .size:           8
        .value_kind:     global_buffer
      - .offset:         48
        .size:           8
        .value_kind:     by_value
      - .address_space:  global
        .offset:         56
        .size:           8
        .value_kind:     global_buffer
      - .offset:         64
        .size:           4
        .value_kind:     by_value
      - .offset:         68
        .size:           1
        .value_kind:     by_value
    .group_segment_fixed_size: 0
    .kernarg_segment_align: 8
    .kernarg_segment_size: 72
    .language:       OpenCL C
    .language_version:
      - 2
      - 0
    .max_flat_workgroup_size: 128
    .name:           _ZN9rocsparseL19gebsrmvn_3xn_kernelILj128ELj5ELj4EdEEvi20rocsparse_direction_NS_24const_host_device_scalarIT2_EEPKiS6_PKS3_S8_S4_PS3_21rocsparse_index_base_b
    .private_segment_fixed_size: 0
    .sgpr_count:     18
    .sgpr_spill_count: 0
    .symbol:         _ZN9rocsparseL19gebsrmvn_3xn_kernelILj128ELj5ELj4EdEEvi20rocsparse_direction_NS_24const_host_device_scalarIT2_EEPKiS6_PKS3_S8_S4_PS3_21rocsparse_index_base_b.kd
    .uniform_work_group_size: 1
    .uses_dynamic_stack: false
    .vgpr_count:     59
    .vgpr_spill_count: 0
    .wavefront_size: 32
    .workgroup_processor_mode: 1
  - .args:
      - .offset:         0
        .size:           4
        .value_kind:     by_value
      - .offset:         4
        .size:           4
        .value_kind:     by_value
      - .offset:         8
        .size:           8
        .value_kind:     by_value
      - .actual_access:  read_only
        .address_space:  global
        .offset:         16
        .size:           8
        .value_kind:     global_buffer
      - .actual_access:  read_only
        .address_space:  global
        .offset:         24
        .size:           8
        .value_kind:     global_buffer
      - .actual_access:  read_only
        .address_space:  global
        .offset:         32
        .size:           8
        .value_kind:     global_buffer
      - .actual_access:  read_only
        .address_space:  global
        .offset:         40
        .size:           8
        .value_kind:     global_buffer
      - .offset:         48
        .size:           8
        .value_kind:     by_value
      - .address_space:  global
        .offset:         56
        .size:           8
        .value_kind:     global_buffer
      - .offset:         64
        .size:           4
        .value_kind:     by_value
      - .offset:         68
        .size:           1
        .value_kind:     by_value
    .group_segment_fixed_size: 0
    .kernarg_segment_align: 8
    .kernarg_segment_size: 72
    .language:       OpenCL C
    .language_version:
      - 2
      - 0
    .max_flat_workgroup_size: 128
    .name:           _ZN9rocsparseL19gebsrmvn_3xn_kernelILj128ELj5ELj8EdEEvi20rocsparse_direction_NS_24const_host_device_scalarIT2_EEPKiS6_PKS3_S8_S4_PS3_21rocsparse_index_base_b
    .private_segment_fixed_size: 0
    .sgpr_count:     18
    .sgpr_spill_count: 0
    .symbol:         _ZN9rocsparseL19gebsrmvn_3xn_kernelILj128ELj5ELj8EdEEvi20rocsparse_direction_NS_24const_host_device_scalarIT2_EEPKiS6_PKS3_S8_S4_PS3_21rocsparse_index_base_b.kd
    .uniform_work_group_size: 1
    .uses_dynamic_stack: false
    .vgpr_count:     59
    .vgpr_spill_count: 0
    .wavefront_size: 32
    .workgroup_processor_mode: 1
  - .args:
      - .offset:         0
        .size:           4
        .value_kind:     by_value
      - .offset:         4
        .size:           4
        .value_kind:     by_value
      - .offset:         8
        .size:           8
        .value_kind:     by_value
      - .actual_access:  read_only
        .address_space:  global
        .offset:         16
        .size:           8
        .value_kind:     global_buffer
      - .actual_access:  read_only
        .address_space:  global
        .offset:         24
        .size:           8
        .value_kind:     global_buffer
      - .actual_access:  read_only
        .address_space:  global
        .offset:         32
        .size:           8
        .value_kind:     global_buffer
      - .actual_access:  read_only
        .address_space:  global
        .offset:         40
        .size:           8
        .value_kind:     global_buffer
      - .offset:         48
        .size:           8
        .value_kind:     by_value
      - .address_space:  global
        .offset:         56
        .size:           8
        .value_kind:     global_buffer
      - .offset:         64
        .size:           4
        .value_kind:     by_value
      - .offset:         68
        .size:           1
        .value_kind:     by_value
    .group_segment_fixed_size: 0
    .kernarg_segment_align: 8
    .kernarg_segment_size: 72
    .language:       OpenCL C
    .language_version:
      - 2
      - 0
    .max_flat_workgroup_size: 128
    .name:           _ZN9rocsparseL19gebsrmvn_3xn_kernelILj128ELj5ELj16EdEEvi20rocsparse_direction_NS_24const_host_device_scalarIT2_EEPKiS6_PKS3_S8_S4_PS3_21rocsparse_index_base_b
    .private_segment_fixed_size: 0
    .sgpr_count:     18
    .sgpr_spill_count: 0
    .symbol:         _ZN9rocsparseL19gebsrmvn_3xn_kernelILj128ELj5ELj16EdEEvi20rocsparse_direction_NS_24const_host_device_scalarIT2_EEPKiS6_PKS3_S8_S4_PS3_21rocsparse_index_base_b.kd
    .uniform_work_group_size: 1
    .uses_dynamic_stack: false
    .vgpr_count:     59
    .vgpr_spill_count: 0
    .wavefront_size: 32
    .workgroup_processor_mode: 1
  - .args:
      - .offset:         0
        .size:           4
        .value_kind:     by_value
      - .offset:         4
        .size:           4
        .value_kind:     by_value
      - .offset:         8
        .size:           8
        .value_kind:     by_value
      - .actual_access:  read_only
        .address_space:  global
        .offset:         16
        .size:           8
        .value_kind:     global_buffer
      - .actual_access:  read_only
        .address_space:  global
        .offset:         24
        .size:           8
        .value_kind:     global_buffer
      - .actual_access:  read_only
        .address_space:  global
        .offset:         32
        .size:           8
        .value_kind:     global_buffer
      - .actual_access:  read_only
        .address_space:  global
        .offset:         40
        .size:           8
        .value_kind:     global_buffer
      - .offset:         48
        .size:           8
        .value_kind:     by_value
      - .address_space:  global
        .offset:         56
        .size:           8
        .value_kind:     global_buffer
      - .offset:         64
        .size:           4
        .value_kind:     by_value
      - .offset:         68
        .size:           1
        .value_kind:     by_value
    .group_segment_fixed_size: 0
    .kernarg_segment_align: 8
    .kernarg_segment_size: 72
    .language:       OpenCL C
    .language_version:
      - 2
      - 0
    .max_flat_workgroup_size: 128
    .name:           _ZN9rocsparseL19gebsrmvn_3xn_kernelILj128ELj5ELj32EdEEvi20rocsparse_direction_NS_24const_host_device_scalarIT2_EEPKiS6_PKS3_S8_S4_PS3_21rocsparse_index_base_b
    .private_segment_fixed_size: 0
    .sgpr_count:     18
    .sgpr_spill_count: 0
    .symbol:         _ZN9rocsparseL19gebsrmvn_3xn_kernelILj128ELj5ELj32EdEEvi20rocsparse_direction_NS_24const_host_device_scalarIT2_EEPKiS6_PKS3_S8_S4_PS3_21rocsparse_index_base_b.kd
    .uniform_work_group_size: 1
    .uses_dynamic_stack: false
    .vgpr_count:     59
    .vgpr_spill_count: 0
    .wavefront_size: 32
    .workgroup_processor_mode: 1
  - .args:
      - .offset:         0
        .size:           4
        .value_kind:     by_value
      - .offset:         4
        .size:           4
        .value_kind:     by_value
      - .offset:         8
        .size:           8
        .value_kind:     by_value
      - .actual_access:  read_only
        .address_space:  global
        .offset:         16
        .size:           8
        .value_kind:     global_buffer
      - .actual_access:  read_only
        .address_space:  global
        .offset:         24
        .size:           8
        .value_kind:     global_buffer
      - .actual_access:  read_only
        .address_space:  global
        .offset:         32
        .size:           8
        .value_kind:     global_buffer
      - .actual_access:  read_only
        .address_space:  global
        .offset:         40
        .size:           8
        .value_kind:     global_buffer
      - .offset:         48
        .size:           8
        .value_kind:     by_value
      - .address_space:  global
        .offset:         56
        .size:           8
        .value_kind:     global_buffer
      - .offset:         64
        .size:           4
        .value_kind:     by_value
      - .offset:         68
        .size:           1
        .value_kind:     by_value
    .group_segment_fixed_size: 0
    .kernarg_segment_align: 8
    .kernarg_segment_size: 72
    .language:       OpenCL C
    .language_version:
      - 2
      - 0
    .max_flat_workgroup_size: 128
    .name:           _ZN9rocsparseL19gebsrmvn_3xn_kernelILj128ELj5ELj64EdEEvi20rocsparse_direction_NS_24const_host_device_scalarIT2_EEPKiS6_PKS3_S8_S4_PS3_21rocsparse_index_base_b
    .private_segment_fixed_size: 0
    .sgpr_count:     18
    .sgpr_spill_count: 0
    .symbol:         _ZN9rocsparseL19gebsrmvn_3xn_kernelILj128ELj5ELj64EdEEvi20rocsparse_direction_NS_24const_host_device_scalarIT2_EEPKiS6_PKS3_S8_S4_PS3_21rocsparse_index_base_b.kd
    .uniform_work_group_size: 1
    .uses_dynamic_stack: false
    .vgpr_count:     59
    .vgpr_spill_count: 0
    .wavefront_size: 32
    .workgroup_processor_mode: 1
  - .args:
      - .offset:         0
        .size:           4
        .value_kind:     by_value
      - .offset:         4
        .size:           4
        .value_kind:     by_value
      - .offset:         8
        .size:           8
        .value_kind:     by_value
      - .actual_access:  read_only
        .address_space:  global
        .offset:         16
        .size:           8
        .value_kind:     global_buffer
      - .actual_access:  read_only
        .address_space:  global
        .offset:         24
        .size:           8
        .value_kind:     global_buffer
      - .actual_access:  read_only
        .address_space:  global
        .offset:         32
        .size:           8
        .value_kind:     global_buffer
      - .actual_access:  read_only
        .address_space:  global
        .offset:         40
        .size:           8
        .value_kind:     global_buffer
      - .offset:         48
        .size:           8
        .value_kind:     by_value
      - .address_space:  global
        .offset:         56
        .size:           8
        .value_kind:     global_buffer
      - .offset:         64
        .size:           4
        .value_kind:     by_value
      - .offset:         68
        .size:           1
        .value_kind:     by_value
    .group_segment_fixed_size: 0
    .kernarg_segment_align: 8
    .kernarg_segment_size: 72
    .language:       OpenCL C
    .language_version:
      - 2
      - 0
    .max_flat_workgroup_size: 128
    .name:           _ZN9rocsparseL19gebsrmvn_3xn_kernelILj128ELj6ELj4EdEEvi20rocsparse_direction_NS_24const_host_device_scalarIT2_EEPKiS6_PKS3_S8_S4_PS3_21rocsparse_index_base_b
    .private_segment_fixed_size: 0
    .sgpr_count:     18
    .sgpr_spill_count: 0
    .symbol:         _ZN9rocsparseL19gebsrmvn_3xn_kernelILj128ELj6ELj4EdEEvi20rocsparse_direction_NS_24const_host_device_scalarIT2_EEPKiS6_PKS3_S8_S4_PS3_21rocsparse_index_base_b.kd
    .uniform_work_group_size: 1
    .uses_dynamic_stack: false
    .vgpr_count:     68
    .vgpr_spill_count: 0
    .wavefront_size: 32
    .workgroup_processor_mode: 1
  - .args:
      - .offset:         0
        .size:           4
        .value_kind:     by_value
      - .offset:         4
        .size:           4
        .value_kind:     by_value
      - .offset:         8
        .size:           8
        .value_kind:     by_value
      - .actual_access:  read_only
        .address_space:  global
        .offset:         16
        .size:           8
        .value_kind:     global_buffer
      - .actual_access:  read_only
        .address_space:  global
        .offset:         24
        .size:           8
        .value_kind:     global_buffer
      - .actual_access:  read_only
        .address_space:  global
        .offset:         32
        .size:           8
        .value_kind:     global_buffer
      - .actual_access:  read_only
        .address_space:  global
        .offset:         40
        .size:           8
        .value_kind:     global_buffer
      - .offset:         48
        .size:           8
        .value_kind:     by_value
      - .address_space:  global
        .offset:         56
        .size:           8
        .value_kind:     global_buffer
      - .offset:         64
        .size:           4
        .value_kind:     by_value
      - .offset:         68
        .size:           1
        .value_kind:     by_value
    .group_segment_fixed_size: 0
    .kernarg_segment_align: 8
    .kernarg_segment_size: 72
    .language:       OpenCL C
    .language_version:
      - 2
      - 0
    .max_flat_workgroup_size: 128
    .name:           _ZN9rocsparseL19gebsrmvn_3xn_kernelILj128ELj6ELj8EdEEvi20rocsparse_direction_NS_24const_host_device_scalarIT2_EEPKiS6_PKS3_S8_S4_PS3_21rocsparse_index_base_b
    .private_segment_fixed_size: 0
    .sgpr_count:     18
    .sgpr_spill_count: 0
    .symbol:         _ZN9rocsparseL19gebsrmvn_3xn_kernelILj128ELj6ELj8EdEEvi20rocsparse_direction_NS_24const_host_device_scalarIT2_EEPKiS6_PKS3_S8_S4_PS3_21rocsparse_index_base_b.kd
    .uniform_work_group_size: 1
    .uses_dynamic_stack: false
    .vgpr_count:     68
    .vgpr_spill_count: 0
    .wavefront_size: 32
    .workgroup_processor_mode: 1
  - .args:
      - .offset:         0
        .size:           4
        .value_kind:     by_value
      - .offset:         4
        .size:           4
        .value_kind:     by_value
      - .offset:         8
        .size:           8
        .value_kind:     by_value
      - .actual_access:  read_only
        .address_space:  global
        .offset:         16
        .size:           8
        .value_kind:     global_buffer
      - .actual_access:  read_only
        .address_space:  global
        .offset:         24
        .size:           8
        .value_kind:     global_buffer
      - .actual_access:  read_only
        .address_space:  global
        .offset:         32
        .size:           8
        .value_kind:     global_buffer
      - .actual_access:  read_only
        .address_space:  global
        .offset:         40
        .size:           8
        .value_kind:     global_buffer
      - .offset:         48
        .size:           8
        .value_kind:     by_value
      - .address_space:  global
        .offset:         56
        .size:           8
        .value_kind:     global_buffer
      - .offset:         64
        .size:           4
        .value_kind:     by_value
      - .offset:         68
        .size:           1
        .value_kind:     by_value
    .group_segment_fixed_size: 0
    .kernarg_segment_align: 8
    .kernarg_segment_size: 72
    .language:       OpenCL C
    .language_version:
      - 2
      - 0
    .max_flat_workgroup_size: 128
    .name:           _ZN9rocsparseL19gebsrmvn_3xn_kernelILj128ELj6ELj16EdEEvi20rocsparse_direction_NS_24const_host_device_scalarIT2_EEPKiS6_PKS3_S8_S4_PS3_21rocsparse_index_base_b
    .private_segment_fixed_size: 0
    .sgpr_count:     18
    .sgpr_spill_count: 0
    .symbol:         _ZN9rocsparseL19gebsrmvn_3xn_kernelILj128ELj6ELj16EdEEvi20rocsparse_direction_NS_24const_host_device_scalarIT2_EEPKiS6_PKS3_S8_S4_PS3_21rocsparse_index_base_b.kd
    .uniform_work_group_size: 1
    .uses_dynamic_stack: false
    .vgpr_count:     67
    .vgpr_spill_count: 0
    .wavefront_size: 32
    .workgroup_processor_mode: 1
  - .args:
      - .offset:         0
        .size:           4
        .value_kind:     by_value
      - .offset:         4
        .size:           4
        .value_kind:     by_value
      - .offset:         8
        .size:           8
        .value_kind:     by_value
      - .actual_access:  read_only
        .address_space:  global
        .offset:         16
        .size:           8
        .value_kind:     global_buffer
      - .actual_access:  read_only
        .address_space:  global
        .offset:         24
        .size:           8
        .value_kind:     global_buffer
      - .actual_access:  read_only
        .address_space:  global
        .offset:         32
        .size:           8
        .value_kind:     global_buffer
      - .actual_access:  read_only
        .address_space:  global
        .offset:         40
        .size:           8
        .value_kind:     global_buffer
      - .offset:         48
        .size:           8
        .value_kind:     by_value
      - .address_space:  global
        .offset:         56
        .size:           8
        .value_kind:     global_buffer
      - .offset:         64
        .size:           4
        .value_kind:     by_value
      - .offset:         68
        .size:           1
        .value_kind:     by_value
    .group_segment_fixed_size: 0
    .kernarg_segment_align: 8
    .kernarg_segment_size: 72
    .language:       OpenCL C
    .language_version:
      - 2
      - 0
    .max_flat_workgroup_size: 128
    .name:           _ZN9rocsparseL19gebsrmvn_3xn_kernelILj128ELj6ELj32EdEEvi20rocsparse_direction_NS_24const_host_device_scalarIT2_EEPKiS6_PKS3_S8_S4_PS3_21rocsparse_index_base_b
    .private_segment_fixed_size: 0
    .sgpr_count:     18
    .sgpr_spill_count: 0
    .symbol:         _ZN9rocsparseL19gebsrmvn_3xn_kernelILj128ELj6ELj32EdEEvi20rocsparse_direction_NS_24const_host_device_scalarIT2_EEPKiS6_PKS3_S8_S4_PS3_21rocsparse_index_base_b.kd
    .uniform_work_group_size: 1
    .uses_dynamic_stack: false
    .vgpr_count:     67
    .vgpr_spill_count: 0
    .wavefront_size: 32
    .workgroup_processor_mode: 1
  - .args:
      - .offset:         0
        .size:           4
        .value_kind:     by_value
      - .offset:         4
        .size:           4
        .value_kind:     by_value
      - .offset:         8
        .size:           8
        .value_kind:     by_value
      - .actual_access:  read_only
        .address_space:  global
        .offset:         16
        .size:           8
        .value_kind:     global_buffer
      - .actual_access:  read_only
        .address_space:  global
        .offset:         24
        .size:           8
        .value_kind:     global_buffer
      - .actual_access:  read_only
        .address_space:  global
        .offset:         32
        .size:           8
        .value_kind:     global_buffer
      - .actual_access:  read_only
        .address_space:  global
        .offset:         40
        .size:           8
        .value_kind:     global_buffer
      - .offset:         48
        .size:           8
        .value_kind:     by_value
      - .address_space:  global
        .offset:         56
        .size:           8
        .value_kind:     global_buffer
      - .offset:         64
        .size:           4
        .value_kind:     by_value
      - .offset:         68
        .size:           1
        .value_kind:     by_value
    .group_segment_fixed_size: 0
    .kernarg_segment_align: 8
    .kernarg_segment_size: 72
    .language:       OpenCL C
    .language_version:
      - 2
      - 0
    .max_flat_workgroup_size: 128
    .name:           _ZN9rocsparseL19gebsrmvn_3xn_kernelILj128ELj6ELj64EdEEvi20rocsparse_direction_NS_24const_host_device_scalarIT2_EEPKiS6_PKS3_S8_S4_PS3_21rocsparse_index_base_b
    .private_segment_fixed_size: 0
    .sgpr_count:     18
    .sgpr_spill_count: 0
    .symbol:         _ZN9rocsparseL19gebsrmvn_3xn_kernelILj128ELj6ELj64EdEEvi20rocsparse_direction_NS_24const_host_device_scalarIT2_EEPKiS6_PKS3_S8_S4_PS3_21rocsparse_index_base_b.kd
    .uniform_work_group_size: 1
    .uses_dynamic_stack: false
    .vgpr_count:     67
    .vgpr_spill_count: 0
    .wavefront_size: 32
    .workgroup_processor_mode: 1
  - .args:
      - .offset:         0
        .size:           4
        .value_kind:     by_value
      - .offset:         4
        .size:           4
        .value_kind:     by_value
      - .offset:         8
        .size:           8
        .value_kind:     by_value
      - .actual_access:  read_only
        .address_space:  global
        .offset:         16
        .size:           8
        .value_kind:     global_buffer
      - .actual_access:  read_only
        .address_space:  global
        .offset:         24
        .size:           8
        .value_kind:     global_buffer
      - .actual_access:  read_only
        .address_space:  global
        .offset:         32
        .size:           8
        .value_kind:     global_buffer
      - .actual_access:  read_only
        .address_space:  global
        .offset:         40
        .size:           8
        .value_kind:     global_buffer
      - .offset:         48
        .size:           8
        .value_kind:     by_value
      - .address_space:  global
        .offset:         56
        .size:           8
        .value_kind:     global_buffer
      - .offset:         64
        .size:           4
        .value_kind:     by_value
      - .offset:         68
        .size:           1
        .value_kind:     by_value
    .group_segment_fixed_size: 0
    .kernarg_segment_align: 8
    .kernarg_segment_size: 72
    .language:       OpenCL C
    .language_version:
      - 2
      - 0
    .max_flat_workgroup_size: 128
    .name:           _ZN9rocsparseL19gebsrmvn_3xn_kernelILj128ELj7ELj4EdEEvi20rocsparse_direction_NS_24const_host_device_scalarIT2_EEPKiS6_PKS3_S8_S4_PS3_21rocsparse_index_base_b
    .private_segment_fixed_size: 0
    .sgpr_count:     18
    .sgpr_spill_count: 0
    .symbol:         _ZN9rocsparseL19gebsrmvn_3xn_kernelILj128ELj7ELj4EdEEvi20rocsparse_direction_NS_24const_host_device_scalarIT2_EEPKiS6_PKS3_S8_S4_PS3_21rocsparse_index_base_b.kd
    .uniform_work_group_size: 1
    .uses_dynamic_stack: false
    .vgpr_count:     75
    .vgpr_spill_count: 0
    .wavefront_size: 32
    .workgroup_processor_mode: 1
  - .args:
      - .offset:         0
        .size:           4
        .value_kind:     by_value
      - .offset:         4
        .size:           4
        .value_kind:     by_value
      - .offset:         8
        .size:           8
        .value_kind:     by_value
      - .actual_access:  read_only
        .address_space:  global
        .offset:         16
        .size:           8
        .value_kind:     global_buffer
      - .actual_access:  read_only
        .address_space:  global
        .offset:         24
        .size:           8
        .value_kind:     global_buffer
      - .actual_access:  read_only
        .address_space:  global
        .offset:         32
        .size:           8
        .value_kind:     global_buffer
      - .actual_access:  read_only
        .address_space:  global
        .offset:         40
        .size:           8
        .value_kind:     global_buffer
      - .offset:         48
        .size:           8
        .value_kind:     by_value
      - .address_space:  global
        .offset:         56
        .size:           8
        .value_kind:     global_buffer
      - .offset:         64
        .size:           4
        .value_kind:     by_value
      - .offset:         68
        .size:           1
        .value_kind:     by_value
    .group_segment_fixed_size: 0
    .kernarg_segment_align: 8
    .kernarg_segment_size: 72
    .language:       OpenCL C
    .language_version:
      - 2
      - 0
    .max_flat_workgroup_size: 128
    .name:           _ZN9rocsparseL19gebsrmvn_3xn_kernelILj128ELj7ELj8EdEEvi20rocsparse_direction_NS_24const_host_device_scalarIT2_EEPKiS6_PKS3_S8_S4_PS3_21rocsparse_index_base_b
    .private_segment_fixed_size: 0
    .sgpr_count:     18
    .sgpr_spill_count: 0
    .symbol:         _ZN9rocsparseL19gebsrmvn_3xn_kernelILj128ELj7ELj8EdEEvi20rocsparse_direction_NS_24const_host_device_scalarIT2_EEPKiS6_PKS3_S8_S4_PS3_21rocsparse_index_base_b.kd
    .uniform_work_group_size: 1
    .uses_dynamic_stack: false
    .vgpr_count:     75
    .vgpr_spill_count: 0
    .wavefront_size: 32
    .workgroup_processor_mode: 1
  - .args:
      - .offset:         0
        .size:           4
        .value_kind:     by_value
      - .offset:         4
        .size:           4
        .value_kind:     by_value
      - .offset:         8
        .size:           8
        .value_kind:     by_value
      - .actual_access:  read_only
        .address_space:  global
        .offset:         16
        .size:           8
        .value_kind:     global_buffer
      - .actual_access:  read_only
        .address_space:  global
        .offset:         24
        .size:           8
        .value_kind:     global_buffer
      - .actual_access:  read_only
        .address_space:  global
        .offset:         32
        .size:           8
        .value_kind:     global_buffer
      - .actual_access:  read_only
        .address_space:  global
        .offset:         40
        .size:           8
        .value_kind:     global_buffer
      - .offset:         48
        .size:           8
        .value_kind:     by_value
      - .address_space:  global
        .offset:         56
        .size:           8
        .value_kind:     global_buffer
      - .offset:         64
        .size:           4
        .value_kind:     by_value
      - .offset:         68
        .size:           1
        .value_kind:     by_value
    .group_segment_fixed_size: 0
    .kernarg_segment_align: 8
    .kernarg_segment_size: 72
    .language:       OpenCL C
    .language_version:
      - 2
      - 0
    .max_flat_workgroup_size: 128
    .name:           _ZN9rocsparseL19gebsrmvn_3xn_kernelILj128ELj7ELj16EdEEvi20rocsparse_direction_NS_24const_host_device_scalarIT2_EEPKiS6_PKS3_S8_S4_PS3_21rocsparse_index_base_b
    .private_segment_fixed_size: 0
    .sgpr_count:     18
    .sgpr_spill_count: 0
    .symbol:         _ZN9rocsparseL19gebsrmvn_3xn_kernelILj128ELj7ELj16EdEEvi20rocsparse_direction_NS_24const_host_device_scalarIT2_EEPKiS6_PKS3_S8_S4_PS3_21rocsparse_index_base_b.kd
    .uniform_work_group_size: 1
    .uses_dynamic_stack: false
    .vgpr_count:     75
    .vgpr_spill_count: 0
    .wavefront_size: 32
    .workgroup_processor_mode: 1
  - .args:
      - .offset:         0
        .size:           4
        .value_kind:     by_value
      - .offset:         4
        .size:           4
        .value_kind:     by_value
      - .offset:         8
        .size:           8
        .value_kind:     by_value
      - .actual_access:  read_only
        .address_space:  global
        .offset:         16
        .size:           8
        .value_kind:     global_buffer
      - .actual_access:  read_only
        .address_space:  global
        .offset:         24
        .size:           8
        .value_kind:     global_buffer
      - .actual_access:  read_only
        .address_space:  global
        .offset:         32
        .size:           8
        .value_kind:     global_buffer
      - .actual_access:  read_only
        .address_space:  global
        .offset:         40
        .size:           8
        .value_kind:     global_buffer
      - .offset:         48
        .size:           8
        .value_kind:     by_value
      - .address_space:  global
        .offset:         56
        .size:           8
        .value_kind:     global_buffer
      - .offset:         64
        .size:           4
        .value_kind:     by_value
      - .offset:         68
        .size:           1
        .value_kind:     by_value
    .group_segment_fixed_size: 0
    .kernarg_segment_align: 8
    .kernarg_segment_size: 72
    .language:       OpenCL C
    .language_version:
      - 2
      - 0
    .max_flat_workgroup_size: 128
    .name:           _ZN9rocsparseL19gebsrmvn_3xn_kernelILj128ELj7ELj32EdEEvi20rocsparse_direction_NS_24const_host_device_scalarIT2_EEPKiS6_PKS3_S8_S4_PS3_21rocsparse_index_base_b
    .private_segment_fixed_size: 0
    .sgpr_count:     18
    .sgpr_spill_count: 0
    .symbol:         _ZN9rocsparseL19gebsrmvn_3xn_kernelILj128ELj7ELj32EdEEvi20rocsparse_direction_NS_24const_host_device_scalarIT2_EEPKiS6_PKS3_S8_S4_PS3_21rocsparse_index_base_b.kd
    .uniform_work_group_size: 1
    .uses_dynamic_stack: false
    .vgpr_count:     75
    .vgpr_spill_count: 0
    .wavefront_size: 32
    .workgroup_processor_mode: 1
  - .args:
      - .offset:         0
        .size:           4
        .value_kind:     by_value
      - .offset:         4
        .size:           4
        .value_kind:     by_value
      - .offset:         8
        .size:           8
        .value_kind:     by_value
      - .actual_access:  read_only
        .address_space:  global
        .offset:         16
        .size:           8
        .value_kind:     global_buffer
      - .actual_access:  read_only
        .address_space:  global
        .offset:         24
        .size:           8
        .value_kind:     global_buffer
      - .actual_access:  read_only
        .address_space:  global
        .offset:         32
        .size:           8
        .value_kind:     global_buffer
      - .actual_access:  read_only
        .address_space:  global
        .offset:         40
        .size:           8
        .value_kind:     global_buffer
      - .offset:         48
        .size:           8
        .value_kind:     by_value
      - .address_space:  global
        .offset:         56
        .size:           8
        .value_kind:     global_buffer
      - .offset:         64
        .size:           4
        .value_kind:     by_value
      - .offset:         68
        .size:           1
        .value_kind:     by_value
    .group_segment_fixed_size: 0
    .kernarg_segment_align: 8
    .kernarg_segment_size: 72
    .language:       OpenCL C
    .language_version:
      - 2
      - 0
    .max_flat_workgroup_size: 128
    .name:           _ZN9rocsparseL19gebsrmvn_3xn_kernelILj128ELj7ELj64EdEEvi20rocsparse_direction_NS_24const_host_device_scalarIT2_EEPKiS6_PKS3_S8_S4_PS3_21rocsparse_index_base_b
    .private_segment_fixed_size: 0
    .sgpr_count:     18
    .sgpr_spill_count: 0
    .symbol:         _ZN9rocsparseL19gebsrmvn_3xn_kernelILj128ELj7ELj64EdEEvi20rocsparse_direction_NS_24const_host_device_scalarIT2_EEPKiS6_PKS3_S8_S4_PS3_21rocsparse_index_base_b.kd
    .uniform_work_group_size: 1
    .uses_dynamic_stack: false
    .vgpr_count:     75
    .vgpr_spill_count: 0
    .wavefront_size: 32
    .workgroup_processor_mode: 1
  - .args:
      - .offset:         0
        .size:           4
        .value_kind:     by_value
      - .offset:         4
        .size:           4
        .value_kind:     by_value
      - .offset:         8
        .size:           8
        .value_kind:     by_value
      - .actual_access:  read_only
        .address_space:  global
        .offset:         16
        .size:           8
        .value_kind:     global_buffer
      - .actual_access:  read_only
        .address_space:  global
        .offset:         24
        .size:           8
        .value_kind:     global_buffer
      - .actual_access:  read_only
        .address_space:  global
        .offset:         32
        .size:           8
        .value_kind:     global_buffer
      - .actual_access:  read_only
        .address_space:  global
        .offset:         40
        .size:           8
        .value_kind:     global_buffer
      - .offset:         48
        .size:           8
        .value_kind:     by_value
      - .address_space:  global
        .offset:         56
        .size:           8
        .value_kind:     global_buffer
      - .offset:         64
        .size:           4
        .value_kind:     by_value
      - .offset:         68
        .size:           1
        .value_kind:     by_value
    .group_segment_fixed_size: 0
    .kernarg_segment_align: 8
    .kernarg_segment_size: 72
    .language:       OpenCL C
    .language_version:
      - 2
      - 0
    .max_flat_workgroup_size: 128
    .name:           _ZN9rocsparseL19gebsrmvn_3xn_kernelILj128ELj8ELj4EdEEvi20rocsparse_direction_NS_24const_host_device_scalarIT2_EEPKiS6_PKS3_S8_S4_PS3_21rocsparse_index_base_b
    .private_segment_fixed_size: 0
    .sgpr_count:     18
    .sgpr_spill_count: 0
    .symbol:         _ZN9rocsparseL19gebsrmvn_3xn_kernelILj128ELj8ELj4EdEEvi20rocsparse_direction_NS_24const_host_device_scalarIT2_EEPKiS6_PKS3_S8_S4_PS3_21rocsparse_index_base_b.kd
    .uniform_work_group_size: 1
    .uses_dynamic_stack: false
    .vgpr_count:     84
    .vgpr_spill_count: 0
    .wavefront_size: 32
    .workgroup_processor_mode: 1
  - .args:
      - .offset:         0
        .size:           4
        .value_kind:     by_value
      - .offset:         4
        .size:           4
        .value_kind:     by_value
      - .offset:         8
        .size:           8
        .value_kind:     by_value
      - .actual_access:  read_only
        .address_space:  global
        .offset:         16
        .size:           8
        .value_kind:     global_buffer
      - .actual_access:  read_only
        .address_space:  global
        .offset:         24
        .size:           8
        .value_kind:     global_buffer
      - .actual_access:  read_only
        .address_space:  global
        .offset:         32
        .size:           8
        .value_kind:     global_buffer
      - .actual_access:  read_only
        .address_space:  global
        .offset:         40
        .size:           8
        .value_kind:     global_buffer
      - .offset:         48
        .size:           8
        .value_kind:     by_value
      - .address_space:  global
        .offset:         56
        .size:           8
        .value_kind:     global_buffer
      - .offset:         64
        .size:           4
        .value_kind:     by_value
      - .offset:         68
        .size:           1
        .value_kind:     by_value
    .group_segment_fixed_size: 0
    .kernarg_segment_align: 8
    .kernarg_segment_size: 72
    .language:       OpenCL C
    .language_version:
      - 2
      - 0
    .max_flat_workgroup_size: 128
    .name:           _ZN9rocsparseL19gebsrmvn_3xn_kernelILj128ELj8ELj8EdEEvi20rocsparse_direction_NS_24const_host_device_scalarIT2_EEPKiS6_PKS3_S8_S4_PS3_21rocsparse_index_base_b
    .private_segment_fixed_size: 0
    .sgpr_count:     18
    .sgpr_spill_count: 0
    .symbol:         _ZN9rocsparseL19gebsrmvn_3xn_kernelILj128ELj8ELj8EdEEvi20rocsparse_direction_NS_24const_host_device_scalarIT2_EEPKiS6_PKS3_S8_S4_PS3_21rocsparse_index_base_b.kd
    .uniform_work_group_size: 1
    .uses_dynamic_stack: false
    .vgpr_count:     84
    .vgpr_spill_count: 0
    .wavefront_size: 32
    .workgroup_processor_mode: 1
  - .args:
      - .offset:         0
        .size:           4
        .value_kind:     by_value
      - .offset:         4
        .size:           4
        .value_kind:     by_value
      - .offset:         8
        .size:           8
        .value_kind:     by_value
      - .actual_access:  read_only
        .address_space:  global
        .offset:         16
        .size:           8
        .value_kind:     global_buffer
      - .actual_access:  read_only
        .address_space:  global
        .offset:         24
        .size:           8
        .value_kind:     global_buffer
      - .actual_access:  read_only
        .address_space:  global
        .offset:         32
        .size:           8
        .value_kind:     global_buffer
      - .actual_access:  read_only
        .address_space:  global
        .offset:         40
        .size:           8
        .value_kind:     global_buffer
      - .offset:         48
        .size:           8
        .value_kind:     by_value
      - .address_space:  global
        .offset:         56
        .size:           8
        .value_kind:     global_buffer
      - .offset:         64
        .size:           4
        .value_kind:     by_value
      - .offset:         68
        .size:           1
        .value_kind:     by_value
    .group_segment_fixed_size: 0
    .kernarg_segment_align: 8
    .kernarg_segment_size: 72
    .language:       OpenCL C
    .language_version:
      - 2
      - 0
    .max_flat_workgroup_size: 128
    .name:           _ZN9rocsparseL19gebsrmvn_3xn_kernelILj128ELj8ELj16EdEEvi20rocsparse_direction_NS_24const_host_device_scalarIT2_EEPKiS6_PKS3_S8_S4_PS3_21rocsparse_index_base_b
    .private_segment_fixed_size: 0
    .sgpr_count:     18
    .sgpr_spill_count: 0
    .symbol:         _ZN9rocsparseL19gebsrmvn_3xn_kernelILj128ELj8ELj16EdEEvi20rocsparse_direction_NS_24const_host_device_scalarIT2_EEPKiS6_PKS3_S8_S4_PS3_21rocsparse_index_base_b.kd
    .uniform_work_group_size: 1
    .uses_dynamic_stack: false
    .vgpr_count:     84
    .vgpr_spill_count: 0
    .wavefront_size: 32
    .workgroup_processor_mode: 1
  - .args:
      - .offset:         0
        .size:           4
        .value_kind:     by_value
      - .offset:         4
        .size:           4
        .value_kind:     by_value
      - .offset:         8
        .size:           8
        .value_kind:     by_value
      - .actual_access:  read_only
        .address_space:  global
        .offset:         16
        .size:           8
        .value_kind:     global_buffer
      - .actual_access:  read_only
        .address_space:  global
        .offset:         24
        .size:           8
        .value_kind:     global_buffer
      - .actual_access:  read_only
        .address_space:  global
        .offset:         32
        .size:           8
        .value_kind:     global_buffer
      - .actual_access:  read_only
        .address_space:  global
        .offset:         40
        .size:           8
        .value_kind:     global_buffer
      - .offset:         48
        .size:           8
        .value_kind:     by_value
      - .address_space:  global
        .offset:         56
        .size:           8
        .value_kind:     global_buffer
      - .offset:         64
        .size:           4
        .value_kind:     by_value
      - .offset:         68
        .size:           1
        .value_kind:     by_value
    .group_segment_fixed_size: 0
    .kernarg_segment_align: 8
    .kernarg_segment_size: 72
    .language:       OpenCL C
    .language_version:
      - 2
      - 0
    .max_flat_workgroup_size: 128
    .name:           _ZN9rocsparseL19gebsrmvn_3xn_kernelILj128ELj8ELj32EdEEvi20rocsparse_direction_NS_24const_host_device_scalarIT2_EEPKiS6_PKS3_S8_S4_PS3_21rocsparse_index_base_b
    .private_segment_fixed_size: 0
    .sgpr_count:     18
    .sgpr_spill_count: 0
    .symbol:         _ZN9rocsparseL19gebsrmvn_3xn_kernelILj128ELj8ELj32EdEEvi20rocsparse_direction_NS_24const_host_device_scalarIT2_EEPKiS6_PKS3_S8_S4_PS3_21rocsparse_index_base_b.kd
    .uniform_work_group_size: 1
    .uses_dynamic_stack: false
    .vgpr_count:     83
    .vgpr_spill_count: 0
    .wavefront_size: 32
    .workgroup_processor_mode: 1
  - .args:
      - .offset:         0
        .size:           4
        .value_kind:     by_value
      - .offset:         4
        .size:           4
        .value_kind:     by_value
      - .offset:         8
        .size:           8
        .value_kind:     by_value
      - .actual_access:  read_only
        .address_space:  global
        .offset:         16
        .size:           8
        .value_kind:     global_buffer
      - .actual_access:  read_only
        .address_space:  global
        .offset:         24
        .size:           8
        .value_kind:     global_buffer
      - .actual_access:  read_only
        .address_space:  global
        .offset:         32
        .size:           8
        .value_kind:     global_buffer
      - .actual_access:  read_only
        .address_space:  global
        .offset:         40
        .size:           8
        .value_kind:     global_buffer
      - .offset:         48
        .size:           8
        .value_kind:     by_value
      - .address_space:  global
        .offset:         56
        .size:           8
        .value_kind:     global_buffer
      - .offset:         64
        .size:           4
        .value_kind:     by_value
      - .offset:         68
        .size:           1
        .value_kind:     by_value
    .group_segment_fixed_size: 0
    .kernarg_segment_align: 8
    .kernarg_segment_size: 72
    .language:       OpenCL C
    .language_version:
      - 2
      - 0
    .max_flat_workgroup_size: 128
    .name:           _ZN9rocsparseL19gebsrmvn_3xn_kernelILj128ELj8ELj64EdEEvi20rocsparse_direction_NS_24const_host_device_scalarIT2_EEPKiS6_PKS3_S8_S4_PS3_21rocsparse_index_base_b
    .private_segment_fixed_size: 0
    .sgpr_count:     18
    .sgpr_spill_count: 0
    .symbol:         _ZN9rocsparseL19gebsrmvn_3xn_kernelILj128ELj8ELj64EdEEvi20rocsparse_direction_NS_24const_host_device_scalarIT2_EEPKiS6_PKS3_S8_S4_PS3_21rocsparse_index_base_b.kd
    .uniform_work_group_size: 1
    .uses_dynamic_stack: false
    .vgpr_count:     83
    .vgpr_spill_count: 0
    .wavefront_size: 32
    .workgroup_processor_mode: 1
  - .args:
      - .offset:         0
        .size:           4
        .value_kind:     by_value
      - .offset:         4
        .size:           4
        .value_kind:     by_value
      - .offset:         8
        .size:           8
        .value_kind:     by_value
      - .actual_access:  read_only
        .address_space:  global
        .offset:         16
        .size:           8
        .value_kind:     global_buffer
      - .actual_access:  read_only
        .address_space:  global
        .offset:         24
        .size:           8
        .value_kind:     global_buffer
      - .actual_access:  read_only
        .address_space:  global
        .offset:         32
        .size:           8
        .value_kind:     global_buffer
      - .offset:         40
        .size:           4
        .value_kind:     by_value
      - .offset:         44
        .size:           4
        .value_kind:     by_value
      - .actual_access:  read_only
        .address_space:  global
        .offset:         48
        .size:           8
        .value_kind:     global_buffer
      - .offset:         56
        .size:           8
        .value_kind:     by_value
      - .address_space:  global
        .offset:         64
        .size:           8
        .value_kind:     global_buffer
      - .offset:         72
        .size:           4
        .value_kind:     by_value
      - .offset:         76
        .size:           1
        .value_kind:     by_value
    .group_segment_fixed_size: 0
    .kernarg_segment_align: 8
    .kernarg_segment_size: 80
    .language:       OpenCL C
    .language_version:
      - 2
      - 0
    .max_flat_workgroup_size: 48
    .name:           _ZN9rocsparseL23gebsrmvn_general_kernelILj48ELj16EdEEvi20rocsparse_direction_NS_24const_host_device_scalarIT1_EEPKiS6_PKS3_iiS8_S4_PS3_21rocsparse_index_base_b
    .private_segment_fixed_size: 0
    .sgpr_count:     30
    .sgpr_spill_count: 0
    .symbol:         _ZN9rocsparseL23gebsrmvn_general_kernelILj48ELj16EdEEvi20rocsparse_direction_NS_24const_host_device_scalarIT1_EEPKiS6_PKS3_iiS8_S4_PS3_21rocsparse_index_base_b.kd
    .uniform_work_group_size: 1
    .uses_dynamic_stack: false
    .vgpr_count:     19
    .vgpr_spill_count: 0
    .wavefront_size: 32
    .workgroup_processor_mode: 1
  - .args:
      - .offset:         0
        .size:           4
        .value_kind:     by_value
      - .offset:         4
        .size:           4
        .value_kind:     by_value
      - .offset:         8
        .size:           8
        .value_kind:     by_value
      - .actual_access:  read_only
        .address_space:  global
        .offset:         16
        .size:           8
        .value_kind:     global_buffer
      - .actual_access:  read_only
        .address_space:  global
        .offset:         24
        .size:           8
        .value_kind:     global_buffer
      - .actual_access:  read_only
        .address_space:  global
        .offset:         32
        .size:           8
        .value_kind:     global_buffer
      - .offset:         40
        .size:           4
        .value_kind:     by_value
      - .offset:         44
        .size:           4
        .value_kind:     by_value
      - .actual_access:  read_only
        .address_space:  global
        .offset:         48
        .size:           8
        .value_kind:     global_buffer
      - .offset:         56
        .size:           8
        .value_kind:     by_value
      - .address_space:  global
        .offset:         64
        .size:           8
        .value_kind:     global_buffer
      - .offset:         72
        .size:           4
        .value_kind:     by_value
      - .offset:         76
        .size:           1
        .value_kind:     by_value
    .group_segment_fixed_size: 0
    .kernarg_segment_align: 8
    .kernarg_segment_size: 80
    .language:       OpenCL C
    .language_version:
      - 2
      - 0
    .max_flat_workgroup_size: 96
    .name:           _ZN9rocsparseL23gebsrmvn_general_kernelILj96ELj32EdEEvi20rocsparse_direction_NS_24const_host_device_scalarIT1_EEPKiS6_PKS3_iiS8_S4_PS3_21rocsparse_index_base_b
    .private_segment_fixed_size: 0
    .sgpr_count:     30
    .sgpr_spill_count: 0
    .symbol:         _ZN9rocsparseL23gebsrmvn_general_kernelILj96ELj32EdEEvi20rocsparse_direction_NS_24const_host_device_scalarIT1_EEPKiS6_PKS3_iiS8_S4_PS3_21rocsparse_index_base_b.kd
    .uniform_work_group_size: 1
    .uses_dynamic_stack: false
    .vgpr_count:     20
    .vgpr_spill_count: 0
    .wavefront_size: 32
    .workgroup_processor_mode: 1
  - .args:
      - .offset:         0
        .size:           4
        .value_kind:     by_value
      - .offset:         4
        .size:           4
        .value_kind:     by_value
      - .offset:         8
        .size:           8
        .value_kind:     by_value
      - .actual_access:  read_only
        .address_space:  global
        .offset:         16
        .size:           8
        .value_kind:     global_buffer
      - .actual_access:  read_only
        .address_space:  global
        .offset:         24
        .size:           8
        .value_kind:     global_buffer
      - .actual_access:  read_only
        .address_space:  global
        .offset:         32
        .size:           8
        .value_kind:     global_buffer
      - .actual_access:  read_only
        .address_space:  global
        .offset:         40
        .size:           8
        .value_kind:     global_buffer
      - .offset:         48
        .size:           8
        .value_kind:     by_value
      - .address_space:  global
        .offset:         56
        .size:           8
        .value_kind:     global_buffer
      - .offset:         64
        .size:           4
        .value_kind:     by_value
      - .offset:         68
        .size:           1
        .value_kind:     by_value
    .group_segment_fixed_size: 0
    .kernarg_segment_align: 8
    .kernarg_segment_size: 72
    .language:       OpenCL C
    .language_version:
      - 2
      - 0
    .max_flat_workgroup_size: 128
    .name:           _ZN9rocsparseL19gebsrmvn_3xn_kernelILj128ELj1ELj4E21rocsparse_complex_numIfEEEvi20rocsparse_direction_NS_24const_host_device_scalarIT2_EEPKiS8_PKS5_SA_S6_PS5_21rocsparse_index_base_b
    .private_segment_fixed_size: 0
    .sgpr_count:     18
    .sgpr_spill_count: 0
    .symbol:         _ZN9rocsparseL19gebsrmvn_3xn_kernelILj128ELj1ELj4E21rocsparse_complex_numIfEEEvi20rocsparse_direction_NS_24const_host_device_scalarIT2_EEPKiS8_PKS5_SA_S6_PS5_21rocsparse_index_base_b.kd
    .uniform_work_group_size: 1
    .uses_dynamic_stack: false
    .vgpr_count:     27
    .vgpr_spill_count: 0
    .wavefront_size: 32
    .workgroup_processor_mode: 1
  - .args:
      - .offset:         0
        .size:           4
        .value_kind:     by_value
      - .offset:         4
        .size:           4
        .value_kind:     by_value
      - .offset:         8
        .size:           8
        .value_kind:     by_value
      - .actual_access:  read_only
        .address_space:  global
        .offset:         16
        .size:           8
        .value_kind:     global_buffer
      - .actual_access:  read_only
        .address_space:  global
        .offset:         24
        .size:           8
        .value_kind:     global_buffer
      - .actual_access:  read_only
        .address_space:  global
        .offset:         32
        .size:           8
        .value_kind:     global_buffer
      - .actual_access:  read_only
        .address_space:  global
        .offset:         40
        .size:           8
        .value_kind:     global_buffer
      - .offset:         48
        .size:           8
        .value_kind:     by_value
      - .address_space:  global
        .offset:         56
        .size:           8
        .value_kind:     global_buffer
      - .offset:         64
        .size:           4
        .value_kind:     by_value
      - .offset:         68
        .size:           1
        .value_kind:     by_value
    .group_segment_fixed_size: 0
    .kernarg_segment_align: 8
    .kernarg_segment_size: 72
    .language:       OpenCL C
    .language_version:
      - 2
      - 0
    .max_flat_workgroup_size: 128
    .name:           _ZN9rocsparseL19gebsrmvn_3xn_kernelILj128ELj1ELj8E21rocsparse_complex_numIfEEEvi20rocsparse_direction_NS_24const_host_device_scalarIT2_EEPKiS8_PKS5_SA_S6_PS5_21rocsparse_index_base_b
    .private_segment_fixed_size: 0
    .sgpr_count:     18
    .sgpr_spill_count: 0
    .symbol:         _ZN9rocsparseL19gebsrmvn_3xn_kernelILj128ELj1ELj8E21rocsparse_complex_numIfEEEvi20rocsparse_direction_NS_24const_host_device_scalarIT2_EEPKiS8_PKS5_SA_S6_PS5_21rocsparse_index_base_b.kd
    .uniform_work_group_size: 1
    .uses_dynamic_stack: false
    .vgpr_count:     27
    .vgpr_spill_count: 0
    .wavefront_size: 32
    .workgroup_processor_mode: 1
  - .args:
      - .offset:         0
        .size:           4
        .value_kind:     by_value
      - .offset:         4
        .size:           4
        .value_kind:     by_value
      - .offset:         8
        .size:           8
        .value_kind:     by_value
      - .actual_access:  read_only
        .address_space:  global
        .offset:         16
        .size:           8
        .value_kind:     global_buffer
      - .actual_access:  read_only
        .address_space:  global
        .offset:         24
        .size:           8
        .value_kind:     global_buffer
      - .actual_access:  read_only
        .address_space:  global
        .offset:         32
        .size:           8
        .value_kind:     global_buffer
      - .actual_access:  read_only
        .address_space:  global
        .offset:         40
        .size:           8
        .value_kind:     global_buffer
      - .offset:         48
        .size:           8
        .value_kind:     by_value
      - .address_space:  global
        .offset:         56
        .size:           8
        .value_kind:     global_buffer
      - .offset:         64
        .size:           4
        .value_kind:     by_value
      - .offset:         68
        .size:           1
        .value_kind:     by_value
    .group_segment_fixed_size: 0
    .kernarg_segment_align: 8
    .kernarg_segment_size: 72
    .language:       OpenCL C
    .language_version:
      - 2
      - 0
    .max_flat_workgroup_size: 128
    .name:           _ZN9rocsparseL19gebsrmvn_3xn_kernelILj128ELj1ELj16E21rocsparse_complex_numIfEEEvi20rocsparse_direction_NS_24const_host_device_scalarIT2_EEPKiS8_PKS5_SA_S6_PS5_21rocsparse_index_base_b
    .private_segment_fixed_size: 0
    .sgpr_count:     18
    .sgpr_spill_count: 0
    .symbol:         _ZN9rocsparseL19gebsrmvn_3xn_kernelILj128ELj1ELj16E21rocsparse_complex_numIfEEEvi20rocsparse_direction_NS_24const_host_device_scalarIT2_EEPKiS8_PKS5_SA_S6_PS5_21rocsparse_index_base_b.kd
    .uniform_work_group_size: 1
    .uses_dynamic_stack: false
    .vgpr_count:     27
    .vgpr_spill_count: 0
    .wavefront_size: 32
    .workgroup_processor_mode: 1
  - .args:
      - .offset:         0
        .size:           4
        .value_kind:     by_value
      - .offset:         4
        .size:           4
        .value_kind:     by_value
      - .offset:         8
        .size:           8
        .value_kind:     by_value
      - .actual_access:  read_only
        .address_space:  global
        .offset:         16
        .size:           8
        .value_kind:     global_buffer
      - .actual_access:  read_only
        .address_space:  global
        .offset:         24
        .size:           8
        .value_kind:     global_buffer
      - .actual_access:  read_only
        .address_space:  global
        .offset:         32
        .size:           8
        .value_kind:     global_buffer
      - .actual_access:  read_only
        .address_space:  global
        .offset:         40
        .size:           8
        .value_kind:     global_buffer
      - .offset:         48
        .size:           8
        .value_kind:     by_value
      - .address_space:  global
        .offset:         56
        .size:           8
        .value_kind:     global_buffer
      - .offset:         64
        .size:           4
        .value_kind:     by_value
      - .offset:         68
        .size:           1
        .value_kind:     by_value
    .group_segment_fixed_size: 0
    .kernarg_segment_align: 8
    .kernarg_segment_size: 72
    .language:       OpenCL C
    .language_version:
      - 2
      - 0
    .max_flat_workgroup_size: 128
    .name:           _ZN9rocsparseL19gebsrmvn_3xn_kernelILj128ELj1ELj32E21rocsparse_complex_numIfEEEvi20rocsparse_direction_NS_24const_host_device_scalarIT2_EEPKiS8_PKS5_SA_S6_PS5_21rocsparse_index_base_b
    .private_segment_fixed_size: 0
    .sgpr_count:     18
    .sgpr_spill_count: 0
    .symbol:         _ZN9rocsparseL19gebsrmvn_3xn_kernelILj128ELj1ELj32E21rocsparse_complex_numIfEEEvi20rocsparse_direction_NS_24const_host_device_scalarIT2_EEPKiS8_PKS5_SA_S6_PS5_21rocsparse_index_base_b.kd
    .uniform_work_group_size: 1
    .uses_dynamic_stack: false
    .vgpr_count:     27
    .vgpr_spill_count: 0
    .wavefront_size: 32
    .workgroup_processor_mode: 1
  - .args:
      - .offset:         0
        .size:           4
        .value_kind:     by_value
      - .offset:         4
        .size:           4
        .value_kind:     by_value
      - .offset:         8
        .size:           8
        .value_kind:     by_value
      - .actual_access:  read_only
        .address_space:  global
        .offset:         16
        .size:           8
        .value_kind:     global_buffer
      - .actual_access:  read_only
        .address_space:  global
        .offset:         24
        .size:           8
        .value_kind:     global_buffer
      - .actual_access:  read_only
        .address_space:  global
        .offset:         32
        .size:           8
        .value_kind:     global_buffer
      - .actual_access:  read_only
        .address_space:  global
        .offset:         40
        .size:           8
        .value_kind:     global_buffer
      - .offset:         48
        .size:           8
        .value_kind:     by_value
      - .address_space:  global
        .offset:         56
        .size:           8
        .value_kind:     global_buffer
      - .offset:         64
        .size:           4
        .value_kind:     by_value
      - .offset:         68
        .size:           1
        .value_kind:     by_value
    .group_segment_fixed_size: 0
    .kernarg_segment_align: 8
    .kernarg_segment_size: 72
    .language:       OpenCL C
    .language_version:
      - 2
      - 0
    .max_flat_workgroup_size: 128
    .name:           _ZN9rocsparseL19gebsrmvn_3xn_kernelILj128ELj1ELj64E21rocsparse_complex_numIfEEEvi20rocsparse_direction_NS_24const_host_device_scalarIT2_EEPKiS8_PKS5_SA_S6_PS5_21rocsparse_index_base_b
    .private_segment_fixed_size: 0
    .sgpr_count:     18
    .sgpr_spill_count: 0
    .symbol:         _ZN9rocsparseL19gebsrmvn_3xn_kernelILj128ELj1ELj64E21rocsparse_complex_numIfEEEvi20rocsparse_direction_NS_24const_host_device_scalarIT2_EEPKiS8_PKS5_SA_S6_PS5_21rocsparse_index_base_b.kd
    .uniform_work_group_size: 1
    .uses_dynamic_stack: false
    .vgpr_count:     27
    .vgpr_spill_count: 0
    .wavefront_size: 32
    .workgroup_processor_mode: 1
  - .args:
      - .offset:         0
        .size:           4
        .value_kind:     by_value
      - .offset:         4
        .size:           4
        .value_kind:     by_value
      - .offset:         8
        .size:           8
        .value_kind:     by_value
      - .actual_access:  read_only
        .address_space:  global
        .offset:         16
        .size:           8
        .value_kind:     global_buffer
      - .actual_access:  read_only
        .address_space:  global
        .offset:         24
        .size:           8
        .value_kind:     global_buffer
      - .actual_access:  read_only
        .address_space:  global
        .offset:         32
        .size:           8
        .value_kind:     global_buffer
      - .actual_access:  read_only
        .address_space:  global
        .offset:         40
        .size:           8
        .value_kind:     global_buffer
      - .offset:         48
        .size:           8
        .value_kind:     by_value
      - .address_space:  global
        .offset:         56
        .size:           8
        .value_kind:     global_buffer
      - .offset:         64
        .size:           4
        .value_kind:     by_value
      - .offset:         68
        .size:           1
        .value_kind:     by_value
    .group_segment_fixed_size: 0
    .kernarg_segment_align: 8
    .kernarg_segment_size: 72
    .language:       OpenCL C
    .language_version:
      - 2
      - 0
    .max_flat_workgroup_size: 128
    .name:           _ZN9rocsparseL19gebsrmvn_3xn_kernelILj128ELj2ELj4E21rocsparse_complex_numIfEEEvi20rocsparse_direction_NS_24const_host_device_scalarIT2_EEPKiS8_PKS5_SA_S6_PS5_21rocsparse_index_base_b
    .private_segment_fixed_size: 0
    .sgpr_count:     18
    .sgpr_spill_count: 0
    .symbol:         _ZN9rocsparseL19gebsrmvn_3xn_kernelILj128ELj2ELj4E21rocsparse_complex_numIfEEEvi20rocsparse_direction_NS_24const_host_device_scalarIT2_EEPKiS8_PKS5_SA_S6_PS5_21rocsparse_index_base_b.kd
    .uniform_work_group_size: 1
    .uses_dynamic_stack: false
    .vgpr_count:     34
    .vgpr_spill_count: 0
    .wavefront_size: 32
    .workgroup_processor_mode: 1
  - .args:
      - .offset:         0
        .size:           4
        .value_kind:     by_value
      - .offset:         4
        .size:           4
        .value_kind:     by_value
      - .offset:         8
        .size:           8
        .value_kind:     by_value
      - .actual_access:  read_only
        .address_space:  global
        .offset:         16
        .size:           8
        .value_kind:     global_buffer
      - .actual_access:  read_only
        .address_space:  global
        .offset:         24
        .size:           8
        .value_kind:     global_buffer
      - .actual_access:  read_only
        .address_space:  global
        .offset:         32
        .size:           8
        .value_kind:     global_buffer
      - .actual_access:  read_only
        .address_space:  global
        .offset:         40
        .size:           8
        .value_kind:     global_buffer
      - .offset:         48
        .size:           8
        .value_kind:     by_value
      - .address_space:  global
        .offset:         56
        .size:           8
        .value_kind:     global_buffer
      - .offset:         64
        .size:           4
        .value_kind:     by_value
      - .offset:         68
        .size:           1
        .value_kind:     by_value
    .group_segment_fixed_size: 0
    .kernarg_segment_align: 8
    .kernarg_segment_size: 72
    .language:       OpenCL C
    .language_version:
      - 2
      - 0
    .max_flat_workgroup_size: 128
    .name:           _ZN9rocsparseL19gebsrmvn_3xn_kernelILj128ELj2ELj8E21rocsparse_complex_numIfEEEvi20rocsparse_direction_NS_24const_host_device_scalarIT2_EEPKiS8_PKS5_SA_S6_PS5_21rocsparse_index_base_b
    .private_segment_fixed_size: 0
    .sgpr_count:     18
    .sgpr_spill_count: 0
    .symbol:         _ZN9rocsparseL19gebsrmvn_3xn_kernelILj128ELj2ELj8E21rocsparse_complex_numIfEEEvi20rocsparse_direction_NS_24const_host_device_scalarIT2_EEPKiS8_PKS5_SA_S6_PS5_21rocsparse_index_base_b.kd
    .uniform_work_group_size: 1
    .uses_dynamic_stack: false
    .vgpr_count:     34
    .vgpr_spill_count: 0
    .wavefront_size: 32
    .workgroup_processor_mode: 1
  - .args:
      - .offset:         0
        .size:           4
        .value_kind:     by_value
      - .offset:         4
        .size:           4
        .value_kind:     by_value
      - .offset:         8
        .size:           8
        .value_kind:     by_value
      - .actual_access:  read_only
        .address_space:  global
        .offset:         16
        .size:           8
        .value_kind:     global_buffer
      - .actual_access:  read_only
        .address_space:  global
        .offset:         24
        .size:           8
        .value_kind:     global_buffer
      - .actual_access:  read_only
        .address_space:  global
        .offset:         32
        .size:           8
        .value_kind:     global_buffer
      - .actual_access:  read_only
        .address_space:  global
        .offset:         40
        .size:           8
        .value_kind:     global_buffer
      - .offset:         48
        .size:           8
        .value_kind:     by_value
      - .address_space:  global
        .offset:         56
        .size:           8
        .value_kind:     global_buffer
      - .offset:         64
        .size:           4
        .value_kind:     by_value
      - .offset:         68
        .size:           1
        .value_kind:     by_value
    .group_segment_fixed_size: 0
    .kernarg_segment_align: 8
    .kernarg_segment_size: 72
    .language:       OpenCL C
    .language_version:
      - 2
      - 0
    .max_flat_workgroup_size: 128
    .name:           _ZN9rocsparseL19gebsrmvn_3xn_kernelILj128ELj2ELj16E21rocsparse_complex_numIfEEEvi20rocsparse_direction_NS_24const_host_device_scalarIT2_EEPKiS8_PKS5_SA_S6_PS5_21rocsparse_index_base_b
    .private_segment_fixed_size: 0
    .sgpr_count:     18
    .sgpr_spill_count: 0
    .symbol:         _ZN9rocsparseL19gebsrmvn_3xn_kernelILj128ELj2ELj16E21rocsparse_complex_numIfEEEvi20rocsparse_direction_NS_24const_host_device_scalarIT2_EEPKiS8_PKS5_SA_S6_PS5_21rocsparse_index_base_b.kd
    .uniform_work_group_size: 1
    .uses_dynamic_stack: false
    .vgpr_count:     34
    .vgpr_spill_count: 0
    .wavefront_size: 32
    .workgroup_processor_mode: 1
  - .args:
      - .offset:         0
        .size:           4
        .value_kind:     by_value
      - .offset:         4
        .size:           4
        .value_kind:     by_value
      - .offset:         8
        .size:           8
        .value_kind:     by_value
      - .actual_access:  read_only
        .address_space:  global
        .offset:         16
        .size:           8
        .value_kind:     global_buffer
      - .actual_access:  read_only
        .address_space:  global
        .offset:         24
        .size:           8
        .value_kind:     global_buffer
      - .actual_access:  read_only
        .address_space:  global
        .offset:         32
        .size:           8
        .value_kind:     global_buffer
      - .actual_access:  read_only
        .address_space:  global
        .offset:         40
        .size:           8
        .value_kind:     global_buffer
      - .offset:         48
        .size:           8
        .value_kind:     by_value
      - .address_space:  global
        .offset:         56
        .size:           8
        .value_kind:     global_buffer
      - .offset:         64
        .size:           4
        .value_kind:     by_value
      - .offset:         68
        .size:           1
        .value_kind:     by_value
    .group_segment_fixed_size: 0
    .kernarg_segment_align: 8
    .kernarg_segment_size: 72
    .language:       OpenCL C
    .language_version:
      - 2
      - 0
    .max_flat_workgroup_size: 128
    .name:           _ZN9rocsparseL19gebsrmvn_3xn_kernelILj128ELj2ELj32E21rocsparse_complex_numIfEEEvi20rocsparse_direction_NS_24const_host_device_scalarIT2_EEPKiS8_PKS5_SA_S6_PS5_21rocsparse_index_base_b
    .private_segment_fixed_size: 0
    .sgpr_count:     18
    .sgpr_spill_count: 0
    .symbol:         _ZN9rocsparseL19gebsrmvn_3xn_kernelILj128ELj2ELj32E21rocsparse_complex_numIfEEEvi20rocsparse_direction_NS_24const_host_device_scalarIT2_EEPKiS8_PKS5_SA_S6_PS5_21rocsparse_index_base_b.kd
    .uniform_work_group_size: 1
    .uses_dynamic_stack: false
    .vgpr_count:     34
    .vgpr_spill_count: 0
    .wavefront_size: 32
    .workgroup_processor_mode: 1
  - .args:
      - .offset:         0
        .size:           4
        .value_kind:     by_value
      - .offset:         4
        .size:           4
        .value_kind:     by_value
      - .offset:         8
        .size:           8
        .value_kind:     by_value
      - .actual_access:  read_only
        .address_space:  global
        .offset:         16
        .size:           8
        .value_kind:     global_buffer
      - .actual_access:  read_only
        .address_space:  global
        .offset:         24
        .size:           8
        .value_kind:     global_buffer
      - .actual_access:  read_only
        .address_space:  global
        .offset:         32
        .size:           8
        .value_kind:     global_buffer
      - .actual_access:  read_only
        .address_space:  global
        .offset:         40
        .size:           8
        .value_kind:     global_buffer
      - .offset:         48
        .size:           8
        .value_kind:     by_value
      - .address_space:  global
        .offset:         56
        .size:           8
        .value_kind:     global_buffer
      - .offset:         64
        .size:           4
        .value_kind:     by_value
      - .offset:         68
        .size:           1
        .value_kind:     by_value
    .group_segment_fixed_size: 0
    .kernarg_segment_align: 8
    .kernarg_segment_size: 72
    .language:       OpenCL C
    .language_version:
      - 2
      - 0
    .max_flat_workgroup_size: 128
    .name:           _ZN9rocsparseL19gebsrmvn_3xn_kernelILj128ELj2ELj64E21rocsparse_complex_numIfEEEvi20rocsparse_direction_NS_24const_host_device_scalarIT2_EEPKiS8_PKS5_SA_S6_PS5_21rocsparse_index_base_b
    .private_segment_fixed_size: 0
    .sgpr_count:     18
    .sgpr_spill_count: 0
    .symbol:         _ZN9rocsparseL19gebsrmvn_3xn_kernelILj128ELj2ELj64E21rocsparse_complex_numIfEEEvi20rocsparse_direction_NS_24const_host_device_scalarIT2_EEPKiS8_PKS5_SA_S6_PS5_21rocsparse_index_base_b.kd
    .uniform_work_group_size: 1
    .uses_dynamic_stack: false
    .vgpr_count:     34
    .vgpr_spill_count: 0
    .wavefront_size: 32
    .workgroup_processor_mode: 1
  - .args:
      - .offset:         0
        .size:           4
        .value_kind:     by_value
      - .offset:         4
        .size:           4
        .value_kind:     by_value
      - .offset:         8
        .size:           8
        .value_kind:     by_value
      - .actual_access:  read_only
        .address_space:  global
        .offset:         16
        .size:           8
        .value_kind:     global_buffer
      - .actual_access:  read_only
        .address_space:  global
        .offset:         24
        .size:           8
        .value_kind:     global_buffer
      - .actual_access:  read_only
        .address_space:  global
        .offset:         32
        .size:           8
        .value_kind:     global_buffer
      - .actual_access:  read_only
        .address_space:  global
        .offset:         40
        .size:           8
        .value_kind:     global_buffer
      - .offset:         48
        .size:           8
        .value_kind:     by_value
      - .address_space:  global
        .offset:         56
        .size:           8
        .value_kind:     global_buffer
      - .offset:         64
        .size:           4
        .value_kind:     by_value
      - .offset:         68
        .size:           1
        .value_kind:     by_value
    .group_segment_fixed_size: 0
    .kernarg_segment_align: 8
    .kernarg_segment_size: 72
    .language:       OpenCL C
    .language_version:
      - 2
      - 0
    .max_flat_workgroup_size: 128
    .name:           _ZN9rocsparseL19gebsrmvn_3xn_kernelILj128ELj4ELj4E21rocsparse_complex_numIfEEEvi20rocsparse_direction_NS_24const_host_device_scalarIT2_EEPKiS8_PKS5_SA_S6_PS5_21rocsparse_index_base_b
    .private_segment_fixed_size: 0
    .sgpr_count:     18
    .sgpr_spill_count: 0
    .symbol:         _ZN9rocsparseL19gebsrmvn_3xn_kernelILj128ELj4ELj4E21rocsparse_complex_numIfEEEvi20rocsparse_direction_NS_24const_host_device_scalarIT2_EEPKiS8_PKS5_SA_S6_PS5_21rocsparse_index_base_b.kd
    .uniform_work_group_size: 1
    .uses_dynamic_stack: false
    .vgpr_count:     50
    .vgpr_spill_count: 0
    .wavefront_size: 32
    .workgroup_processor_mode: 1
  - .args:
      - .offset:         0
        .size:           4
        .value_kind:     by_value
      - .offset:         4
        .size:           4
        .value_kind:     by_value
      - .offset:         8
        .size:           8
        .value_kind:     by_value
      - .actual_access:  read_only
        .address_space:  global
        .offset:         16
        .size:           8
        .value_kind:     global_buffer
      - .actual_access:  read_only
        .address_space:  global
        .offset:         24
        .size:           8
        .value_kind:     global_buffer
      - .actual_access:  read_only
        .address_space:  global
        .offset:         32
        .size:           8
        .value_kind:     global_buffer
      - .actual_access:  read_only
        .address_space:  global
        .offset:         40
        .size:           8
        .value_kind:     global_buffer
      - .offset:         48
        .size:           8
        .value_kind:     by_value
      - .address_space:  global
        .offset:         56
        .size:           8
        .value_kind:     global_buffer
      - .offset:         64
        .size:           4
        .value_kind:     by_value
      - .offset:         68
        .size:           1
        .value_kind:     by_value
    .group_segment_fixed_size: 0
    .kernarg_segment_align: 8
    .kernarg_segment_size: 72
    .language:       OpenCL C
    .language_version:
      - 2
      - 0
    .max_flat_workgroup_size: 128
    .name:           _ZN9rocsparseL19gebsrmvn_3xn_kernelILj128ELj4ELj8E21rocsparse_complex_numIfEEEvi20rocsparse_direction_NS_24const_host_device_scalarIT2_EEPKiS8_PKS5_SA_S6_PS5_21rocsparse_index_base_b
    .private_segment_fixed_size: 0
    .sgpr_count:     18
    .sgpr_spill_count: 0
    .symbol:         _ZN9rocsparseL19gebsrmvn_3xn_kernelILj128ELj4ELj8E21rocsparse_complex_numIfEEEvi20rocsparse_direction_NS_24const_host_device_scalarIT2_EEPKiS8_PKS5_SA_S6_PS5_21rocsparse_index_base_b.kd
    .uniform_work_group_size: 1
    .uses_dynamic_stack: false
    .vgpr_count:     50
    .vgpr_spill_count: 0
    .wavefront_size: 32
    .workgroup_processor_mode: 1
  - .args:
      - .offset:         0
        .size:           4
        .value_kind:     by_value
      - .offset:         4
        .size:           4
        .value_kind:     by_value
      - .offset:         8
        .size:           8
        .value_kind:     by_value
      - .actual_access:  read_only
        .address_space:  global
        .offset:         16
        .size:           8
        .value_kind:     global_buffer
      - .actual_access:  read_only
        .address_space:  global
        .offset:         24
        .size:           8
        .value_kind:     global_buffer
      - .actual_access:  read_only
        .address_space:  global
        .offset:         32
        .size:           8
        .value_kind:     global_buffer
      - .actual_access:  read_only
        .address_space:  global
        .offset:         40
        .size:           8
        .value_kind:     global_buffer
      - .offset:         48
        .size:           8
        .value_kind:     by_value
      - .address_space:  global
        .offset:         56
        .size:           8
        .value_kind:     global_buffer
      - .offset:         64
        .size:           4
        .value_kind:     by_value
      - .offset:         68
        .size:           1
        .value_kind:     by_value
    .group_segment_fixed_size: 0
    .kernarg_segment_align: 8
    .kernarg_segment_size: 72
    .language:       OpenCL C
    .language_version:
      - 2
      - 0
    .max_flat_workgroup_size: 128
    .name:           _ZN9rocsparseL19gebsrmvn_3xn_kernelILj128ELj4ELj16E21rocsparse_complex_numIfEEEvi20rocsparse_direction_NS_24const_host_device_scalarIT2_EEPKiS8_PKS5_SA_S6_PS5_21rocsparse_index_base_b
    .private_segment_fixed_size: 0
    .sgpr_count:     18
    .sgpr_spill_count: 0
    .symbol:         _ZN9rocsparseL19gebsrmvn_3xn_kernelILj128ELj4ELj16E21rocsparse_complex_numIfEEEvi20rocsparse_direction_NS_24const_host_device_scalarIT2_EEPKiS8_PKS5_SA_S6_PS5_21rocsparse_index_base_b.kd
    .uniform_work_group_size: 1
    .uses_dynamic_stack: false
    .vgpr_count:     50
    .vgpr_spill_count: 0
    .wavefront_size: 32
    .workgroup_processor_mode: 1
  - .args:
      - .offset:         0
        .size:           4
        .value_kind:     by_value
      - .offset:         4
        .size:           4
        .value_kind:     by_value
      - .offset:         8
        .size:           8
        .value_kind:     by_value
      - .actual_access:  read_only
        .address_space:  global
        .offset:         16
        .size:           8
        .value_kind:     global_buffer
      - .actual_access:  read_only
        .address_space:  global
        .offset:         24
        .size:           8
        .value_kind:     global_buffer
      - .actual_access:  read_only
        .address_space:  global
        .offset:         32
        .size:           8
        .value_kind:     global_buffer
      - .actual_access:  read_only
        .address_space:  global
        .offset:         40
        .size:           8
        .value_kind:     global_buffer
      - .offset:         48
        .size:           8
        .value_kind:     by_value
      - .address_space:  global
        .offset:         56
        .size:           8
        .value_kind:     global_buffer
      - .offset:         64
        .size:           4
        .value_kind:     by_value
      - .offset:         68
        .size:           1
        .value_kind:     by_value
    .group_segment_fixed_size: 0
    .kernarg_segment_align: 8
    .kernarg_segment_size: 72
    .language:       OpenCL C
    .language_version:
      - 2
      - 0
    .max_flat_workgroup_size: 128
    .name:           _ZN9rocsparseL19gebsrmvn_3xn_kernelILj128ELj4ELj32E21rocsparse_complex_numIfEEEvi20rocsparse_direction_NS_24const_host_device_scalarIT2_EEPKiS8_PKS5_SA_S6_PS5_21rocsparse_index_base_b
    .private_segment_fixed_size: 0
    .sgpr_count:     18
    .sgpr_spill_count: 0
    .symbol:         _ZN9rocsparseL19gebsrmvn_3xn_kernelILj128ELj4ELj32E21rocsparse_complex_numIfEEEvi20rocsparse_direction_NS_24const_host_device_scalarIT2_EEPKiS8_PKS5_SA_S6_PS5_21rocsparse_index_base_b.kd
    .uniform_work_group_size: 1
    .uses_dynamic_stack: false
    .vgpr_count:     50
    .vgpr_spill_count: 0
    .wavefront_size: 32
    .workgroup_processor_mode: 1
  - .args:
      - .offset:         0
        .size:           4
        .value_kind:     by_value
      - .offset:         4
        .size:           4
        .value_kind:     by_value
      - .offset:         8
        .size:           8
        .value_kind:     by_value
      - .actual_access:  read_only
        .address_space:  global
        .offset:         16
        .size:           8
        .value_kind:     global_buffer
      - .actual_access:  read_only
        .address_space:  global
        .offset:         24
        .size:           8
        .value_kind:     global_buffer
      - .actual_access:  read_only
        .address_space:  global
        .offset:         32
        .size:           8
        .value_kind:     global_buffer
      - .actual_access:  read_only
        .address_space:  global
        .offset:         40
        .size:           8
        .value_kind:     global_buffer
      - .offset:         48
        .size:           8
        .value_kind:     by_value
      - .address_space:  global
        .offset:         56
        .size:           8
        .value_kind:     global_buffer
      - .offset:         64
        .size:           4
        .value_kind:     by_value
      - .offset:         68
        .size:           1
        .value_kind:     by_value
    .group_segment_fixed_size: 0
    .kernarg_segment_align: 8
    .kernarg_segment_size: 72
    .language:       OpenCL C
    .language_version:
      - 2
      - 0
    .max_flat_workgroup_size: 128
    .name:           _ZN9rocsparseL19gebsrmvn_3xn_kernelILj128ELj4ELj64E21rocsparse_complex_numIfEEEvi20rocsparse_direction_NS_24const_host_device_scalarIT2_EEPKiS8_PKS5_SA_S6_PS5_21rocsparse_index_base_b
    .private_segment_fixed_size: 0
    .sgpr_count:     18
    .sgpr_spill_count: 0
    .symbol:         _ZN9rocsparseL19gebsrmvn_3xn_kernelILj128ELj4ELj64E21rocsparse_complex_numIfEEEvi20rocsparse_direction_NS_24const_host_device_scalarIT2_EEPKiS8_PKS5_SA_S6_PS5_21rocsparse_index_base_b.kd
    .uniform_work_group_size: 1
    .uses_dynamic_stack: false
    .vgpr_count:     50
    .vgpr_spill_count: 0
    .wavefront_size: 32
    .workgroup_processor_mode: 1
  - .args:
      - .offset:         0
        .size:           4
        .value_kind:     by_value
      - .offset:         4
        .size:           4
        .value_kind:     by_value
      - .offset:         8
        .size:           8
        .value_kind:     by_value
      - .actual_access:  read_only
        .address_space:  global
        .offset:         16
        .size:           8
        .value_kind:     global_buffer
      - .actual_access:  read_only
        .address_space:  global
        .offset:         24
        .size:           8
        .value_kind:     global_buffer
      - .actual_access:  read_only
        .address_space:  global
        .offset:         32
        .size:           8
        .value_kind:     global_buffer
      - .actual_access:  read_only
        .address_space:  global
        .offset:         40
        .size:           8
        .value_kind:     global_buffer
      - .offset:         48
        .size:           8
        .value_kind:     by_value
      - .address_space:  global
        .offset:         56
        .size:           8
        .value_kind:     global_buffer
      - .offset:         64
        .size:           4
        .value_kind:     by_value
      - .offset:         68
        .size:           1
        .value_kind:     by_value
    .group_segment_fixed_size: 0
    .kernarg_segment_align: 8
    .kernarg_segment_size: 72
    .language:       OpenCL C
    .language_version:
      - 2
      - 0
    .max_flat_workgroup_size: 128
    .name:           _ZN9rocsparseL19gebsrmvn_3xn_kernelILj128ELj5ELj4E21rocsparse_complex_numIfEEEvi20rocsparse_direction_NS_24const_host_device_scalarIT2_EEPKiS8_PKS5_SA_S6_PS5_21rocsparse_index_base_b
    .private_segment_fixed_size: 0
    .sgpr_count:     18
    .sgpr_spill_count: 0
    .symbol:         _ZN9rocsparseL19gebsrmvn_3xn_kernelILj128ELj5ELj4E21rocsparse_complex_numIfEEEvi20rocsparse_direction_NS_24const_host_device_scalarIT2_EEPKiS8_PKS5_SA_S6_PS5_21rocsparse_index_base_b.kd
    .uniform_work_group_size: 1
    .uses_dynamic_stack: false
    .vgpr_count:     59
    .vgpr_spill_count: 0
    .wavefront_size: 32
    .workgroup_processor_mode: 1
  - .args:
      - .offset:         0
        .size:           4
        .value_kind:     by_value
      - .offset:         4
        .size:           4
        .value_kind:     by_value
      - .offset:         8
        .size:           8
        .value_kind:     by_value
      - .actual_access:  read_only
        .address_space:  global
        .offset:         16
        .size:           8
        .value_kind:     global_buffer
      - .actual_access:  read_only
        .address_space:  global
        .offset:         24
        .size:           8
        .value_kind:     global_buffer
      - .actual_access:  read_only
        .address_space:  global
        .offset:         32
        .size:           8
        .value_kind:     global_buffer
      - .actual_access:  read_only
        .address_space:  global
        .offset:         40
        .size:           8
        .value_kind:     global_buffer
      - .offset:         48
        .size:           8
        .value_kind:     by_value
      - .address_space:  global
        .offset:         56
        .size:           8
        .value_kind:     global_buffer
      - .offset:         64
        .size:           4
        .value_kind:     by_value
      - .offset:         68
        .size:           1
        .value_kind:     by_value
    .group_segment_fixed_size: 0
    .kernarg_segment_align: 8
    .kernarg_segment_size: 72
    .language:       OpenCL C
    .language_version:
      - 2
      - 0
    .max_flat_workgroup_size: 128
    .name:           _ZN9rocsparseL19gebsrmvn_3xn_kernelILj128ELj5ELj8E21rocsparse_complex_numIfEEEvi20rocsparse_direction_NS_24const_host_device_scalarIT2_EEPKiS8_PKS5_SA_S6_PS5_21rocsparse_index_base_b
    .private_segment_fixed_size: 0
    .sgpr_count:     18
    .sgpr_spill_count: 0
    .symbol:         _ZN9rocsparseL19gebsrmvn_3xn_kernelILj128ELj5ELj8E21rocsparse_complex_numIfEEEvi20rocsparse_direction_NS_24const_host_device_scalarIT2_EEPKiS8_PKS5_SA_S6_PS5_21rocsparse_index_base_b.kd
    .uniform_work_group_size: 1
    .uses_dynamic_stack: false
    .vgpr_count:     59
    .vgpr_spill_count: 0
    .wavefront_size: 32
    .workgroup_processor_mode: 1
  - .args:
      - .offset:         0
        .size:           4
        .value_kind:     by_value
      - .offset:         4
        .size:           4
        .value_kind:     by_value
      - .offset:         8
        .size:           8
        .value_kind:     by_value
      - .actual_access:  read_only
        .address_space:  global
        .offset:         16
        .size:           8
        .value_kind:     global_buffer
      - .actual_access:  read_only
        .address_space:  global
        .offset:         24
        .size:           8
        .value_kind:     global_buffer
      - .actual_access:  read_only
        .address_space:  global
        .offset:         32
        .size:           8
        .value_kind:     global_buffer
      - .actual_access:  read_only
        .address_space:  global
        .offset:         40
        .size:           8
        .value_kind:     global_buffer
      - .offset:         48
        .size:           8
        .value_kind:     by_value
      - .address_space:  global
        .offset:         56
        .size:           8
        .value_kind:     global_buffer
      - .offset:         64
        .size:           4
        .value_kind:     by_value
      - .offset:         68
        .size:           1
        .value_kind:     by_value
    .group_segment_fixed_size: 0
    .kernarg_segment_align: 8
    .kernarg_segment_size: 72
    .language:       OpenCL C
    .language_version:
      - 2
      - 0
    .max_flat_workgroup_size: 128
    .name:           _ZN9rocsparseL19gebsrmvn_3xn_kernelILj128ELj5ELj16E21rocsparse_complex_numIfEEEvi20rocsparse_direction_NS_24const_host_device_scalarIT2_EEPKiS8_PKS5_SA_S6_PS5_21rocsparse_index_base_b
    .private_segment_fixed_size: 0
    .sgpr_count:     18
    .sgpr_spill_count: 0
    .symbol:         _ZN9rocsparseL19gebsrmvn_3xn_kernelILj128ELj5ELj16E21rocsparse_complex_numIfEEEvi20rocsparse_direction_NS_24const_host_device_scalarIT2_EEPKiS8_PKS5_SA_S6_PS5_21rocsparse_index_base_b.kd
    .uniform_work_group_size: 1
    .uses_dynamic_stack: false
    .vgpr_count:     59
    .vgpr_spill_count: 0
    .wavefront_size: 32
    .workgroup_processor_mode: 1
  - .args:
      - .offset:         0
        .size:           4
        .value_kind:     by_value
      - .offset:         4
        .size:           4
        .value_kind:     by_value
      - .offset:         8
        .size:           8
        .value_kind:     by_value
      - .actual_access:  read_only
        .address_space:  global
        .offset:         16
        .size:           8
        .value_kind:     global_buffer
      - .actual_access:  read_only
        .address_space:  global
        .offset:         24
        .size:           8
        .value_kind:     global_buffer
      - .actual_access:  read_only
        .address_space:  global
        .offset:         32
        .size:           8
        .value_kind:     global_buffer
      - .actual_access:  read_only
        .address_space:  global
        .offset:         40
        .size:           8
        .value_kind:     global_buffer
      - .offset:         48
        .size:           8
        .value_kind:     by_value
      - .address_space:  global
        .offset:         56
        .size:           8
        .value_kind:     global_buffer
      - .offset:         64
        .size:           4
        .value_kind:     by_value
      - .offset:         68
        .size:           1
        .value_kind:     by_value
    .group_segment_fixed_size: 0
    .kernarg_segment_align: 8
    .kernarg_segment_size: 72
    .language:       OpenCL C
    .language_version:
      - 2
      - 0
    .max_flat_workgroup_size: 128
    .name:           _ZN9rocsparseL19gebsrmvn_3xn_kernelILj128ELj5ELj32E21rocsparse_complex_numIfEEEvi20rocsparse_direction_NS_24const_host_device_scalarIT2_EEPKiS8_PKS5_SA_S6_PS5_21rocsparse_index_base_b
    .private_segment_fixed_size: 0
    .sgpr_count:     18
    .sgpr_spill_count: 0
    .symbol:         _ZN9rocsparseL19gebsrmvn_3xn_kernelILj128ELj5ELj32E21rocsparse_complex_numIfEEEvi20rocsparse_direction_NS_24const_host_device_scalarIT2_EEPKiS8_PKS5_SA_S6_PS5_21rocsparse_index_base_b.kd
    .uniform_work_group_size: 1
    .uses_dynamic_stack: false
    .vgpr_count:     59
    .vgpr_spill_count: 0
    .wavefront_size: 32
    .workgroup_processor_mode: 1
  - .args:
      - .offset:         0
        .size:           4
        .value_kind:     by_value
      - .offset:         4
        .size:           4
        .value_kind:     by_value
      - .offset:         8
        .size:           8
        .value_kind:     by_value
      - .actual_access:  read_only
        .address_space:  global
        .offset:         16
        .size:           8
        .value_kind:     global_buffer
      - .actual_access:  read_only
        .address_space:  global
        .offset:         24
        .size:           8
        .value_kind:     global_buffer
      - .actual_access:  read_only
        .address_space:  global
        .offset:         32
        .size:           8
        .value_kind:     global_buffer
      - .actual_access:  read_only
        .address_space:  global
        .offset:         40
        .size:           8
        .value_kind:     global_buffer
      - .offset:         48
        .size:           8
        .value_kind:     by_value
      - .address_space:  global
        .offset:         56
        .size:           8
        .value_kind:     global_buffer
      - .offset:         64
        .size:           4
        .value_kind:     by_value
      - .offset:         68
        .size:           1
        .value_kind:     by_value
    .group_segment_fixed_size: 0
    .kernarg_segment_align: 8
    .kernarg_segment_size: 72
    .language:       OpenCL C
    .language_version:
      - 2
      - 0
    .max_flat_workgroup_size: 128
    .name:           _ZN9rocsparseL19gebsrmvn_3xn_kernelILj128ELj5ELj64E21rocsparse_complex_numIfEEEvi20rocsparse_direction_NS_24const_host_device_scalarIT2_EEPKiS8_PKS5_SA_S6_PS5_21rocsparse_index_base_b
    .private_segment_fixed_size: 0
    .sgpr_count:     18
    .sgpr_spill_count: 0
    .symbol:         _ZN9rocsparseL19gebsrmvn_3xn_kernelILj128ELj5ELj64E21rocsparse_complex_numIfEEEvi20rocsparse_direction_NS_24const_host_device_scalarIT2_EEPKiS8_PKS5_SA_S6_PS5_21rocsparse_index_base_b.kd
    .uniform_work_group_size: 1
    .uses_dynamic_stack: false
    .vgpr_count:     59
    .vgpr_spill_count: 0
    .wavefront_size: 32
    .workgroup_processor_mode: 1
  - .args:
      - .offset:         0
        .size:           4
        .value_kind:     by_value
      - .offset:         4
        .size:           4
        .value_kind:     by_value
      - .offset:         8
        .size:           8
        .value_kind:     by_value
      - .actual_access:  read_only
        .address_space:  global
        .offset:         16
        .size:           8
        .value_kind:     global_buffer
      - .actual_access:  read_only
        .address_space:  global
        .offset:         24
        .size:           8
        .value_kind:     global_buffer
      - .actual_access:  read_only
        .address_space:  global
        .offset:         32
        .size:           8
        .value_kind:     global_buffer
      - .actual_access:  read_only
        .address_space:  global
        .offset:         40
        .size:           8
        .value_kind:     global_buffer
      - .offset:         48
        .size:           8
        .value_kind:     by_value
      - .address_space:  global
        .offset:         56
        .size:           8
        .value_kind:     global_buffer
      - .offset:         64
        .size:           4
        .value_kind:     by_value
      - .offset:         68
        .size:           1
        .value_kind:     by_value
    .group_segment_fixed_size: 0
    .kernarg_segment_align: 8
    .kernarg_segment_size: 72
    .language:       OpenCL C
    .language_version:
      - 2
      - 0
    .max_flat_workgroup_size: 128
    .name:           _ZN9rocsparseL19gebsrmvn_3xn_kernelILj128ELj6ELj4E21rocsparse_complex_numIfEEEvi20rocsparse_direction_NS_24const_host_device_scalarIT2_EEPKiS8_PKS5_SA_S6_PS5_21rocsparse_index_base_b
    .private_segment_fixed_size: 0
    .sgpr_count:     18
    .sgpr_spill_count: 0
    .symbol:         _ZN9rocsparseL19gebsrmvn_3xn_kernelILj128ELj6ELj4E21rocsparse_complex_numIfEEEvi20rocsparse_direction_NS_24const_host_device_scalarIT2_EEPKiS8_PKS5_SA_S6_PS5_21rocsparse_index_base_b.kd
    .uniform_work_group_size: 1
    .uses_dynamic_stack: false
    .vgpr_count:     66
    .vgpr_spill_count: 0
    .wavefront_size: 32
    .workgroup_processor_mode: 1
  - .args:
      - .offset:         0
        .size:           4
        .value_kind:     by_value
      - .offset:         4
        .size:           4
        .value_kind:     by_value
      - .offset:         8
        .size:           8
        .value_kind:     by_value
      - .actual_access:  read_only
        .address_space:  global
        .offset:         16
        .size:           8
        .value_kind:     global_buffer
      - .actual_access:  read_only
        .address_space:  global
        .offset:         24
        .size:           8
        .value_kind:     global_buffer
      - .actual_access:  read_only
        .address_space:  global
        .offset:         32
        .size:           8
        .value_kind:     global_buffer
      - .actual_access:  read_only
        .address_space:  global
        .offset:         40
        .size:           8
        .value_kind:     global_buffer
      - .offset:         48
        .size:           8
        .value_kind:     by_value
      - .address_space:  global
        .offset:         56
        .size:           8
        .value_kind:     global_buffer
      - .offset:         64
        .size:           4
        .value_kind:     by_value
      - .offset:         68
        .size:           1
        .value_kind:     by_value
    .group_segment_fixed_size: 0
    .kernarg_segment_align: 8
    .kernarg_segment_size: 72
    .language:       OpenCL C
    .language_version:
      - 2
      - 0
    .max_flat_workgroup_size: 128
    .name:           _ZN9rocsparseL19gebsrmvn_3xn_kernelILj128ELj6ELj8E21rocsparse_complex_numIfEEEvi20rocsparse_direction_NS_24const_host_device_scalarIT2_EEPKiS8_PKS5_SA_S6_PS5_21rocsparse_index_base_b
    .private_segment_fixed_size: 0
    .sgpr_count:     18
    .sgpr_spill_count: 0
    .symbol:         _ZN9rocsparseL19gebsrmvn_3xn_kernelILj128ELj6ELj8E21rocsparse_complex_numIfEEEvi20rocsparse_direction_NS_24const_host_device_scalarIT2_EEPKiS8_PKS5_SA_S6_PS5_21rocsparse_index_base_b.kd
    .uniform_work_group_size: 1
    .uses_dynamic_stack: false
    .vgpr_count:     66
    .vgpr_spill_count: 0
    .wavefront_size: 32
    .workgroup_processor_mode: 1
  - .args:
      - .offset:         0
        .size:           4
        .value_kind:     by_value
      - .offset:         4
        .size:           4
        .value_kind:     by_value
      - .offset:         8
        .size:           8
        .value_kind:     by_value
      - .actual_access:  read_only
        .address_space:  global
        .offset:         16
        .size:           8
        .value_kind:     global_buffer
      - .actual_access:  read_only
        .address_space:  global
        .offset:         24
        .size:           8
        .value_kind:     global_buffer
      - .actual_access:  read_only
        .address_space:  global
        .offset:         32
        .size:           8
        .value_kind:     global_buffer
      - .actual_access:  read_only
        .address_space:  global
        .offset:         40
        .size:           8
        .value_kind:     global_buffer
      - .offset:         48
        .size:           8
        .value_kind:     by_value
      - .address_space:  global
        .offset:         56
        .size:           8
        .value_kind:     global_buffer
      - .offset:         64
        .size:           4
        .value_kind:     by_value
      - .offset:         68
        .size:           1
        .value_kind:     by_value
    .group_segment_fixed_size: 0
    .kernarg_segment_align: 8
    .kernarg_segment_size: 72
    .language:       OpenCL C
    .language_version:
      - 2
      - 0
    .max_flat_workgroup_size: 128
    .name:           _ZN9rocsparseL19gebsrmvn_3xn_kernelILj128ELj6ELj16E21rocsparse_complex_numIfEEEvi20rocsparse_direction_NS_24const_host_device_scalarIT2_EEPKiS8_PKS5_SA_S6_PS5_21rocsparse_index_base_b
    .private_segment_fixed_size: 0
    .sgpr_count:     18
    .sgpr_spill_count: 0
    .symbol:         _ZN9rocsparseL19gebsrmvn_3xn_kernelILj128ELj6ELj16E21rocsparse_complex_numIfEEEvi20rocsparse_direction_NS_24const_host_device_scalarIT2_EEPKiS8_PKS5_SA_S6_PS5_21rocsparse_index_base_b.kd
    .uniform_work_group_size: 1
    .uses_dynamic_stack: false
    .vgpr_count:     66
    .vgpr_spill_count: 0
    .wavefront_size: 32
    .workgroup_processor_mode: 1
  - .args:
      - .offset:         0
        .size:           4
        .value_kind:     by_value
      - .offset:         4
        .size:           4
        .value_kind:     by_value
      - .offset:         8
        .size:           8
        .value_kind:     by_value
      - .actual_access:  read_only
        .address_space:  global
        .offset:         16
        .size:           8
        .value_kind:     global_buffer
      - .actual_access:  read_only
        .address_space:  global
        .offset:         24
        .size:           8
        .value_kind:     global_buffer
      - .actual_access:  read_only
        .address_space:  global
        .offset:         32
        .size:           8
        .value_kind:     global_buffer
      - .actual_access:  read_only
        .address_space:  global
        .offset:         40
        .size:           8
        .value_kind:     global_buffer
      - .offset:         48
        .size:           8
        .value_kind:     by_value
      - .address_space:  global
        .offset:         56
        .size:           8
        .value_kind:     global_buffer
      - .offset:         64
        .size:           4
        .value_kind:     by_value
      - .offset:         68
        .size:           1
        .value_kind:     by_value
    .group_segment_fixed_size: 0
    .kernarg_segment_align: 8
    .kernarg_segment_size: 72
    .language:       OpenCL C
    .language_version:
      - 2
      - 0
    .max_flat_workgroup_size: 128
    .name:           _ZN9rocsparseL19gebsrmvn_3xn_kernelILj128ELj6ELj32E21rocsparse_complex_numIfEEEvi20rocsparse_direction_NS_24const_host_device_scalarIT2_EEPKiS8_PKS5_SA_S6_PS5_21rocsparse_index_base_b
    .private_segment_fixed_size: 0
    .sgpr_count:     18
    .sgpr_spill_count: 0
    .symbol:         _ZN9rocsparseL19gebsrmvn_3xn_kernelILj128ELj6ELj32E21rocsparse_complex_numIfEEEvi20rocsparse_direction_NS_24const_host_device_scalarIT2_EEPKiS8_PKS5_SA_S6_PS5_21rocsparse_index_base_b.kd
    .uniform_work_group_size: 1
    .uses_dynamic_stack: false
    .vgpr_count:     66
    .vgpr_spill_count: 0
    .wavefront_size: 32
    .workgroup_processor_mode: 1
  - .args:
      - .offset:         0
        .size:           4
        .value_kind:     by_value
      - .offset:         4
        .size:           4
        .value_kind:     by_value
      - .offset:         8
        .size:           8
        .value_kind:     by_value
      - .actual_access:  read_only
        .address_space:  global
        .offset:         16
        .size:           8
        .value_kind:     global_buffer
      - .actual_access:  read_only
        .address_space:  global
        .offset:         24
        .size:           8
        .value_kind:     global_buffer
      - .actual_access:  read_only
        .address_space:  global
        .offset:         32
        .size:           8
        .value_kind:     global_buffer
      - .actual_access:  read_only
        .address_space:  global
        .offset:         40
        .size:           8
        .value_kind:     global_buffer
      - .offset:         48
        .size:           8
        .value_kind:     by_value
      - .address_space:  global
        .offset:         56
        .size:           8
        .value_kind:     global_buffer
      - .offset:         64
        .size:           4
        .value_kind:     by_value
      - .offset:         68
        .size:           1
        .value_kind:     by_value
    .group_segment_fixed_size: 0
    .kernarg_segment_align: 8
    .kernarg_segment_size: 72
    .language:       OpenCL C
    .language_version:
      - 2
      - 0
    .max_flat_workgroup_size: 128
    .name:           _ZN9rocsparseL19gebsrmvn_3xn_kernelILj128ELj6ELj64E21rocsparse_complex_numIfEEEvi20rocsparse_direction_NS_24const_host_device_scalarIT2_EEPKiS8_PKS5_SA_S6_PS5_21rocsparse_index_base_b
    .private_segment_fixed_size: 0
    .sgpr_count:     18
    .sgpr_spill_count: 0
    .symbol:         _ZN9rocsparseL19gebsrmvn_3xn_kernelILj128ELj6ELj64E21rocsparse_complex_numIfEEEvi20rocsparse_direction_NS_24const_host_device_scalarIT2_EEPKiS8_PKS5_SA_S6_PS5_21rocsparse_index_base_b.kd
    .uniform_work_group_size: 1
    .uses_dynamic_stack: false
    .vgpr_count:     66
    .vgpr_spill_count: 0
    .wavefront_size: 32
    .workgroup_processor_mode: 1
  - .args:
      - .offset:         0
        .size:           4
        .value_kind:     by_value
      - .offset:         4
        .size:           4
        .value_kind:     by_value
      - .offset:         8
        .size:           8
        .value_kind:     by_value
      - .actual_access:  read_only
        .address_space:  global
        .offset:         16
        .size:           8
        .value_kind:     global_buffer
      - .actual_access:  read_only
        .address_space:  global
        .offset:         24
        .size:           8
        .value_kind:     global_buffer
      - .actual_access:  read_only
        .address_space:  global
        .offset:         32
        .size:           8
        .value_kind:     global_buffer
      - .actual_access:  read_only
        .address_space:  global
        .offset:         40
        .size:           8
        .value_kind:     global_buffer
      - .offset:         48
        .size:           8
        .value_kind:     by_value
      - .address_space:  global
        .offset:         56
        .size:           8
        .value_kind:     global_buffer
      - .offset:         64
        .size:           4
        .value_kind:     by_value
      - .offset:         68
        .size:           1
        .value_kind:     by_value
    .group_segment_fixed_size: 0
    .kernarg_segment_align: 8
    .kernarg_segment_size: 72
    .language:       OpenCL C
    .language_version:
      - 2
      - 0
    .max_flat_workgroup_size: 128
    .name:           _ZN9rocsparseL19gebsrmvn_3xn_kernelILj128ELj7ELj4E21rocsparse_complex_numIfEEEvi20rocsparse_direction_NS_24const_host_device_scalarIT2_EEPKiS8_PKS5_SA_S6_PS5_21rocsparse_index_base_b
    .private_segment_fixed_size: 0
    .sgpr_count:     18
    .sgpr_spill_count: 0
    .symbol:         _ZN9rocsparseL19gebsrmvn_3xn_kernelILj128ELj7ELj4E21rocsparse_complex_numIfEEEvi20rocsparse_direction_NS_24const_host_device_scalarIT2_EEPKiS8_PKS5_SA_S6_PS5_21rocsparse_index_base_b.kd
    .uniform_work_group_size: 1
    .uses_dynamic_stack: false
    .vgpr_count:     75
    .vgpr_spill_count: 0
    .wavefront_size: 32
    .workgroup_processor_mode: 1
  - .args:
      - .offset:         0
        .size:           4
        .value_kind:     by_value
      - .offset:         4
        .size:           4
        .value_kind:     by_value
      - .offset:         8
        .size:           8
        .value_kind:     by_value
      - .actual_access:  read_only
        .address_space:  global
        .offset:         16
        .size:           8
        .value_kind:     global_buffer
      - .actual_access:  read_only
        .address_space:  global
        .offset:         24
        .size:           8
        .value_kind:     global_buffer
      - .actual_access:  read_only
        .address_space:  global
        .offset:         32
        .size:           8
        .value_kind:     global_buffer
      - .actual_access:  read_only
        .address_space:  global
        .offset:         40
        .size:           8
        .value_kind:     global_buffer
      - .offset:         48
        .size:           8
        .value_kind:     by_value
      - .address_space:  global
        .offset:         56
        .size:           8
        .value_kind:     global_buffer
      - .offset:         64
        .size:           4
        .value_kind:     by_value
      - .offset:         68
        .size:           1
        .value_kind:     by_value
    .group_segment_fixed_size: 0
    .kernarg_segment_align: 8
    .kernarg_segment_size: 72
    .language:       OpenCL C
    .language_version:
      - 2
      - 0
    .max_flat_workgroup_size: 128
    .name:           _ZN9rocsparseL19gebsrmvn_3xn_kernelILj128ELj7ELj8E21rocsparse_complex_numIfEEEvi20rocsparse_direction_NS_24const_host_device_scalarIT2_EEPKiS8_PKS5_SA_S6_PS5_21rocsparse_index_base_b
    .private_segment_fixed_size: 0
    .sgpr_count:     18
    .sgpr_spill_count: 0
    .symbol:         _ZN9rocsparseL19gebsrmvn_3xn_kernelILj128ELj7ELj8E21rocsparse_complex_numIfEEEvi20rocsparse_direction_NS_24const_host_device_scalarIT2_EEPKiS8_PKS5_SA_S6_PS5_21rocsparse_index_base_b.kd
    .uniform_work_group_size: 1
    .uses_dynamic_stack: false
    .vgpr_count:     75
    .vgpr_spill_count: 0
    .wavefront_size: 32
    .workgroup_processor_mode: 1
  - .args:
      - .offset:         0
        .size:           4
        .value_kind:     by_value
      - .offset:         4
        .size:           4
        .value_kind:     by_value
      - .offset:         8
        .size:           8
        .value_kind:     by_value
      - .actual_access:  read_only
        .address_space:  global
        .offset:         16
        .size:           8
        .value_kind:     global_buffer
      - .actual_access:  read_only
        .address_space:  global
        .offset:         24
        .size:           8
        .value_kind:     global_buffer
      - .actual_access:  read_only
        .address_space:  global
        .offset:         32
        .size:           8
        .value_kind:     global_buffer
      - .actual_access:  read_only
        .address_space:  global
        .offset:         40
        .size:           8
        .value_kind:     global_buffer
      - .offset:         48
        .size:           8
        .value_kind:     by_value
      - .address_space:  global
        .offset:         56
        .size:           8
        .value_kind:     global_buffer
      - .offset:         64
        .size:           4
        .value_kind:     by_value
      - .offset:         68
        .size:           1
        .value_kind:     by_value
    .group_segment_fixed_size: 0
    .kernarg_segment_align: 8
    .kernarg_segment_size: 72
    .language:       OpenCL C
    .language_version:
      - 2
      - 0
    .max_flat_workgroup_size: 128
    .name:           _ZN9rocsparseL19gebsrmvn_3xn_kernelILj128ELj7ELj16E21rocsparse_complex_numIfEEEvi20rocsparse_direction_NS_24const_host_device_scalarIT2_EEPKiS8_PKS5_SA_S6_PS5_21rocsparse_index_base_b
    .private_segment_fixed_size: 0
    .sgpr_count:     18
    .sgpr_spill_count: 0
    .symbol:         _ZN9rocsparseL19gebsrmvn_3xn_kernelILj128ELj7ELj16E21rocsparse_complex_numIfEEEvi20rocsparse_direction_NS_24const_host_device_scalarIT2_EEPKiS8_PKS5_SA_S6_PS5_21rocsparse_index_base_b.kd
    .uniform_work_group_size: 1
    .uses_dynamic_stack: false
    .vgpr_count:     75
    .vgpr_spill_count: 0
    .wavefront_size: 32
    .workgroup_processor_mode: 1
  - .args:
      - .offset:         0
        .size:           4
        .value_kind:     by_value
      - .offset:         4
        .size:           4
        .value_kind:     by_value
      - .offset:         8
        .size:           8
        .value_kind:     by_value
      - .actual_access:  read_only
        .address_space:  global
        .offset:         16
        .size:           8
        .value_kind:     global_buffer
      - .actual_access:  read_only
        .address_space:  global
        .offset:         24
        .size:           8
        .value_kind:     global_buffer
      - .actual_access:  read_only
        .address_space:  global
        .offset:         32
        .size:           8
        .value_kind:     global_buffer
      - .actual_access:  read_only
        .address_space:  global
        .offset:         40
        .size:           8
        .value_kind:     global_buffer
      - .offset:         48
        .size:           8
        .value_kind:     by_value
      - .address_space:  global
        .offset:         56
        .size:           8
        .value_kind:     global_buffer
      - .offset:         64
        .size:           4
        .value_kind:     by_value
      - .offset:         68
        .size:           1
        .value_kind:     by_value
    .group_segment_fixed_size: 0
    .kernarg_segment_align: 8
    .kernarg_segment_size: 72
    .language:       OpenCL C
    .language_version:
      - 2
      - 0
    .max_flat_workgroup_size: 128
    .name:           _ZN9rocsparseL19gebsrmvn_3xn_kernelILj128ELj7ELj32E21rocsparse_complex_numIfEEEvi20rocsparse_direction_NS_24const_host_device_scalarIT2_EEPKiS8_PKS5_SA_S6_PS5_21rocsparse_index_base_b
    .private_segment_fixed_size: 0
    .sgpr_count:     18
    .sgpr_spill_count: 0
    .symbol:         _ZN9rocsparseL19gebsrmvn_3xn_kernelILj128ELj7ELj32E21rocsparse_complex_numIfEEEvi20rocsparse_direction_NS_24const_host_device_scalarIT2_EEPKiS8_PKS5_SA_S6_PS5_21rocsparse_index_base_b.kd
    .uniform_work_group_size: 1
    .uses_dynamic_stack: false
    .vgpr_count:     75
    .vgpr_spill_count: 0
    .wavefront_size: 32
    .workgroup_processor_mode: 1
  - .args:
      - .offset:         0
        .size:           4
        .value_kind:     by_value
      - .offset:         4
        .size:           4
        .value_kind:     by_value
      - .offset:         8
        .size:           8
        .value_kind:     by_value
      - .actual_access:  read_only
        .address_space:  global
        .offset:         16
        .size:           8
        .value_kind:     global_buffer
      - .actual_access:  read_only
        .address_space:  global
        .offset:         24
        .size:           8
        .value_kind:     global_buffer
      - .actual_access:  read_only
        .address_space:  global
        .offset:         32
        .size:           8
        .value_kind:     global_buffer
      - .actual_access:  read_only
        .address_space:  global
        .offset:         40
        .size:           8
        .value_kind:     global_buffer
      - .offset:         48
        .size:           8
        .value_kind:     by_value
      - .address_space:  global
        .offset:         56
        .size:           8
        .value_kind:     global_buffer
      - .offset:         64
        .size:           4
        .value_kind:     by_value
      - .offset:         68
        .size:           1
        .value_kind:     by_value
    .group_segment_fixed_size: 0
    .kernarg_segment_align: 8
    .kernarg_segment_size: 72
    .language:       OpenCL C
    .language_version:
      - 2
      - 0
    .max_flat_workgroup_size: 128
    .name:           _ZN9rocsparseL19gebsrmvn_3xn_kernelILj128ELj7ELj64E21rocsparse_complex_numIfEEEvi20rocsparse_direction_NS_24const_host_device_scalarIT2_EEPKiS8_PKS5_SA_S6_PS5_21rocsparse_index_base_b
    .private_segment_fixed_size: 0
    .sgpr_count:     18
    .sgpr_spill_count: 0
    .symbol:         _ZN9rocsparseL19gebsrmvn_3xn_kernelILj128ELj7ELj64E21rocsparse_complex_numIfEEEvi20rocsparse_direction_NS_24const_host_device_scalarIT2_EEPKiS8_PKS5_SA_S6_PS5_21rocsparse_index_base_b.kd
    .uniform_work_group_size: 1
    .uses_dynamic_stack: false
    .vgpr_count:     75
    .vgpr_spill_count: 0
    .wavefront_size: 32
    .workgroup_processor_mode: 1
  - .args:
      - .offset:         0
        .size:           4
        .value_kind:     by_value
      - .offset:         4
        .size:           4
        .value_kind:     by_value
      - .offset:         8
        .size:           8
        .value_kind:     by_value
      - .actual_access:  read_only
        .address_space:  global
        .offset:         16
        .size:           8
        .value_kind:     global_buffer
      - .actual_access:  read_only
        .address_space:  global
        .offset:         24
        .size:           8
        .value_kind:     global_buffer
      - .actual_access:  read_only
        .address_space:  global
        .offset:         32
        .size:           8
        .value_kind:     global_buffer
      - .actual_access:  read_only
        .address_space:  global
        .offset:         40
        .size:           8
        .value_kind:     global_buffer
      - .offset:         48
        .size:           8
        .value_kind:     by_value
      - .address_space:  global
        .offset:         56
        .size:           8
        .value_kind:     global_buffer
      - .offset:         64
        .size:           4
        .value_kind:     by_value
      - .offset:         68
        .size:           1
        .value_kind:     by_value
    .group_segment_fixed_size: 0
    .kernarg_segment_align: 8
    .kernarg_segment_size: 72
    .language:       OpenCL C
    .language_version:
      - 2
      - 0
    .max_flat_workgroup_size: 128
    .name:           _ZN9rocsparseL19gebsrmvn_3xn_kernelILj128ELj8ELj4E21rocsparse_complex_numIfEEEvi20rocsparse_direction_NS_24const_host_device_scalarIT2_EEPKiS8_PKS5_SA_S6_PS5_21rocsparse_index_base_b
    .private_segment_fixed_size: 0
    .sgpr_count:     18
    .sgpr_spill_count: 0
    .symbol:         _ZN9rocsparseL19gebsrmvn_3xn_kernelILj128ELj8ELj4E21rocsparse_complex_numIfEEEvi20rocsparse_direction_NS_24const_host_device_scalarIT2_EEPKiS8_PKS5_SA_S6_PS5_21rocsparse_index_base_b.kd
    .uniform_work_group_size: 1
    .uses_dynamic_stack: false
    .vgpr_count:     82
    .vgpr_spill_count: 0
    .wavefront_size: 32
    .workgroup_processor_mode: 1
  - .args:
      - .offset:         0
        .size:           4
        .value_kind:     by_value
      - .offset:         4
        .size:           4
        .value_kind:     by_value
      - .offset:         8
        .size:           8
        .value_kind:     by_value
      - .actual_access:  read_only
        .address_space:  global
        .offset:         16
        .size:           8
        .value_kind:     global_buffer
      - .actual_access:  read_only
        .address_space:  global
        .offset:         24
        .size:           8
        .value_kind:     global_buffer
      - .actual_access:  read_only
        .address_space:  global
        .offset:         32
        .size:           8
        .value_kind:     global_buffer
      - .actual_access:  read_only
        .address_space:  global
        .offset:         40
        .size:           8
        .value_kind:     global_buffer
      - .offset:         48
        .size:           8
        .value_kind:     by_value
      - .address_space:  global
        .offset:         56
        .size:           8
        .value_kind:     global_buffer
      - .offset:         64
        .size:           4
        .value_kind:     by_value
      - .offset:         68
        .size:           1
        .value_kind:     by_value
    .group_segment_fixed_size: 0
    .kernarg_segment_align: 8
    .kernarg_segment_size: 72
    .language:       OpenCL C
    .language_version:
      - 2
      - 0
    .max_flat_workgroup_size: 128
    .name:           _ZN9rocsparseL19gebsrmvn_3xn_kernelILj128ELj8ELj8E21rocsparse_complex_numIfEEEvi20rocsparse_direction_NS_24const_host_device_scalarIT2_EEPKiS8_PKS5_SA_S6_PS5_21rocsparse_index_base_b
    .private_segment_fixed_size: 0
    .sgpr_count:     18
    .sgpr_spill_count: 0
    .symbol:         _ZN9rocsparseL19gebsrmvn_3xn_kernelILj128ELj8ELj8E21rocsparse_complex_numIfEEEvi20rocsparse_direction_NS_24const_host_device_scalarIT2_EEPKiS8_PKS5_SA_S6_PS5_21rocsparse_index_base_b.kd
    .uniform_work_group_size: 1
    .uses_dynamic_stack: false
    .vgpr_count:     82
    .vgpr_spill_count: 0
    .wavefront_size: 32
    .workgroup_processor_mode: 1
  - .args:
      - .offset:         0
        .size:           4
        .value_kind:     by_value
      - .offset:         4
        .size:           4
        .value_kind:     by_value
      - .offset:         8
        .size:           8
        .value_kind:     by_value
      - .actual_access:  read_only
        .address_space:  global
        .offset:         16
        .size:           8
        .value_kind:     global_buffer
      - .actual_access:  read_only
        .address_space:  global
        .offset:         24
        .size:           8
        .value_kind:     global_buffer
      - .actual_access:  read_only
        .address_space:  global
        .offset:         32
        .size:           8
        .value_kind:     global_buffer
      - .actual_access:  read_only
        .address_space:  global
        .offset:         40
        .size:           8
        .value_kind:     global_buffer
      - .offset:         48
        .size:           8
        .value_kind:     by_value
      - .address_space:  global
        .offset:         56
        .size:           8
        .value_kind:     global_buffer
      - .offset:         64
        .size:           4
        .value_kind:     by_value
      - .offset:         68
        .size:           1
        .value_kind:     by_value
    .group_segment_fixed_size: 0
    .kernarg_segment_align: 8
    .kernarg_segment_size: 72
    .language:       OpenCL C
    .language_version:
      - 2
      - 0
    .max_flat_workgroup_size: 128
    .name:           _ZN9rocsparseL19gebsrmvn_3xn_kernelILj128ELj8ELj16E21rocsparse_complex_numIfEEEvi20rocsparse_direction_NS_24const_host_device_scalarIT2_EEPKiS8_PKS5_SA_S6_PS5_21rocsparse_index_base_b
    .private_segment_fixed_size: 0
    .sgpr_count:     18
    .sgpr_spill_count: 0
    .symbol:         _ZN9rocsparseL19gebsrmvn_3xn_kernelILj128ELj8ELj16E21rocsparse_complex_numIfEEEvi20rocsparse_direction_NS_24const_host_device_scalarIT2_EEPKiS8_PKS5_SA_S6_PS5_21rocsparse_index_base_b.kd
    .uniform_work_group_size: 1
    .uses_dynamic_stack: false
    .vgpr_count:     82
    .vgpr_spill_count: 0
    .wavefront_size: 32
    .workgroup_processor_mode: 1
  - .args:
      - .offset:         0
        .size:           4
        .value_kind:     by_value
      - .offset:         4
        .size:           4
        .value_kind:     by_value
      - .offset:         8
        .size:           8
        .value_kind:     by_value
      - .actual_access:  read_only
        .address_space:  global
        .offset:         16
        .size:           8
        .value_kind:     global_buffer
      - .actual_access:  read_only
        .address_space:  global
        .offset:         24
        .size:           8
        .value_kind:     global_buffer
      - .actual_access:  read_only
        .address_space:  global
        .offset:         32
        .size:           8
        .value_kind:     global_buffer
      - .actual_access:  read_only
        .address_space:  global
        .offset:         40
        .size:           8
        .value_kind:     global_buffer
      - .offset:         48
        .size:           8
        .value_kind:     by_value
      - .address_space:  global
        .offset:         56
        .size:           8
        .value_kind:     global_buffer
      - .offset:         64
        .size:           4
        .value_kind:     by_value
      - .offset:         68
        .size:           1
        .value_kind:     by_value
    .group_segment_fixed_size: 0
    .kernarg_segment_align: 8
    .kernarg_segment_size: 72
    .language:       OpenCL C
    .language_version:
      - 2
      - 0
    .max_flat_workgroup_size: 128
    .name:           _ZN9rocsparseL19gebsrmvn_3xn_kernelILj128ELj8ELj32E21rocsparse_complex_numIfEEEvi20rocsparse_direction_NS_24const_host_device_scalarIT2_EEPKiS8_PKS5_SA_S6_PS5_21rocsparse_index_base_b
    .private_segment_fixed_size: 0
    .sgpr_count:     18
    .sgpr_spill_count: 0
    .symbol:         _ZN9rocsparseL19gebsrmvn_3xn_kernelILj128ELj8ELj32E21rocsparse_complex_numIfEEEvi20rocsparse_direction_NS_24const_host_device_scalarIT2_EEPKiS8_PKS5_SA_S6_PS5_21rocsparse_index_base_b.kd
    .uniform_work_group_size: 1
    .uses_dynamic_stack: false
    .vgpr_count:     82
    .vgpr_spill_count: 0
    .wavefront_size: 32
    .workgroup_processor_mode: 1
  - .args:
      - .offset:         0
        .size:           4
        .value_kind:     by_value
      - .offset:         4
        .size:           4
        .value_kind:     by_value
      - .offset:         8
        .size:           8
        .value_kind:     by_value
      - .actual_access:  read_only
        .address_space:  global
        .offset:         16
        .size:           8
        .value_kind:     global_buffer
      - .actual_access:  read_only
        .address_space:  global
        .offset:         24
        .size:           8
        .value_kind:     global_buffer
      - .actual_access:  read_only
        .address_space:  global
        .offset:         32
        .size:           8
        .value_kind:     global_buffer
      - .actual_access:  read_only
        .address_space:  global
        .offset:         40
        .size:           8
        .value_kind:     global_buffer
      - .offset:         48
        .size:           8
        .value_kind:     by_value
      - .address_space:  global
        .offset:         56
        .size:           8
        .value_kind:     global_buffer
      - .offset:         64
        .size:           4
        .value_kind:     by_value
      - .offset:         68
        .size:           1
        .value_kind:     by_value
    .group_segment_fixed_size: 0
    .kernarg_segment_align: 8
    .kernarg_segment_size: 72
    .language:       OpenCL C
    .language_version:
      - 2
      - 0
    .max_flat_workgroup_size: 128
    .name:           _ZN9rocsparseL19gebsrmvn_3xn_kernelILj128ELj8ELj64E21rocsparse_complex_numIfEEEvi20rocsparse_direction_NS_24const_host_device_scalarIT2_EEPKiS8_PKS5_SA_S6_PS5_21rocsparse_index_base_b
    .private_segment_fixed_size: 0
    .sgpr_count:     18
    .sgpr_spill_count: 0
    .symbol:         _ZN9rocsparseL19gebsrmvn_3xn_kernelILj128ELj8ELj64E21rocsparse_complex_numIfEEEvi20rocsparse_direction_NS_24const_host_device_scalarIT2_EEPKiS8_PKS5_SA_S6_PS5_21rocsparse_index_base_b.kd
    .uniform_work_group_size: 1
    .uses_dynamic_stack: false
    .vgpr_count:     82
    .vgpr_spill_count: 0
    .wavefront_size: 32
    .workgroup_processor_mode: 1
  - .args:
      - .offset:         0
        .size:           4
        .value_kind:     by_value
      - .offset:         4
        .size:           4
        .value_kind:     by_value
      - .offset:         8
        .size:           8
        .value_kind:     by_value
      - .actual_access:  read_only
        .address_space:  global
        .offset:         16
        .size:           8
        .value_kind:     global_buffer
      - .actual_access:  read_only
        .address_space:  global
        .offset:         24
        .size:           8
        .value_kind:     global_buffer
      - .actual_access:  read_only
        .address_space:  global
        .offset:         32
        .size:           8
        .value_kind:     global_buffer
      - .offset:         40
        .size:           4
        .value_kind:     by_value
      - .offset:         44
        .size:           4
        .value_kind:     by_value
      - .actual_access:  read_only
        .address_space:  global
        .offset:         48
        .size:           8
        .value_kind:     global_buffer
      - .offset:         56
        .size:           8
        .value_kind:     by_value
      - .address_space:  global
        .offset:         64
        .size:           8
        .value_kind:     global_buffer
      - .offset:         72
        .size:           4
        .value_kind:     by_value
      - .offset:         76
        .size:           1
        .value_kind:     by_value
    .group_segment_fixed_size: 0
    .kernarg_segment_align: 8
    .kernarg_segment_size: 80
    .language:       OpenCL C
    .language_version:
      - 2
      - 0
    .max_flat_workgroup_size: 48
    .name:           _ZN9rocsparseL23gebsrmvn_general_kernelILj48ELj16E21rocsparse_complex_numIfEEEvi20rocsparse_direction_NS_24const_host_device_scalarIT1_EEPKiS8_PKS5_iiSA_S6_PS5_21rocsparse_index_base_b
    .private_segment_fixed_size: 0
    .sgpr_count:     30
    .sgpr_spill_count: 0
    .symbol:         _ZN9rocsparseL23gebsrmvn_general_kernelILj48ELj16E21rocsparse_complex_numIfEEEvi20rocsparse_direction_NS_24const_host_device_scalarIT1_EEPKiS8_PKS5_iiSA_S6_PS5_21rocsparse_index_base_b.kd
    .uniform_work_group_size: 1
    .uses_dynamic_stack: false
    .vgpr_count:     19
    .vgpr_spill_count: 0
    .wavefront_size: 32
    .workgroup_processor_mode: 1
  - .args:
      - .offset:         0
        .size:           4
        .value_kind:     by_value
      - .offset:         4
        .size:           4
        .value_kind:     by_value
      - .offset:         8
        .size:           8
        .value_kind:     by_value
      - .actual_access:  read_only
        .address_space:  global
        .offset:         16
        .size:           8
        .value_kind:     global_buffer
      - .actual_access:  read_only
        .address_space:  global
        .offset:         24
        .size:           8
        .value_kind:     global_buffer
      - .actual_access:  read_only
        .address_space:  global
        .offset:         32
        .size:           8
        .value_kind:     global_buffer
      - .offset:         40
        .size:           4
        .value_kind:     by_value
      - .offset:         44
        .size:           4
        .value_kind:     by_value
      - .actual_access:  read_only
        .address_space:  global
        .offset:         48
        .size:           8
        .value_kind:     global_buffer
      - .offset:         56
        .size:           8
        .value_kind:     by_value
      - .address_space:  global
        .offset:         64
        .size:           8
        .value_kind:     global_buffer
      - .offset:         72
        .size:           4
        .value_kind:     by_value
      - .offset:         76
        .size:           1
        .value_kind:     by_value
    .group_segment_fixed_size: 0
    .kernarg_segment_align: 8
    .kernarg_segment_size: 80
    .language:       OpenCL C
    .language_version:
      - 2
      - 0
    .max_flat_workgroup_size: 96
    .name:           _ZN9rocsparseL23gebsrmvn_general_kernelILj96ELj32E21rocsparse_complex_numIfEEEvi20rocsparse_direction_NS_24const_host_device_scalarIT1_EEPKiS8_PKS5_iiSA_S6_PS5_21rocsparse_index_base_b
    .private_segment_fixed_size: 0
    .sgpr_count:     30
    .sgpr_spill_count: 0
    .symbol:         _ZN9rocsparseL23gebsrmvn_general_kernelILj96ELj32E21rocsparse_complex_numIfEEEvi20rocsparse_direction_NS_24const_host_device_scalarIT1_EEPKiS8_PKS5_iiSA_S6_PS5_21rocsparse_index_base_b.kd
    .uniform_work_group_size: 1
    .uses_dynamic_stack: false
    .vgpr_count:     20
    .vgpr_spill_count: 0
    .wavefront_size: 32
    .workgroup_processor_mode: 1
  - .args:
      - .offset:         0
        .size:           4
        .value_kind:     by_value
      - .offset:         4
        .size:           4
        .value_kind:     by_value
      - .offset:         8
        .size:           16
        .value_kind:     by_value
      - .actual_access:  read_only
        .address_space:  global
        .offset:         24
        .size:           8
        .value_kind:     global_buffer
      - .actual_access:  read_only
        .address_space:  global
        .offset:         32
        .size:           8
        .value_kind:     global_buffer
      - .actual_access:  read_only
        .address_space:  global
        .offset:         40
        .size:           8
        .value_kind:     global_buffer
      - .actual_access:  read_only
        .address_space:  global
        .offset:         48
        .size:           8
        .value_kind:     global_buffer
      - .offset:         56
        .size:           16
        .value_kind:     by_value
      - .address_space:  global
        .offset:         72
        .size:           8
        .value_kind:     global_buffer
      - .offset:         80
        .size:           4
        .value_kind:     by_value
      - .offset:         84
        .size:           1
        .value_kind:     by_value
    .group_segment_fixed_size: 2048
    .kernarg_segment_align: 8
    .kernarg_segment_size: 88
    .language:       OpenCL C
    .language_version:
      - 2
      - 0
    .max_flat_workgroup_size: 128
    .name:           _ZN9rocsparseL19gebsrmvn_3xn_kernelILj128ELj1ELj4E21rocsparse_complex_numIdEEEvi20rocsparse_direction_NS_24const_host_device_scalarIT2_EEPKiS8_PKS5_SA_S6_PS5_21rocsparse_index_base_b
    .private_segment_fixed_size: 0
    .sgpr_count:     20
    .sgpr_spill_count: 0
    .symbol:         _ZN9rocsparseL19gebsrmvn_3xn_kernelILj128ELj1ELj4E21rocsparse_complex_numIdEEEvi20rocsparse_direction_NS_24const_host_device_scalarIT2_EEPKiS8_PKS5_SA_S6_PS5_21rocsparse_index_base_b.kd
    .uniform_work_group_size: 1
    .uses_dynamic_stack: false
    .vgpr_count:     46
    .vgpr_spill_count: 0
    .wavefront_size: 32
    .workgroup_processor_mode: 1
  - .args:
      - .offset:         0
        .size:           4
        .value_kind:     by_value
      - .offset:         4
        .size:           4
        .value_kind:     by_value
      - .offset:         8
        .size:           16
        .value_kind:     by_value
      - .actual_access:  read_only
        .address_space:  global
        .offset:         24
        .size:           8
        .value_kind:     global_buffer
      - .actual_access:  read_only
        .address_space:  global
        .offset:         32
        .size:           8
        .value_kind:     global_buffer
      - .actual_access:  read_only
        .address_space:  global
        .offset:         40
        .size:           8
        .value_kind:     global_buffer
      - .actual_access:  read_only
        .address_space:  global
        .offset:         48
        .size:           8
        .value_kind:     global_buffer
      - .offset:         56
        .size:           16
        .value_kind:     by_value
      - .address_space:  global
        .offset:         72
        .size:           8
        .value_kind:     global_buffer
      - .offset:         80
        .size:           4
        .value_kind:     by_value
      - .offset:         84
        .size:           1
        .value_kind:     by_value
    .group_segment_fixed_size: 2048
    .kernarg_segment_align: 8
    .kernarg_segment_size: 88
    .language:       OpenCL C
    .language_version:
      - 2
      - 0
    .max_flat_workgroup_size: 128
    .name:           _ZN9rocsparseL19gebsrmvn_3xn_kernelILj128ELj1ELj8E21rocsparse_complex_numIdEEEvi20rocsparse_direction_NS_24const_host_device_scalarIT2_EEPKiS8_PKS5_SA_S6_PS5_21rocsparse_index_base_b
    .private_segment_fixed_size: 0
    .sgpr_count:     20
    .sgpr_spill_count: 0
    .symbol:         _ZN9rocsparseL19gebsrmvn_3xn_kernelILj128ELj1ELj8E21rocsparse_complex_numIdEEEvi20rocsparse_direction_NS_24const_host_device_scalarIT2_EEPKiS8_PKS5_SA_S6_PS5_21rocsparse_index_base_b.kd
    .uniform_work_group_size: 1
    .uses_dynamic_stack: false
    .vgpr_count:     46
    .vgpr_spill_count: 0
    .wavefront_size: 32
    .workgroup_processor_mode: 1
  - .args:
      - .offset:         0
        .size:           4
        .value_kind:     by_value
      - .offset:         4
        .size:           4
        .value_kind:     by_value
      - .offset:         8
        .size:           16
        .value_kind:     by_value
      - .actual_access:  read_only
        .address_space:  global
        .offset:         24
        .size:           8
        .value_kind:     global_buffer
      - .actual_access:  read_only
        .address_space:  global
        .offset:         32
        .size:           8
        .value_kind:     global_buffer
      - .actual_access:  read_only
        .address_space:  global
        .offset:         40
        .size:           8
        .value_kind:     global_buffer
      - .actual_access:  read_only
        .address_space:  global
        .offset:         48
        .size:           8
        .value_kind:     global_buffer
      - .offset:         56
        .size:           16
        .value_kind:     by_value
      - .address_space:  global
        .offset:         72
        .size:           8
        .value_kind:     global_buffer
      - .offset:         80
        .size:           4
        .value_kind:     by_value
      - .offset:         84
        .size:           1
        .value_kind:     by_value
    .group_segment_fixed_size: 2048
    .kernarg_segment_align: 8
    .kernarg_segment_size: 88
    .language:       OpenCL C
    .language_version:
      - 2
      - 0
    .max_flat_workgroup_size: 128
    .name:           _ZN9rocsparseL19gebsrmvn_3xn_kernelILj128ELj1ELj16E21rocsparse_complex_numIdEEEvi20rocsparse_direction_NS_24const_host_device_scalarIT2_EEPKiS8_PKS5_SA_S6_PS5_21rocsparse_index_base_b
    .private_segment_fixed_size: 0
    .sgpr_count:     20
    .sgpr_spill_count: 0
    .symbol:         _ZN9rocsparseL19gebsrmvn_3xn_kernelILj128ELj1ELj16E21rocsparse_complex_numIdEEEvi20rocsparse_direction_NS_24const_host_device_scalarIT2_EEPKiS8_PKS5_SA_S6_PS5_21rocsparse_index_base_b.kd
    .uniform_work_group_size: 1
    .uses_dynamic_stack: false
    .vgpr_count:     46
    .vgpr_spill_count: 0
    .wavefront_size: 32
    .workgroup_processor_mode: 1
  - .args:
      - .offset:         0
        .size:           4
        .value_kind:     by_value
      - .offset:         4
        .size:           4
        .value_kind:     by_value
      - .offset:         8
        .size:           16
        .value_kind:     by_value
      - .actual_access:  read_only
        .address_space:  global
        .offset:         24
        .size:           8
        .value_kind:     global_buffer
      - .actual_access:  read_only
        .address_space:  global
        .offset:         32
        .size:           8
        .value_kind:     global_buffer
      - .actual_access:  read_only
        .address_space:  global
        .offset:         40
        .size:           8
        .value_kind:     global_buffer
      - .actual_access:  read_only
        .address_space:  global
        .offset:         48
        .size:           8
        .value_kind:     global_buffer
      - .offset:         56
        .size:           16
        .value_kind:     by_value
      - .address_space:  global
        .offset:         72
        .size:           8
        .value_kind:     global_buffer
      - .offset:         80
        .size:           4
        .value_kind:     by_value
      - .offset:         84
        .size:           1
        .value_kind:     by_value
    .group_segment_fixed_size: 2048
    .kernarg_segment_align: 8
    .kernarg_segment_size: 88
    .language:       OpenCL C
    .language_version:
      - 2
      - 0
    .max_flat_workgroup_size: 128
    .name:           _ZN9rocsparseL19gebsrmvn_3xn_kernelILj128ELj1ELj32E21rocsparse_complex_numIdEEEvi20rocsparse_direction_NS_24const_host_device_scalarIT2_EEPKiS8_PKS5_SA_S6_PS5_21rocsparse_index_base_b
    .private_segment_fixed_size: 0
    .sgpr_count:     20
    .sgpr_spill_count: 0
    .symbol:         _ZN9rocsparseL19gebsrmvn_3xn_kernelILj128ELj1ELj32E21rocsparse_complex_numIdEEEvi20rocsparse_direction_NS_24const_host_device_scalarIT2_EEPKiS8_PKS5_SA_S6_PS5_21rocsparse_index_base_b.kd
    .uniform_work_group_size: 1
    .uses_dynamic_stack: false
    .vgpr_count:     46
    .vgpr_spill_count: 0
    .wavefront_size: 32
    .workgroup_processor_mode: 1
  - .args:
      - .offset:         0
        .size:           4
        .value_kind:     by_value
      - .offset:         4
        .size:           4
        .value_kind:     by_value
      - .offset:         8
        .size:           16
        .value_kind:     by_value
      - .actual_access:  read_only
        .address_space:  global
        .offset:         24
        .size:           8
        .value_kind:     global_buffer
      - .actual_access:  read_only
        .address_space:  global
        .offset:         32
        .size:           8
        .value_kind:     global_buffer
      - .actual_access:  read_only
        .address_space:  global
        .offset:         40
        .size:           8
        .value_kind:     global_buffer
      - .actual_access:  read_only
        .address_space:  global
        .offset:         48
        .size:           8
        .value_kind:     global_buffer
      - .offset:         56
        .size:           16
        .value_kind:     by_value
      - .address_space:  global
        .offset:         72
        .size:           8
        .value_kind:     global_buffer
      - .offset:         80
        .size:           4
        .value_kind:     by_value
      - .offset:         84
        .size:           1
        .value_kind:     by_value
    .group_segment_fixed_size: 2048
    .kernarg_segment_align: 8
    .kernarg_segment_size: 88
    .language:       OpenCL C
    .language_version:
      - 2
      - 0
    .max_flat_workgroup_size: 128
    .name:           _ZN9rocsparseL19gebsrmvn_3xn_kernelILj128ELj1ELj64E21rocsparse_complex_numIdEEEvi20rocsparse_direction_NS_24const_host_device_scalarIT2_EEPKiS8_PKS5_SA_S6_PS5_21rocsparse_index_base_b
    .private_segment_fixed_size: 0
    .sgpr_count:     20
    .sgpr_spill_count: 0
    .symbol:         _ZN9rocsparseL19gebsrmvn_3xn_kernelILj128ELj1ELj64E21rocsparse_complex_numIdEEEvi20rocsparse_direction_NS_24const_host_device_scalarIT2_EEPKiS8_PKS5_SA_S6_PS5_21rocsparse_index_base_b.kd
    .uniform_work_group_size: 1
    .uses_dynamic_stack: false
    .vgpr_count:     46
    .vgpr_spill_count: 0
    .wavefront_size: 32
    .workgroup_processor_mode: 1
  - .args:
      - .offset:         0
        .size:           4
        .value_kind:     by_value
      - .offset:         4
        .size:           4
        .value_kind:     by_value
      - .offset:         8
        .size:           16
        .value_kind:     by_value
      - .actual_access:  read_only
        .address_space:  global
        .offset:         24
        .size:           8
        .value_kind:     global_buffer
      - .actual_access:  read_only
        .address_space:  global
        .offset:         32
        .size:           8
        .value_kind:     global_buffer
      - .actual_access:  read_only
        .address_space:  global
        .offset:         40
        .size:           8
        .value_kind:     global_buffer
      - .actual_access:  read_only
        .address_space:  global
        .offset:         48
        .size:           8
        .value_kind:     global_buffer
      - .offset:         56
        .size:           16
        .value_kind:     by_value
      - .address_space:  global
        .offset:         72
        .size:           8
        .value_kind:     global_buffer
      - .offset:         80
        .size:           4
        .value_kind:     by_value
      - .offset:         84
        .size:           1
        .value_kind:     by_value
    .group_segment_fixed_size: 2048
    .kernarg_segment_align: 8
    .kernarg_segment_size: 88
    .language:       OpenCL C
    .language_version:
      - 2
      - 0
    .max_flat_workgroup_size: 128
    .name:           _ZN9rocsparseL19gebsrmvn_3xn_kernelILj128ELj2ELj4E21rocsparse_complex_numIdEEEvi20rocsparse_direction_NS_24const_host_device_scalarIT2_EEPKiS8_PKS5_SA_S6_PS5_21rocsparse_index_base_b
    .private_segment_fixed_size: 0
    .sgpr_count:     20
    .sgpr_spill_count: 0
    .symbol:         _ZN9rocsparseL19gebsrmvn_3xn_kernelILj128ELj2ELj4E21rocsparse_complex_numIdEEEvi20rocsparse_direction_NS_24const_host_device_scalarIT2_EEPKiS8_PKS5_SA_S6_PS5_21rocsparse_index_base_b.kd
    .uniform_work_group_size: 1
    .uses_dynamic_stack: false
    .vgpr_count:     62
    .vgpr_spill_count: 0
    .wavefront_size: 32
    .workgroup_processor_mode: 1
  - .args:
      - .offset:         0
        .size:           4
        .value_kind:     by_value
      - .offset:         4
        .size:           4
        .value_kind:     by_value
      - .offset:         8
        .size:           16
        .value_kind:     by_value
      - .actual_access:  read_only
        .address_space:  global
        .offset:         24
        .size:           8
        .value_kind:     global_buffer
      - .actual_access:  read_only
        .address_space:  global
        .offset:         32
        .size:           8
        .value_kind:     global_buffer
      - .actual_access:  read_only
        .address_space:  global
        .offset:         40
        .size:           8
        .value_kind:     global_buffer
      - .actual_access:  read_only
        .address_space:  global
        .offset:         48
        .size:           8
        .value_kind:     global_buffer
      - .offset:         56
        .size:           16
        .value_kind:     by_value
      - .address_space:  global
        .offset:         72
        .size:           8
        .value_kind:     global_buffer
      - .offset:         80
        .size:           4
        .value_kind:     by_value
      - .offset:         84
        .size:           1
        .value_kind:     by_value
    .group_segment_fixed_size: 2048
    .kernarg_segment_align: 8
    .kernarg_segment_size: 88
    .language:       OpenCL C
    .language_version:
      - 2
      - 0
    .max_flat_workgroup_size: 128
    .name:           _ZN9rocsparseL19gebsrmvn_3xn_kernelILj128ELj2ELj8E21rocsparse_complex_numIdEEEvi20rocsparse_direction_NS_24const_host_device_scalarIT2_EEPKiS8_PKS5_SA_S6_PS5_21rocsparse_index_base_b
    .private_segment_fixed_size: 0
    .sgpr_count:     20
    .sgpr_spill_count: 0
    .symbol:         _ZN9rocsparseL19gebsrmvn_3xn_kernelILj128ELj2ELj8E21rocsparse_complex_numIdEEEvi20rocsparse_direction_NS_24const_host_device_scalarIT2_EEPKiS8_PKS5_SA_S6_PS5_21rocsparse_index_base_b.kd
    .uniform_work_group_size: 1
    .uses_dynamic_stack: false
    .vgpr_count:     62
    .vgpr_spill_count: 0
    .wavefront_size: 32
    .workgroup_processor_mode: 1
  - .args:
      - .offset:         0
        .size:           4
        .value_kind:     by_value
      - .offset:         4
        .size:           4
        .value_kind:     by_value
      - .offset:         8
        .size:           16
        .value_kind:     by_value
      - .actual_access:  read_only
        .address_space:  global
        .offset:         24
        .size:           8
        .value_kind:     global_buffer
      - .actual_access:  read_only
        .address_space:  global
        .offset:         32
        .size:           8
        .value_kind:     global_buffer
      - .actual_access:  read_only
        .address_space:  global
        .offset:         40
        .size:           8
        .value_kind:     global_buffer
      - .actual_access:  read_only
        .address_space:  global
        .offset:         48
        .size:           8
        .value_kind:     global_buffer
      - .offset:         56
        .size:           16
        .value_kind:     by_value
      - .address_space:  global
        .offset:         72
        .size:           8
        .value_kind:     global_buffer
      - .offset:         80
        .size:           4
        .value_kind:     by_value
      - .offset:         84
        .size:           1
        .value_kind:     by_value
    .group_segment_fixed_size: 2048
    .kernarg_segment_align: 8
    .kernarg_segment_size: 88
    .language:       OpenCL C
    .language_version:
      - 2
      - 0
    .max_flat_workgroup_size: 128
    .name:           _ZN9rocsparseL19gebsrmvn_3xn_kernelILj128ELj2ELj16E21rocsparse_complex_numIdEEEvi20rocsparse_direction_NS_24const_host_device_scalarIT2_EEPKiS8_PKS5_SA_S6_PS5_21rocsparse_index_base_b
    .private_segment_fixed_size: 0
    .sgpr_count:     20
    .sgpr_spill_count: 0
    .symbol:         _ZN9rocsparseL19gebsrmvn_3xn_kernelILj128ELj2ELj16E21rocsparse_complex_numIdEEEvi20rocsparse_direction_NS_24const_host_device_scalarIT2_EEPKiS8_PKS5_SA_S6_PS5_21rocsparse_index_base_b.kd
    .uniform_work_group_size: 1
    .uses_dynamic_stack: false
    .vgpr_count:     62
    .vgpr_spill_count: 0
    .wavefront_size: 32
    .workgroup_processor_mode: 1
  - .args:
      - .offset:         0
        .size:           4
        .value_kind:     by_value
      - .offset:         4
        .size:           4
        .value_kind:     by_value
      - .offset:         8
        .size:           16
        .value_kind:     by_value
      - .actual_access:  read_only
        .address_space:  global
        .offset:         24
        .size:           8
        .value_kind:     global_buffer
      - .actual_access:  read_only
        .address_space:  global
        .offset:         32
        .size:           8
        .value_kind:     global_buffer
      - .actual_access:  read_only
        .address_space:  global
        .offset:         40
        .size:           8
        .value_kind:     global_buffer
      - .actual_access:  read_only
        .address_space:  global
        .offset:         48
        .size:           8
        .value_kind:     global_buffer
      - .offset:         56
        .size:           16
        .value_kind:     by_value
      - .address_space:  global
        .offset:         72
        .size:           8
        .value_kind:     global_buffer
      - .offset:         80
        .size:           4
        .value_kind:     by_value
      - .offset:         84
        .size:           1
        .value_kind:     by_value
    .group_segment_fixed_size: 2048
    .kernarg_segment_align: 8
    .kernarg_segment_size: 88
    .language:       OpenCL C
    .language_version:
      - 2
      - 0
    .max_flat_workgroup_size: 128
    .name:           _ZN9rocsparseL19gebsrmvn_3xn_kernelILj128ELj2ELj32E21rocsparse_complex_numIdEEEvi20rocsparse_direction_NS_24const_host_device_scalarIT2_EEPKiS8_PKS5_SA_S6_PS5_21rocsparse_index_base_b
    .private_segment_fixed_size: 0
    .sgpr_count:     20
    .sgpr_spill_count: 0
    .symbol:         _ZN9rocsparseL19gebsrmvn_3xn_kernelILj128ELj2ELj32E21rocsparse_complex_numIdEEEvi20rocsparse_direction_NS_24const_host_device_scalarIT2_EEPKiS8_PKS5_SA_S6_PS5_21rocsparse_index_base_b.kd
    .uniform_work_group_size: 1
    .uses_dynamic_stack: false
    .vgpr_count:     62
    .vgpr_spill_count: 0
    .wavefront_size: 32
    .workgroup_processor_mode: 1
  - .args:
      - .offset:         0
        .size:           4
        .value_kind:     by_value
      - .offset:         4
        .size:           4
        .value_kind:     by_value
      - .offset:         8
        .size:           16
        .value_kind:     by_value
      - .actual_access:  read_only
        .address_space:  global
        .offset:         24
        .size:           8
        .value_kind:     global_buffer
      - .actual_access:  read_only
        .address_space:  global
        .offset:         32
        .size:           8
        .value_kind:     global_buffer
      - .actual_access:  read_only
        .address_space:  global
        .offset:         40
        .size:           8
        .value_kind:     global_buffer
      - .actual_access:  read_only
        .address_space:  global
        .offset:         48
        .size:           8
        .value_kind:     global_buffer
      - .offset:         56
        .size:           16
        .value_kind:     by_value
      - .address_space:  global
        .offset:         72
        .size:           8
        .value_kind:     global_buffer
      - .offset:         80
        .size:           4
        .value_kind:     by_value
      - .offset:         84
        .size:           1
        .value_kind:     by_value
    .group_segment_fixed_size: 2048
    .kernarg_segment_align: 8
    .kernarg_segment_size: 88
    .language:       OpenCL C
    .language_version:
      - 2
      - 0
    .max_flat_workgroup_size: 128
    .name:           _ZN9rocsparseL19gebsrmvn_3xn_kernelILj128ELj2ELj64E21rocsparse_complex_numIdEEEvi20rocsparse_direction_NS_24const_host_device_scalarIT2_EEPKiS8_PKS5_SA_S6_PS5_21rocsparse_index_base_b
    .private_segment_fixed_size: 0
    .sgpr_count:     20
    .sgpr_spill_count: 0
    .symbol:         _ZN9rocsparseL19gebsrmvn_3xn_kernelILj128ELj2ELj64E21rocsparse_complex_numIdEEEvi20rocsparse_direction_NS_24const_host_device_scalarIT2_EEPKiS8_PKS5_SA_S6_PS5_21rocsparse_index_base_b.kd
    .uniform_work_group_size: 1
    .uses_dynamic_stack: false
    .vgpr_count:     62
    .vgpr_spill_count: 0
    .wavefront_size: 32
    .workgroup_processor_mode: 1
  - .args:
      - .offset:         0
        .size:           4
        .value_kind:     by_value
      - .offset:         4
        .size:           4
        .value_kind:     by_value
      - .offset:         8
        .size:           16
        .value_kind:     by_value
      - .actual_access:  read_only
        .address_space:  global
        .offset:         24
        .size:           8
        .value_kind:     global_buffer
      - .actual_access:  read_only
        .address_space:  global
        .offset:         32
        .size:           8
        .value_kind:     global_buffer
      - .actual_access:  read_only
        .address_space:  global
        .offset:         40
        .size:           8
        .value_kind:     global_buffer
      - .actual_access:  read_only
        .address_space:  global
        .offset:         48
        .size:           8
        .value_kind:     global_buffer
      - .offset:         56
        .size:           16
        .value_kind:     by_value
      - .address_space:  global
        .offset:         72
        .size:           8
        .value_kind:     global_buffer
      - .offset:         80
        .size:           4
        .value_kind:     by_value
      - .offset:         84
        .size:           1
        .value_kind:     by_value
    .group_segment_fixed_size: 2048
    .kernarg_segment_align: 8
    .kernarg_segment_size: 88
    .language:       OpenCL C
    .language_version:
      - 2
      - 0
    .max_flat_workgroup_size: 128
    .name:           _ZN9rocsparseL19gebsrmvn_3xn_kernelILj128ELj4ELj4E21rocsparse_complex_numIdEEEvi20rocsparse_direction_NS_24const_host_device_scalarIT2_EEPKiS8_PKS5_SA_S6_PS5_21rocsparse_index_base_b
    .private_segment_fixed_size: 0
    .sgpr_count:     20
    .sgpr_spill_count: 0
    .symbol:         _ZN9rocsparseL19gebsrmvn_3xn_kernelILj128ELj4ELj4E21rocsparse_complex_numIdEEEvi20rocsparse_direction_NS_24const_host_device_scalarIT2_EEPKiS8_PKS5_SA_S6_PS5_21rocsparse_index_base_b.kd
    .uniform_work_group_size: 1
    .uses_dynamic_stack: false
    .vgpr_count:     94
    .vgpr_spill_count: 0
    .wavefront_size: 32
    .workgroup_processor_mode: 1
  - .args:
      - .offset:         0
        .size:           4
        .value_kind:     by_value
      - .offset:         4
        .size:           4
        .value_kind:     by_value
      - .offset:         8
        .size:           16
        .value_kind:     by_value
      - .actual_access:  read_only
        .address_space:  global
        .offset:         24
        .size:           8
        .value_kind:     global_buffer
      - .actual_access:  read_only
        .address_space:  global
        .offset:         32
        .size:           8
        .value_kind:     global_buffer
      - .actual_access:  read_only
        .address_space:  global
        .offset:         40
        .size:           8
        .value_kind:     global_buffer
      - .actual_access:  read_only
        .address_space:  global
        .offset:         48
        .size:           8
        .value_kind:     global_buffer
      - .offset:         56
        .size:           16
        .value_kind:     by_value
      - .address_space:  global
        .offset:         72
        .size:           8
        .value_kind:     global_buffer
      - .offset:         80
        .size:           4
        .value_kind:     by_value
      - .offset:         84
        .size:           1
        .value_kind:     by_value
    .group_segment_fixed_size: 2048
    .kernarg_segment_align: 8
    .kernarg_segment_size: 88
    .language:       OpenCL C
    .language_version:
      - 2
      - 0
    .max_flat_workgroup_size: 128
    .name:           _ZN9rocsparseL19gebsrmvn_3xn_kernelILj128ELj4ELj8E21rocsparse_complex_numIdEEEvi20rocsparse_direction_NS_24const_host_device_scalarIT2_EEPKiS8_PKS5_SA_S6_PS5_21rocsparse_index_base_b
    .private_segment_fixed_size: 0
    .sgpr_count:     20
    .sgpr_spill_count: 0
    .symbol:         _ZN9rocsparseL19gebsrmvn_3xn_kernelILj128ELj4ELj8E21rocsparse_complex_numIdEEEvi20rocsparse_direction_NS_24const_host_device_scalarIT2_EEPKiS8_PKS5_SA_S6_PS5_21rocsparse_index_base_b.kd
    .uniform_work_group_size: 1
    .uses_dynamic_stack: false
    .vgpr_count:     94
    .vgpr_spill_count: 0
    .wavefront_size: 32
    .workgroup_processor_mode: 1
  - .args:
      - .offset:         0
        .size:           4
        .value_kind:     by_value
      - .offset:         4
        .size:           4
        .value_kind:     by_value
      - .offset:         8
        .size:           16
        .value_kind:     by_value
      - .actual_access:  read_only
        .address_space:  global
        .offset:         24
        .size:           8
        .value_kind:     global_buffer
      - .actual_access:  read_only
        .address_space:  global
        .offset:         32
        .size:           8
        .value_kind:     global_buffer
      - .actual_access:  read_only
        .address_space:  global
        .offset:         40
        .size:           8
        .value_kind:     global_buffer
      - .actual_access:  read_only
        .address_space:  global
        .offset:         48
        .size:           8
        .value_kind:     global_buffer
      - .offset:         56
        .size:           16
        .value_kind:     by_value
      - .address_space:  global
        .offset:         72
        .size:           8
        .value_kind:     global_buffer
      - .offset:         80
        .size:           4
        .value_kind:     by_value
      - .offset:         84
        .size:           1
        .value_kind:     by_value
    .group_segment_fixed_size: 2048
    .kernarg_segment_align: 8
    .kernarg_segment_size: 88
    .language:       OpenCL C
    .language_version:
      - 2
      - 0
    .max_flat_workgroup_size: 128
    .name:           _ZN9rocsparseL19gebsrmvn_3xn_kernelILj128ELj4ELj16E21rocsparse_complex_numIdEEEvi20rocsparse_direction_NS_24const_host_device_scalarIT2_EEPKiS8_PKS5_SA_S6_PS5_21rocsparse_index_base_b
    .private_segment_fixed_size: 0
    .sgpr_count:     20
    .sgpr_spill_count: 0
    .symbol:         _ZN9rocsparseL19gebsrmvn_3xn_kernelILj128ELj4ELj16E21rocsparse_complex_numIdEEEvi20rocsparse_direction_NS_24const_host_device_scalarIT2_EEPKiS8_PKS5_SA_S6_PS5_21rocsparse_index_base_b.kd
    .uniform_work_group_size: 1
    .uses_dynamic_stack: false
    .vgpr_count:     94
    .vgpr_spill_count: 0
    .wavefront_size: 32
    .workgroup_processor_mode: 1
  - .args:
      - .offset:         0
        .size:           4
        .value_kind:     by_value
      - .offset:         4
        .size:           4
        .value_kind:     by_value
      - .offset:         8
        .size:           16
        .value_kind:     by_value
      - .actual_access:  read_only
        .address_space:  global
        .offset:         24
        .size:           8
        .value_kind:     global_buffer
      - .actual_access:  read_only
        .address_space:  global
        .offset:         32
        .size:           8
        .value_kind:     global_buffer
      - .actual_access:  read_only
        .address_space:  global
        .offset:         40
        .size:           8
        .value_kind:     global_buffer
      - .actual_access:  read_only
        .address_space:  global
        .offset:         48
        .size:           8
        .value_kind:     global_buffer
      - .offset:         56
        .size:           16
        .value_kind:     by_value
      - .address_space:  global
        .offset:         72
        .size:           8
        .value_kind:     global_buffer
      - .offset:         80
        .size:           4
        .value_kind:     by_value
      - .offset:         84
        .size:           1
        .value_kind:     by_value
    .group_segment_fixed_size: 2048
    .kernarg_segment_align: 8
    .kernarg_segment_size: 88
    .language:       OpenCL C
    .language_version:
      - 2
      - 0
    .max_flat_workgroup_size: 128
    .name:           _ZN9rocsparseL19gebsrmvn_3xn_kernelILj128ELj4ELj32E21rocsparse_complex_numIdEEEvi20rocsparse_direction_NS_24const_host_device_scalarIT2_EEPKiS8_PKS5_SA_S6_PS5_21rocsparse_index_base_b
    .private_segment_fixed_size: 0
    .sgpr_count:     20
    .sgpr_spill_count: 0
    .symbol:         _ZN9rocsparseL19gebsrmvn_3xn_kernelILj128ELj4ELj32E21rocsparse_complex_numIdEEEvi20rocsparse_direction_NS_24const_host_device_scalarIT2_EEPKiS8_PKS5_SA_S6_PS5_21rocsparse_index_base_b.kd
    .uniform_work_group_size: 1
    .uses_dynamic_stack: false
    .vgpr_count:     94
    .vgpr_spill_count: 0
    .wavefront_size: 32
    .workgroup_processor_mode: 1
  - .args:
      - .offset:         0
        .size:           4
        .value_kind:     by_value
      - .offset:         4
        .size:           4
        .value_kind:     by_value
      - .offset:         8
        .size:           16
        .value_kind:     by_value
      - .actual_access:  read_only
        .address_space:  global
        .offset:         24
        .size:           8
        .value_kind:     global_buffer
      - .actual_access:  read_only
        .address_space:  global
        .offset:         32
        .size:           8
        .value_kind:     global_buffer
      - .actual_access:  read_only
        .address_space:  global
        .offset:         40
        .size:           8
        .value_kind:     global_buffer
      - .actual_access:  read_only
        .address_space:  global
        .offset:         48
        .size:           8
        .value_kind:     global_buffer
      - .offset:         56
        .size:           16
        .value_kind:     by_value
      - .address_space:  global
        .offset:         72
        .size:           8
        .value_kind:     global_buffer
      - .offset:         80
        .size:           4
        .value_kind:     by_value
      - .offset:         84
        .size:           1
        .value_kind:     by_value
    .group_segment_fixed_size: 2048
    .kernarg_segment_align: 8
    .kernarg_segment_size: 88
    .language:       OpenCL C
    .language_version:
      - 2
      - 0
    .max_flat_workgroup_size: 128
    .name:           _ZN9rocsparseL19gebsrmvn_3xn_kernelILj128ELj4ELj64E21rocsparse_complex_numIdEEEvi20rocsparse_direction_NS_24const_host_device_scalarIT2_EEPKiS8_PKS5_SA_S6_PS5_21rocsparse_index_base_b
    .private_segment_fixed_size: 0
    .sgpr_count:     20
    .sgpr_spill_count: 0
    .symbol:         _ZN9rocsparseL19gebsrmvn_3xn_kernelILj128ELj4ELj64E21rocsparse_complex_numIdEEEvi20rocsparse_direction_NS_24const_host_device_scalarIT2_EEPKiS8_PKS5_SA_S6_PS5_21rocsparse_index_base_b.kd
    .uniform_work_group_size: 1
    .uses_dynamic_stack: false
    .vgpr_count:     94
    .vgpr_spill_count: 0
    .wavefront_size: 32
    .workgroup_processor_mode: 1
  - .args:
      - .offset:         0
        .size:           4
        .value_kind:     by_value
      - .offset:         4
        .size:           4
        .value_kind:     by_value
      - .offset:         8
        .size:           16
        .value_kind:     by_value
      - .actual_access:  read_only
        .address_space:  global
        .offset:         24
        .size:           8
        .value_kind:     global_buffer
      - .actual_access:  read_only
        .address_space:  global
        .offset:         32
        .size:           8
        .value_kind:     global_buffer
      - .actual_access:  read_only
        .address_space:  global
        .offset:         40
        .size:           8
        .value_kind:     global_buffer
      - .actual_access:  read_only
        .address_space:  global
        .offset:         48
        .size:           8
        .value_kind:     global_buffer
      - .offset:         56
        .size:           16
        .value_kind:     by_value
      - .address_space:  global
        .offset:         72
        .size:           8
        .value_kind:     global_buffer
      - .offset:         80
        .size:           4
        .value_kind:     by_value
      - .offset:         84
        .size:           1
        .value_kind:     by_value
    .group_segment_fixed_size: 2048
    .kernarg_segment_align: 8
    .kernarg_segment_size: 88
    .language:       OpenCL C
    .language_version:
      - 2
      - 0
    .max_flat_workgroup_size: 128
    .name:           _ZN9rocsparseL19gebsrmvn_3xn_kernelILj128ELj5ELj4E21rocsparse_complex_numIdEEEvi20rocsparse_direction_NS_24const_host_device_scalarIT2_EEPKiS8_PKS5_SA_S6_PS5_21rocsparse_index_base_b
    .private_segment_fixed_size: 0
    .sgpr_count:     20
    .sgpr_spill_count: 0
    .symbol:         _ZN9rocsparseL19gebsrmvn_3xn_kernelILj128ELj5ELj4E21rocsparse_complex_numIdEEEvi20rocsparse_direction_NS_24const_host_device_scalarIT2_EEPKiS8_PKS5_SA_S6_PS5_21rocsparse_index_base_b.kd
    .uniform_work_group_size: 1
    .uses_dynamic_stack: false
    .vgpr_count:     110
    .vgpr_spill_count: 0
    .wavefront_size: 32
    .workgroup_processor_mode: 1
  - .args:
      - .offset:         0
        .size:           4
        .value_kind:     by_value
      - .offset:         4
        .size:           4
        .value_kind:     by_value
      - .offset:         8
        .size:           16
        .value_kind:     by_value
      - .actual_access:  read_only
        .address_space:  global
        .offset:         24
        .size:           8
        .value_kind:     global_buffer
      - .actual_access:  read_only
        .address_space:  global
        .offset:         32
        .size:           8
        .value_kind:     global_buffer
      - .actual_access:  read_only
        .address_space:  global
        .offset:         40
        .size:           8
        .value_kind:     global_buffer
      - .actual_access:  read_only
        .address_space:  global
        .offset:         48
        .size:           8
        .value_kind:     global_buffer
      - .offset:         56
        .size:           16
        .value_kind:     by_value
      - .address_space:  global
        .offset:         72
        .size:           8
        .value_kind:     global_buffer
      - .offset:         80
        .size:           4
        .value_kind:     by_value
      - .offset:         84
        .size:           1
        .value_kind:     by_value
    .group_segment_fixed_size: 2048
    .kernarg_segment_align: 8
    .kernarg_segment_size: 88
    .language:       OpenCL C
    .language_version:
      - 2
      - 0
    .max_flat_workgroup_size: 128
    .name:           _ZN9rocsparseL19gebsrmvn_3xn_kernelILj128ELj5ELj8E21rocsparse_complex_numIdEEEvi20rocsparse_direction_NS_24const_host_device_scalarIT2_EEPKiS8_PKS5_SA_S6_PS5_21rocsparse_index_base_b
    .private_segment_fixed_size: 0
    .sgpr_count:     20
    .sgpr_spill_count: 0
    .symbol:         _ZN9rocsparseL19gebsrmvn_3xn_kernelILj128ELj5ELj8E21rocsparse_complex_numIdEEEvi20rocsparse_direction_NS_24const_host_device_scalarIT2_EEPKiS8_PKS5_SA_S6_PS5_21rocsparse_index_base_b.kd
    .uniform_work_group_size: 1
    .uses_dynamic_stack: false
    .vgpr_count:     110
    .vgpr_spill_count: 0
    .wavefront_size: 32
    .workgroup_processor_mode: 1
  - .args:
      - .offset:         0
        .size:           4
        .value_kind:     by_value
      - .offset:         4
        .size:           4
        .value_kind:     by_value
      - .offset:         8
        .size:           16
        .value_kind:     by_value
      - .actual_access:  read_only
        .address_space:  global
        .offset:         24
        .size:           8
        .value_kind:     global_buffer
      - .actual_access:  read_only
        .address_space:  global
        .offset:         32
        .size:           8
        .value_kind:     global_buffer
      - .actual_access:  read_only
        .address_space:  global
        .offset:         40
        .size:           8
        .value_kind:     global_buffer
      - .actual_access:  read_only
        .address_space:  global
        .offset:         48
        .size:           8
        .value_kind:     global_buffer
      - .offset:         56
        .size:           16
        .value_kind:     by_value
      - .address_space:  global
        .offset:         72
        .size:           8
        .value_kind:     global_buffer
      - .offset:         80
        .size:           4
        .value_kind:     by_value
      - .offset:         84
        .size:           1
        .value_kind:     by_value
    .group_segment_fixed_size: 2048
    .kernarg_segment_align: 8
    .kernarg_segment_size: 88
    .language:       OpenCL C
    .language_version:
      - 2
      - 0
    .max_flat_workgroup_size: 128
    .name:           _ZN9rocsparseL19gebsrmvn_3xn_kernelILj128ELj5ELj16E21rocsparse_complex_numIdEEEvi20rocsparse_direction_NS_24const_host_device_scalarIT2_EEPKiS8_PKS5_SA_S6_PS5_21rocsparse_index_base_b
    .private_segment_fixed_size: 0
    .sgpr_count:     20
    .sgpr_spill_count: 0
    .symbol:         _ZN9rocsparseL19gebsrmvn_3xn_kernelILj128ELj5ELj16E21rocsparse_complex_numIdEEEvi20rocsparse_direction_NS_24const_host_device_scalarIT2_EEPKiS8_PKS5_SA_S6_PS5_21rocsparse_index_base_b.kd
    .uniform_work_group_size: 1
    .uses_dynamic_stack: false
    .vgpr_count:     110
    .vgpr_spill_count: 0
    .wavefront_size: 32
    .workgroup_processor_mode: 1
  - .args:
      - .offset:         0
        .size:           4
        .value_kind:     by_value
      - .offset:         4
        .size:           4
        .value_kind:     by_value
      - .offset:         8
        .size:           16
        .value_kind:     by_value
      - .actual_access:  read_only
        .address_space:  global
        .offset:         24
        .size:           8
        .value_kind:     global_buffer
      - .actual_access:  read_only
        .address_space:  global
        .offset:         32
        .size:           8
        .value_kind:     global_buffer
      - .actual_access:  read_only
        .address_space:  global
        .offset:         40
        .size:           8
        .value_kind:     global_buffer
      - .actual_access:  read_only
        .address_space:  global
        .offset:         48
        .size:           8
        .value_kind:     global_buffer
      - .offset:         56
        .size:           16
        .value_kind:     by_value
      - .address_space:  global
        .offset:         72
        .size:           8
        .value_kind:     global_buffer
      - .offset:         80
        .size:           4
        .value_kind:     by_value
      - .offset:         84
        .size:           1
        .value_kind:     by_value
    .group_segment_fixed_size: 2048
    .kernarg_segment_align: 8
    .kernarg_segment_size: 88
    .language:       OpenCL C
    .language_version:
      - 2
      - 0
    .max_flat_workgroup_size: 128
    .name:           _ZN9rocsparseL19gebsrmvn_3xn_kernelILj128ELj5ELj32E21rocsparse_complex_numIdEEEvi20rocsparse_direction_NS_24const_host_device_scalarIT2_EEPKiS8_PKS5_SA_S6_PS5_21rocsparse_index_base_b
    .private_segment_fixed_size: 0
    .sgpr_count:     20
    .sgpr_spill_count: 0
    .symbol:         _ZN9rocsparseL19gebsrmvn_3xn_kernelILj128ELj5ELj32E21rocsparse_complex_numIdEEEvi20rocsparse_direction_NS_24const_host_device_scalarIT2_EEPKiS8_PKS5_SA_S6_PS5_21rocsparse_index_base_b.kd
    .uniform_work_group_size: 1
    .uses_dynamic_stack: false
    .vgpr_count:     110
    .vgpr_spill_count: 0
    .wavefront_size: 32
    .workgroup_processor_mode: 1
  - .args:
      - .offset:         0
        .size:           4
        .value_kind:     by_value
      - .offset:         4
        .size:           4
        .value_kind:     by_value
      - .offset:         8
        .size:           16
        .value_kind:     by_value
      - .actual_access:  read_only
        .address_space:  global
        .offset:         24
        .size:           8
        .value_kind:     global_buffer
      - .actual_access:  read_only
        .address_space:  global
        .offset:         32
        .size:           8
        .value_kind:     global_buffer
      - .actual_access:  read_only
        .address_space:  global
        .offset:         40
        .size:           8
        .value_kind:     global_buffer
      - .actual_access:  read_only
        .address_space:  global
        .offset:         48
        .size:           8
        .value_kind:     global_buffer
      - .offset:         56
        .size:           16
        .value_kind:     by_value
      - .address_space:  global
        .offset:         72
        .size:           8
        .value_kind:     global_buffer
      - .offset:         80
        .size:           4
        .value_kind:     by_value
      - .offset:         84
        .size:           1
        .value_kind:     by_value
    .group_segment_fixed_size: 2048
    .kernarg_segment_align: 8
    .kernarg_segment_size: 88
    .language:       OpenCL C
    .language_version:
      - 2
      - 0
    .max_flat_workgroup_size: 128
    .name:           _ZN9rocsparseL19gebsrmvn_3xn_kernelILj128ELj5ELj64E21rocsparse_complex_numIdEEEvi20rocsparse_direction_NS_24const_host_device_scalarIT2_EEPKiS8_PKS5_SA_S6_PS5_21rocsparse_index_base_b
    .private_segment_fixed_size: 0
    .sgpr_count:     20
    .sgpr_spill_count: 0
    .symbol:         _ZN9rocsparseL19gebsrmvn_3xn_kernelILj128ELj5ELj64E21rocsparse_complex_numIdEEEvi20rocsparse_direction_NS_24const_host_device_scalarIT2_EEPKiS8_PKS5_SA_S6_PS5_21rocsparse_index_base_b.kd
    .uniform_work_group_size: 1
    .uses_dynamic_stack: false
    .vgpr_count:     110
    .vgpr_spill_count: 0
    .wavefront_size: 32
    .workgroup_processor_mode: 1
  - .args:
      - .offset:         0
        .size:           4
        .value_kind:     by_value
      - .offset:         4
        .size:           4
        .value_kind:     by_value
      - .offset:         8
        .size:           16
        .value_kind:     by_value
      - .actual_access:  read_only
        .address_space:  global
        .offset:         24
        .size:           8
        .value_kind:     global_buffer
      - .actual_access:  read_only
        .address_space:  global
        .offset:         32
        .size:           8
        .value_kind:     global_buffer
      - .actual_access:  read_only
        .address_space:  global
        .offset:         40
        .size:           8
        .value_kind:     global_buffer
      - .actual_access:  read_only
        .address_space:  global
        .offset:         48
        .size:           8
        .value_kind:     global_buffer
      - .offset:         56
        .size:           16
        .value_kind:     by_value
      - .address_space:  global
        .offset:         72
        .size:           8
        .value_kind:     global_buffer
      - .offset:         80
        .size:           4
        .value_kind:     by_value
      - .offset:         84
        .size:           1
        .value_kind:     by_value
    .group_segment_fixed_size: 2048
    .kernarg_segment_align: 8
    .kernarg_segment_size: 88
    .language:       OpenCL C
    .language_version:
      - 2
      - 0
    .max_flat_workgroup_size: 128
    .name:           _ZN9rocsparseL19gebsrmvn_3xn_kernelILj128ELj6ELj4E21rocsparse_complex_numIdEEEvi20rocsparse_direction_NS_24const_host_device_scalarIT2_EEPKiS8_PKS5_SA_S6_PS5_21rocsparse_index_base_b
    .private_segment_fixed_size: 0
    .sgpr_count:     20
    .sgpr_spill_count: 0
    .symbol:         _ZN9rocsparseL19gebsrmvn_3xn_kernelILj128ELj6ELj4E21rocsparse_complex_numIdEEEvi20rocsparse_direction_NS_24const_host_device_scalarIT2_EEPKiS8_PKS5_SA_S6_PS5_21rocsparse_index_base_b.kd
    .uniform_work_group_size: 1
    .uses_dynamic_stack: false
    .vgpr_count:     118
    .vgpr_spill_count: 0
    .wavefront_size: 32
    .workgroup_processor_mode: 1
  - .args:
      - .offset:         0
        .size:           4
        .value_kind:     by_value
      - .offset:         4
        .size:           4
        .value_kind:     by_value
      - .offset:         8
        .size:           16
        .value_kind:     by_value
      - .actual_access:  read_only
        .address_space:  global
        .offset:         24
        .size:           8
        .value_kind:     global_buffer
      - .actual_access:  read_only
        .address_space:  global
        .offset:         32
        .size:           8
        .value_kind:     global_buffer
      - .actual_access:  read_only
        .address_space:  global
        .offset:         40
        .size:           8
        .value_kind:     global_buffer
      - .actual_access:  read_only
        .address_space:  global
        .offset:         48
        .size:           8
        .value_kind:     global_buffer
      - .offset:         56
        .size:           16
        .value_kind:     by_value
      - .address_space:  global
        .offset:         72
        .size:           8
        .value_kind:     global_buffer
      - .offset:         80
        .size:           4
        .value_kind:     by_value
      - .offset:         84
        .size:           1
        .value_kind:     by_value
    .group_segment_fixed_size: 2048
    .kernarg_segment_align: 8
    .kernarg_segment_size: 88
    .language:       OpenCL C
    .language_version:
      - 2
      - 0
    .max_flat_workgroup_size: 128
    .name:           _ZN9rocsparseL19gebsrmvn_3xn_kernelILj128ELj6ELj8E21rocsparse_complex_numIdEEEvi20rocsparse_direction_NS_24const_host_device_scalarIT2_EEPKiS8_PKS5_SA_S6_PS5_21rocsparse_index_base_b
    .private_segment_fixed_size: 0
    .sgpr_count:     20
    .sgpr_spill_count: 0
    .symbol:         _ZN9rocsparseL19gebsrmvn_3xn_kernelILj128ELj6ELj8E21rocsparse_complex_numIdEEEvi20rocsparse_direction_NS_24const_host_device_scalarIT2_EEPKiS8_PKS5_SA_S6_PS5_21rocsparse_index_base_b.kd
    .uniform_work_group_size: 1
    .uses_dynamic_stack: false
    .vgpr_count:     118
    .vgpr_spill_count: 0
    .wavefront_size: 32
    .workgroup_processor_mode: 1
  - .args:
      - .offset:         0
        .size:           4
        .value_kind:     by_value
      - .offset:         4
        .size:           4
        .value_kind:     by_value
      - .offset:         8
        .size:           16
        .value_kind:     by_value
      - .actual_access:  read_only
        .address_space:  global
        .offset:         24
        .size:           8
        .value_kind:     global_buffer
      - .actual_access:  read_only
        .address_space:  global
        .offset:         32
        .size:           8
        .value_kind:     global_buffer
      - .actual_access:  read_only
        .address_space:  global
        .offset:         40
        .size:           8
        .value_kind:     global_buffer
      - .actual_access:  read_only
        .address_space:  global
        .offset:         48
        .size:           8
        .value_kind:     global_buffer
      - .offset:         56
        .size:           16
        .value_kind:     by_value
      - .address_space:  global
        .offset:         72
        .size:           8
        .value_kind:     global_buffer
      - .offset:         80
        .size:           4
        .value_kind:     by_value
      - .offset:         84
        .size:           1
        .value_kind:     by_value
    .group_segment_fixed_size: 2048
    .kernarg_segment_align: 8
    .kernarg_segment_size: 88
    .language:       OpenCL C
    .language_version:
      - 2
      - 0
    .max_flat_workgroup_size: 128
    .name:           _ZN9rocsparseL19gebsrmvn_3xn_kernelILj128ELj6ELj16E21rocsparse_complex_numIdEEEvi20rocsparse_direction_NS_24const_host_device_scalarIT2_EEPKiS8_PKS5_SA_S6_PS5_21rocsparse_index_base_b
    .private_segment_fixed_size: 0
    .sgpr_count:     20
    .sgpr_spill_count: 0
    .symbol:         _ZN9rocsparseL19gebsrmvn_3xn_kernelILj128ELj6ELj16E21rocsparse_complex_numIdEEEvi20rocsparse_direction_NS_24const_host_device_scalarIT2_EEPKiS8_PKS5_SA_S6_PS5_21rocsparse_index_base_b.kd
    .uniform_work_group_size: 1
    .uses_dynamic_stack: false
    .vgpr_count:     118
    .vgpr_spill_count: 0
    .wavefront_size: 32
    .workgroup_processor_mode: 1
  - .args:
      - .offset:         0
        .size:           4
        .value_kind:     by_value
      - .offset:         4
        .size:           4
        .value_kind:     by_value
      - .offset:         8
        .size:           16
        .value_kind:     by_value
      - .actual_access:  read_only
        .address_space:  global
        .offset:         24
        .size:           8
        .value_kind:     global_buffer
      - .actual_access:  read_only
        .address_space:  global
        .offset:         32
        .size:           8
        .value_kind:     global_buffer
      - .actual_access:  read_only
        .address_space:  global
        .offset:         40
        .size:           8
        .value_kind:     global_buffer
      - .actual_access:  read_only
        .address_space:  global
        .offset:         48
        .size:           8
        .value_kind:     global_buffer
      - .offset:         56
        .size:           16
        .value_kind:     by_value
      - .address_space:  global
        .offset:         72
        .size:           8
        .value_kind:     global_buffer
      - .offset:         80
        .size:           4
        .value_kind:     by_value
      - .offset:         84
        .size:           1
        .value_kind:     by_value
    .group_segment_fixed_size: 2048
    .kernarg_segment_align: 8
    .kernarg_segment_size: 88
    .language:       OpenCL C
    .language_version:
      - 2
      - 0
    .max_flat_workgroup_size: 128
    .name:           _ZN9rocsparseL19gebsrmvn_3xn_kernelILj128ELj6ELj32E21rocsparse_complex_numIdEEEvi20rocsparse_direction_NS_24const_host_device_scalarIT2_EEPKiS8_PKS5_SA_S6_PS5_21rocsparse_index_base_b
    .private_segment_fixed_size: 0
    .sgpr_count:     20
    .sgpr_spill_count: 0
    .symbol:         _ZN9rocsparseL19gebsrmvn_3xn_kernelILj128ELj6ELj32E21rocsparse_complex_numIdEEEvi20rocsparse_direction_NS_24const_host_device_scalarIT2_EEPKiS8_PKS5_SA_S6_PS5_21rocsparse_index_base_b.kd
    .uniform_work_group_size: 1
    .uses_dynamic_stack: false
    .vgpr_count:     118
    .vgpr_spill_count: 0
    .wavefront_size: 32
    .workgroup_processor_mode: 1
  - .args:
      - .offset:         0
        .size:           4
        .value_kind:     by_value
      - .offset:         4
        .size:           4
        .value_kind:     by_value
      - .offset:         8
        .size:           16
        .value_kind:     by_value
      - .actual_access:  read_only
        .address_space:  global
        .offset:         24
        .size:           8
        .value_kind:     global_buffer
      - .actual_access:  read_only
        .address_space:  global
        .offset:         32
        .size:           8
        .value_kind:     global_buffer
      - .actual_access:  read_only
        .address_space:  global
        .offset:         40
        .size:           8
        .value_kind:     global_buffer
      - .actual_access:  read_only
        .address_space:  global
        .offset:         48
        .size:           8
        .value_kind:     global_buffer
      - .offset:         56
        .size:           16
        .value_kind:     by_value
      - .address_space:  global
        .offset:         72
        .size:           8
        .value_kind:     global_buffer
      - .offset:         80
        .size:           4
        .value_kind:     by_value
      - .offset:         84
        .size:           1
        .value_kind:     by_value
    .group_segment_fixed_size: 2048
    .kernarg_segment_align: 8
    .kernarg_segment_size: 88
    .language:       OpenCL C
    .language_version:
      - 2
      - 0
    .max_flat_workgroup_size: 128
    .name:           _ZN9rocsparseL19gebsrmvn_3xn_kernelILj128ELj6ELj64E21rocsparse_complex_numIdEEEvi20rocsparse_direction_NS_24const_host_device_scalarIT2_EEPKiS8_PKS5_SA_S6_PS5_21rocsparse_index_base_b
    .private_segment_fixed_size: 0
    .sgpr_count:     20
    .sgpr_spill_count: 0
    .symbol:         _ZN9rocsparseL19gebsrmvn_3xn_kernelILj128ELj6ELj64E21rocsparse_complex_numIdEEEvi20rocsparse_direction_NS_24const_host_device_scalarIT2_EEPKiS8_PKS5_SA_S6_PS5_21rocsparse_index_base_b.kd
    .uniform_work_group_size: 1
    .uses_dynamic_stack: false
    .vgpr_count:     118
    .vgpr_spill_count: 0
    .wavefront_size: 32
    .workgroup_processor_mode: 1
  - .args:
      - .offset:         0
        .size:           4
        .value_kind:     by_value
      - .offset:         4
        .size:           4
        .value_kind:     by_value
      - .offset:         8
        .size:           16
        .value_kind:     by_value
      - .actual_access:  read_only
        .address_space:  global
        .offset:         24
        .size:           8
        .value_kind:     global_buffer
      - .actual_access:  read_only
        .address_space:  global
        .offset:         32
        .size:           8
        .value_kind:     global_buffer
      - .actual_access:  read_only
        .address_space:  global
        .offset:         40
        .size:           8
        .value_kind:     global_buffer
      - .actual_access:  read_only
        .address_space:  global
        .offset:         48
        .size:           8
        .value_kind:     global_buffer
      - .offset:         56
        .size:           16
        .value_kind:     by_value
      - .address_space:  global
        .offset:         72
        .size:           8
        .value_kind:     global_buffer
      - .offset:         80
        .size:           4
        .value_kind:     by_value
      - .offset:         84
        .size:           1
        .value_kind:     by_value
    .group_segment_fixed_size: 2048
    .kernarg_segment_align: 8
    .kernarg_segment_size: 88
    .language:       OpenCL C
    .language_version:
      - 2
      - 0
    .max_flat_workgroup_size: 128
    .name:           _ZN9rocsparseL19gebsrmvn_3xn_kernelILj128ELj7ELj4E21rocsparse_complex_numIdEEEvi20rocsparse_direction_NS_24const_host_device_scalarIT2_EEPKiS8_PKS5_SA_S6_PS5_21rocsparse_index_base_b
    .private_segment_fixed_size: 0
    .sgpr_count:     20
    .sgpr_spill_count: 0
    .symbol:         _ZN9rocsparseL19gebsrmvn_3xn_kernelILj128ELj7ELj4E21rocsparse_complex_numIdEEEvi20rocsparse_direction_NS_24const_host_device_scalarIT2_EEPKiS8_PKS5_SA_S6_PS5_21rocsparse_index_base_b.kd
    .uniform_work_group_size: 1
    .uses_dynamic_stack: false
    .vgpr_count:     104
    .vgpr_spill_count: 0
    .wavefront_size: 32
    .workgroup_processor_mode: 1
  - .args:
      - .offset:         0
        .size:           4
        .value_kind:     by_value
      - .offset:         4
        .size:           4
        .value_kind:     by_value
      - .offset:         8
        .size:           16
        .value_kind:     by_value
      - .actual_access:  read_only
        .address_space:  global
        .offset:         24
        .size:           8
        .value_kind:     global_buffer
      - .actual_access:  read_only
        .address_space:  global
        .offset:         32
        .size:           8
        .value_kind:     global_buffer
      - .actual_access:  read_only
        .address_space:  global
        .offset:         40
        .size:           8
        .value_kind:     global_buffer
      - .actual_access:  read_only
        .address_space:  global
        .offset:         48
        .size:           8
        .value_kind:     global_buffer
      - .offset:         56
        .size:           16
        .value_kind:     by_value
      - .address_space:  global
        .offset:         72
        .size:           8
        .value_kind:     global_buffer
      - .offset:         80
        .size:           4
        .value_kind:     by_value
      - .offset:         84
        .size:           1
        .value_kind:     by_value
    .group_segment_fixed_size: 2048
    .kernarg_segment_align: 8
    .kernarg_segment_size: 88
    .language:       OpenCL C
    .language_version:
      - 2
      - 0
    .max_flat_workgroup_size: 128
    .name:           _ZN9rocsparseL19gebsrmvn_3xn_kernelILj128ELj7ELj8E21rocsparse_complex_numIdEEEvi20rocsparse_direction_NS_24const_host_device_scalarIT2_EEPKiS8_PKS5_SA_S6_PS5_21rocsparse_index_base_b
    .private_segment_fixed_size: 0
    .sgpr_count:     20
    .sgpr_spill_count: 0
    .symbol:         _ZN9rocsparseL19gebsrmvn_3xn_kernelILj128ELj7ELj8E21rocsparse_complex_numIdEEEvi20rocsparse_direction_NS_24const_host_device_scalarIT2_EEPKiS8_PKS5_SA_S6_PS5_21rocsparse_index_base_b.kd
    .uniform_work_group_size: 1
    .uses_dynamic_stack: false
    .vgpr_count:     104
    .vgpr_spill_count: 0
    .wavefront_size: 32
    .workgroup_processor_mode: 1
  - .args:
      - .offset:         0
        .size:           4
        .value_kind:     by_value
      - .offset:         4
        .size:           4
        .value_kind:     by_value
      - .offset:         8
        .size:           16
        .value_kind:     by_value
      - .actual_access:  read_only
        .address_space:  global
        .offset:         24
        .size:           8
        .value_kind:     global_buffer
      - .actual_access:  read_only
        .address_space:  global
        .offset:         32
        .size:           8
        .value_kind:     global_buffer
      - .actual_access:  read_only
        .address_space:  global
        .offset:         40
        .size:           8
        .value_kind:     global_buffer
      - .actual_access:  read_only
        .address_space:  global
        .offset:         48
        .size:           8
        .value_kind:     global_buffer
      - .offset:         56
        .size:           16
        .value_kind:     by_value
      - .address_space:  global
        .offset:         72
        .size:           8
        .value_kind:     global_buffer
      - .offset:         80
        .size:           4
        .value_kind:     by_value
      - .offset:         84
        .size:           1
        .value_kind:     by_value
    .group_segment_fixed_size: 2048
    .kernarg_segment_align: 8
    .kernarg_segment_size: 88
    .language:       OpenCL C
    .language_version:
      - 2
      - 0
    .max_flat_workgroup_size: 128
    .name:           _ZN9rocsparseL19gebsrmvn_3xn_kernelILj128ELj7ELj16E21rocsparse_complex_numIdEEEvi20rocsparse_direction_NS_24const_host_device_scalarIT2_EEPKiS8_PKS5_SA_S6_PS5_21rocsparse_index_base_b
    .private_segment_fixed_size: 0
    .sgpr_count:     20
    .sgpr_spill_count: 0
    .symbol:         _ZN9rocsparseL19gebsrmvn_3xn_kernelILj128ELj7ELj16E21rocsparse_complex_numIdEEEvi20rocsparse_direction_NS_24const_host_device_scalarIT2_EEPKiS8_PKS5_SA_S6_PS5_21rocsparse_index_base_b.kd
    .uniform_work_group_size: 1
    .uses_dynamic_stack: false
    .vgpr_count:     104
    .vgpr_spill_count: 0
    .wavefront_size: 32
    .workgroup_processor_mode: 1
  - .args:
      - .offset:         0
        .size:           4
        .value_kind:     by_value
      - .offset:         4
        .size:           4
        .value_kind:     by_value
      - .offset:         8
        .size:           16
        .value_kind:     by_value
      - .actual_access:  read_only
        .address_space:  global
        .offset:         24
        .size:           8
        .value_kind:     global_buffer
      - .actual_access:  read_only
        .address_space:  global
        .offset:         32
        .size:           8
        .value_kind:     global_buffer
      - .actual_access:  read_only
        .address_space:  global
        .offset:         40
        .size:           8
        .value_kind:     global_buffer
      - .actual_access:  read_only
        .address_space:  global
        .offset:         48
        .size:           8
        .value_kind:     global_buffer
      - .offset:         56
        .size:           16
        .value_kind:     by_value
      - .address_space:  global
        .offset:         72
        .size:           8
        .value_kind:     global_buffer
      - .offset:         80
        .size:           4
        .value_kind:     by_value
      - .offset:         84
        .size:           1
        .value_kind:     by_value
    .group_segment_fixed_size: 2048
    .kernarg_segment_align: 8
    .kernarg_segment_size: 88
    .language:       OpenCL C
    .language_version:
      - 2
      - 0
    .max_flat_workgroup_size: 128
    .name:           _ZN9rocsparseL19gebsrmvn_3xn_kernelILj128ELj7ELj32E21rocsparse_complex_numIdEEEvi20rocsparse_direction_NS_24const_host_device_scalarIT2_EEPKiS8_PKS5_SA_S6_PS5_21rocsparse_index_base_b
    .private_segment_fixed_size: 0
    .sgpr_count:     20
    .sgpr_spill_count: 0
    .symbol:         _ZN9rocsparseL19gebsrmvn_3xn_kernelILj128ELj7ELj32E21rocsparse_complex_numIdEEEvi20rocsparse_direction_NS_24const_host_device_scalarIT2_EEPKiS8_PKS5_SA_S6_PS5_21rocsparse_index_base_b.kd
    .uniform_work_group_size: 1
    .uses_dynamic_stack: false
    .vgpr_count:     104
    .vgpr_spill_count: 0
    .wavefront_size: 32
    .workgroup_processor_mode: 1
  - .args:
      - .offset:         0
        .size:           4
        .value_kind:     by_value
      - .offset:         4
        .size:           4
        .value_kind:     by_value
      - .offset:         8
        .size:           16
        .value_kind:     by_value
      - .actual_access:  read_only
        .address_space:  global
        .offset:         24
        .size:           8
        .value_kind:     global_buffer
      - .actual_access:  read_only
        .address_space:  global
        .offset:         32
        .size:           8
        .value_kind:     global_buffer
      - .actual_access:  read_only
        .address_space:  global
        .offset:         40
        .size:           8
        .value_kind:     global_buffer
      - .actual_access:  read_only
        .address_space:  global
        .offset:         48
        .size:           8
        .value_kind:     global_buffer
      - .offset:         56
        .size:           16
        .value_kind:     by_value
      - .address_space:  global
        .offset:         72
        .size:           8
        .value_kind:     global_buffer
      - .offset:         80
        .size:           4
        .value_kind:     by_value
      - .offset:         84
        .size:           1
        .value_kind:     by_value
    .group_segment_fixed_size: 2048
    .kernarg_segment_align: 8
    .kernarg_segment_size: 88
    .language:       OpenCL C
    .language_version:
      - 2
      - 0
    .max_flat_workgroup_size: 128
    .name:           _ZN9rocsparseL19gebsrmvn_3xn_kernelILj128ELj7ELj64E21rocsparse_complex_numIdEEEvi20rocsparse_direction_NS_24const_host_device_scalarIT2_EEPKiS8_PKS5_SA_S6_PS5_21rocsparse_index_base_b
    .private_segment_fixed_size: 0
    .sgpr_count:     20
    .sgpr_spill_count: 0
    .symbol:         _ZN9rocsparseL19gebsrmvn_3xn_kernelILj128ELj7ELj64E21rocsparse_complex_numIdEEEvi20rocsparse_direction_NS_24const_host_device_scalarIT2_EEPKiS8_PKS5_SA_S6_PS5_21rocsparse_index_base_b.kd
    .uniform_work_group_size: 1
    .uses_dynamic_stack: false
    .vgpr_count:     104
    .vgpr_spill_count: 0
    .wavefront_size: 32
    .workgroup_processor_mode: 1
  - .args:
      - .offset:         0
        .size:           4
        .value_kind:     by_value
      - .offset:         4
        .size:           4
        .value_kind:     by_value
      - .offset:         8
        .size:           16
        .value_kind:     by_value
      - .actual_access:  read_only
        .address_space:  global
        .offset:         24
        .size:           8
        .value_kind:     global_buffer
      - .actual_access:  read_only
        .address_space:  global
        .offset:         32
        .size:           8
        .value_kind:     global_buffer
      - .actual_access:  read_only
        .address_space:  global
        .offset:         40
        .size:           8
        .value_kind:     global_buffer
      - .actual_access:  read_only
        .address_space:  global
        .offset:         48
        .size:           8
        .value_kind:     global_buffer
      - .offset:         56
        .size:           16
        .value_kind:     by_value
      - .address_space:  global
        .offset:         72
        .size:           8
        .value_kind:     global_buffer
      - .offset:         80
        .size:           4
        .value_kind:     by_value
      - .offset:         84
        .size:           1
        .value_kind:     by_value
    .group_segment_fixed_size: 2048
    .kernarg_segment_align: 8
    .kernarg_segment_size: 88
    .language:       OpenCL C
    .language_version:
      - 2
      - 0
    .max_flat_workgroup_size: 128
    .name:           _ZN9rocsparseL19gebsrmvn_3xn_kernelILj128ELj8ELj4E21rocsparse_complex_numIdEEEvi20rocsparse_direction_NS_24const_host_device_scalarIT2_EEPKiS8_PKS5_SA_S6_PS5_21rocsparse_index_base_b
    .private_segment_fixed_size: 0
    .sgpr_count:     20
    .sgpr_spill_count: 0
    .symbol:         _ZN9rocsparseL19gebsrmvn_3xn_kernelILj128ELj8ELj4E21rocsparse_complex_numIdEEEvi20rocsparse_direction_NS_24const_host_device_scalarIT2_EEPKiS8_PKS5_SA_S6_PS5_21rocsparse_index_base_b.kd
    .uniform_work_group_size: 1
    .uses_dynamic_stack: false
    .vgpr_count:     69
    .vgpr_spill_count: 0
    .wavefront_size: 32
    .workgroup_processor_mode: 1
  - .args:
      - .offset:         0
        .size:           4
        .value_kind:     by_value
      - .offset:         4
        .size:           4
        .value_kind:     by_value
      - .offset:         8
        .size:           16
        .value_kind:     by_value
      - .actual_access:  read_only
        .address_space:  global
        .offset:         24
        .size:           8
        .value_kind:     global_buffer
      - .actual_access:  read_only
        .address_space:  global
        .offset:         32
        .size:           8
        .value_kind:     global_buffer
      - .actual_access:  read_only
        .address_space:  global
        .offset:         40
        .size:           8
        .value_kind:     global_buffer
      - .actual_access:  read_only
        .address_space:  global
        .offset:         48
        .size:           8
        .value_kind:     global_buffer
      - .offset:         56
        .size:           16
        .value_kind:     by_value
      - .address_space:  global
        .offset:         72
        .size:           8
        .value_kind:     global_buffer
      - .offset:         80
        .size:           4
        .value_kind:     by_value
      - .offset:         84
        .size:           1
        .value_kind:     by_value
    .group_segment_fixed_size: 2048
    .kernarg_segment_align: 8
    .kernarg_segment_size: 88
    .language:       OpenCL C
    .language_version:
      - 2
      - 0
    .max_flat_workgroup_size: 128
    .name:           _ZN9rocsparseL19gebsrmvn_3xn_kernelILj128ELj8ELj8E21rocsparse_complex_numIdEEEvi20rocsparse_direction_NS_24const_host_device_scalarIT2_EEPKiS8_PKS5_SA_S6_PS5_21rocsparse_index_base_b
    .private_segment_fixed_size: 0
    .sgpr_count:     20
    .sgpr_spill_count: 0
    .symbol:         _ZN9rocsparseL19gebsrmvn_3xn_kernelILj128ELj8ELj8E21rocsparse_complex_numIdEEEvi20rocsparse_direction_NS_24const_host_device_scalarIT2_EEPKiS8_PKS5_SA_S6_PS5_21rocsparse_index_base_b.kd
    .uniform_work_group_size: 1
    .uses_dynamic_stack: false
    .vgpr_count:     69
    .vgpr_spill_count: 0
    .wavefront_size: 32
    .workgroup_processor_mode: 1
  - .args:
      - .offset:         0
        .size:           4
        .value_kind:     by_value
      - .offset:         4
        .size:           4
        .value_kind:     by_value
      - .offset:         8
        .size:           16
        .value_kind:     by_value
      - .actual_access:  read_only
        .address_space:  global
        .offset:         24
        .size:           8
        .value_kind:     global_buffer
      - .actual_access:  read_only
        .address_space:  global
        .offset:         32
        .size:           8
        .value_kind:     global_buffer
      - .actual_access:  read_only
        .address_space:  global
        .offset:         40
        .size:           8
        .value_kind:     global_buffer
      - .actual_access:  read_only
        .address_space:  global
        .offset:         48
        .size:           8
        .value_kind:     global_buffer
      - .offset:         56
        .size:           16
        .value_kind:     by_value
      - .address_space:  global
        .offset:         72
        .size:           8
        .value_kind:     global_buffer
      - .offset:         80
        .size:           4
        .value_kind:     by_value
      - .offset:         84
        .size:           1
        .value_kind:     by_value
    .group_segment_fixed_size: 2048
    .kernarg_segment_align: 8
    .kernarg_segment_size: 88
    .language:       OpenCL C
    .language_version:
      - 2
      - 0
    .max_flat_workgroup_size: 128
    .name:           _ZN9rocsparseL19gebsrmvn_3xn_kernelILj128ELj8ELj16E21rocsparse_complex_numIdEEEvi20rocsparse_direction_NS_24const_host_device_scalarIT2_EEPKiS8_PKS5_SA_S6_PS5_21rocsparse_index_base_b
    .private_segment_fixed_size: 0
    .sgpr_count:     20
    .sgpr_spill_count: 0
    .symbol:         _ZN9rocsparseL19gebsrmvn_3xn_kernelILj128ELj8ELj16E21rocsparse_complex_numIdEEEvi20rocsparse_direction_NS_24const_host_device_scalarIT2_EEPKiS8_PKS5_SA_S6_PS5_21rocsparse_index_base_b.kd
    .uniform_work_group_size: 1
    .uses_dynamic_stack: false
    .vgpr_count:     69
    .vgpr_spill_count: 0
    .wavefront_size: 32
    .workgroup_processor_mode: 1
  - .args:
      - .offset:         0
        .size:           4
        .value_kind:     by_value
      - .offset:         4
        .size:           4
        .value_kind:     by_value
      - .offset:         8
        .size:           16
        .value_kind:     by_value
      - .actual_access:  read_only
        .address_space:  global
        .offset:         24
        .size:           8
        .value_kind:     global_buffer
      - .actual_access:  read_only
        .address_space:  global
        .offset:         32
        .size:           8
        .value_kind:     global_buffer
      - .actual_access:  read_only
        .address_space:  global
        .offset:         40
        .size:           8
        .value_kind:     global_buffer
      - .actual_access:  read_only
        .address_space:  global
        .offset:         48
        .size:           8
        .value_kind:     global_buffer
      - .offset:         56
        .size:           16
        .value_kind:     by_value
      - .address_space:  global
        .offset:         72
        .size:           8
        .value_kind:     global_buffer
      - .offset:         80
        .size:           4
        .value_kind:     by_value
      - .offset:         84
        .size:           1
        .value_kind:     by_value
    .group_segment_fixed_size: 2048
    .kernarg_segment_align: 8
    .kernarg_segment_size: 88
    .language:       OpenCL C
    .language_version:
      - 2
      - 0
    .max_flat_workgroup_size: 128
    .name:           _ZN9rocsparseL19gebsrmvn_3xn_kernelILj128ELj8ELj32E21rocsparse_complex_numIdEEEvi20rocsparse_direction_NS_24const_host_device_scalarIT2_EEPKiS8_PKS5_SA_S6_PS5_21rocsparse_index_base_b
    .private_segment_fixed_size: 0
    .sgpr_count:     20
    .sgpr_spill_count: 0
    .symbol:         _ZN9rocsparseL19gebsrmvn_3xn_kernelILj128ELj8ELj32E21rocsparse_complex_numIdEEEvi20rocsparse_direction_NS_24const_host_device_scalarIT2_EEPKiS8_PKS5_SA_S6_PS5_21rocsparse_index_base_b.kd
    .uniform_work_group_size: 1
    .uses_dynamic_stack: false
    .vgpr_count:     69
    .vgpr_spill_count: 0
    .wavefront_size: 32
    .workgroup_processor_mode: 1
  - .args:
      - .offset:         0
        .size:           4
        .value_kind:     by_value
      - .offset:         4
        .size:           4
        .value_kind:     by_value
      - .offset:         8
        .size:           16
        .value_kind:     by_value
      - .actual_access:  read_only
        .address_space:  global
        .offset:         24
        .size:           8
        .value_kind:     global_buffer
      - .actual_access:  read_only
        .address_space:  global
        .offset:         32
        .size:           8
        .value_kind:     global_buffer
      - .actual_access:  read_only
        .address_space:  global
        .offset:         40
        .size:           8
        .value_kind:     global_buffer
      - .actual_access:  read_only
        .address_space:  global
        .offset:         48
        .size:           8
        .value_kind:     global_buffer
      - .offset:         56
        .size:           16
        .value_kind:     by_value
      - .address_space:  global
        .offset:         72
        .size:           8
        .value_kind:     global_buffer
      - .offset:         80
        .size:           4
        .value_kind:     by_value
      - .offset:         84
        .size:           1
        .value_kind:     by_value
    .group_segment_fixed_size: 2048
    .kernarg_segment_align: 8
    .kernarg_segment_size: 88
    .language:       OpenCL C
    .language_version:
      - 2
      - 0
    .max_flat_workgroup_size: 128
    .name:           _ZN9rocsparseL19gebsrmvn_3xn_kernelILj128ELj8ELj64E21rocsparse_complex_numIdEEEvi20rocsparse_direction_NS_24const_host_device_scalarIT2_EEPKiS8_PKS5_SA_S6_PS5_21rocsparse_index_base_b
    .private_segment_fixed_size: 0
    .sgpr_count:     20
    .sgpr_spill_count: 0
    .symbol:         _ZN9rocsparseL19gebsrmvn_3xn_kernelILj128ELj8ELj64E21rocsparse_complex_numIdEEEvi20rocsparse_direction_NS_24const_host_device_scalarIT2_EEPKiS8_PKS5_SA_S6_PS5_21rocsparse_index_base_b.kd
    .uniform_work_group_size: 1
    .uses_dynamic_stack: false
    .vgpr_count:     69
    .vgpr_spill_count: 0
    .wavefront_size: 32
    .workgroup_processor_mode: 1
  - .args:
      - .offset:         0
        .size:           4
        .value_kind:     by_value
      - .offset:         4
        .size:           4
        .value_kind:     by_value
      - .offset:         8
        .size:           16
        .value_kind:     by_value
      - .actual_access:  read_only
        .address_space:  global
        .offset:         24
        .size:           8
        .value_kind:     global_buffer
      - .actual_access:  read_only
        .address_space:  global
        .offset:         32
        .size:           8
        .value_kind:     global_buffer
      - .actual_access:  read_only
        .address_space:  global
        .offset:         40
        .size:           8
        .value_kind:     global_buffer
      - .offset:         48
        .size:           4
        .value_kind:     by_value
      - .offset:         52
        .size:           4
        .value_kind:     by_value
      - .actual_access:  read_only
        .address_space:  global
        .offset:         56
        .size:           8
        .value_kind:     global_buffer
      - .offset:         64
        .size:           16
        .value_kind:     by_value
      - .address_space:  global
        .offset:         80
        .size:           8
        .value_kind:     global_buffer
      - .offset:         88
        .size:           4
        .value_kind:     by_value
      - .offset:         92
        .size:           1
        .value_kind:     by_value
    .group_segment_fixed_size: 768
    .kernarg_segment_align: 8
    .kernarg_segment_size: 96
    .language:       OpenCL C
    .language_version:
      - 2
      - 0
    .max_flat_workgroup_size: 48
    .name:           _ZN9rocsparseL23gebsrmvn_general_kernelILj48ELj16E21rocsparse_complex_numIdEEEvi20rocsparse_direction_NS_24const_host_device_scalarIT1_EEPKiS8_PKS5_iiSA_S6_PS5_21rocsparse_index_base_b
    .private_segment_fixed_size: 0
    .sgpr_count:     30
    .sgpr_spill_count: 0
    .symbol:         _ZN9rocsparseL23gebsrmvn_general_kernelILj48ELj16E21rocsparse_complex_numIdEEEvi20rocsparse_direction_NS_24const_host_device_scalarIT1_EEPKiS8_PKS5_iiSA_S6_PS5_21rocsparse_index_base_b.kd
    .uniform_work_group_size: 1
    .uses_dynamic_stack: false
    .vgpr_count:     31
    .vgpr_spill_count: 0
    .wavefront_size: 32
    .workgroup_processor_mode: 1
  - .args:
      - .offset:         0
        .size:           4
        .value_kind:     by_value
      - .offset:         4
        .size:           4
        .value_kind:     by_value
      - .offset:         8
        .size:           16
        .value_kind:     by_value
      - .actual_access:  read_only
        .address_space:  global
        .offset:         24
        .size:           8
        .value_kind:     global_buffer
      - .actual_access:  read_only
        .address_space:  global
        .offset:         32
        .size:           8
        .value_kind:     global_buffer
      - .actual_access:  read_only
        .address_space:  global
        .offset:         40
        .size:           8
        .value_kind:     global_buffer
      - .offset:         48
        .size:           4
        .value_kind:     by_value
      - .offset:         52
        .size:           4
        .value_kind:     by_value
      - .actual_access:  read_only
        .address_space:  global
        .offset:         56
        .size:           8
        .value_kind:     global_buffer
      - .offset:         64
        .size:           16
        .value_kind:     by_value
      - .address_space:  global
        .offset:         80
        .size:           8
        .value_kind:     global_buffer
      - .offset:         88
        .size:           4
        .value_kind:     by_value
      - .offset:         92
        .size:           1
        .value_kind:     by_value
    .group_segment_fixed_size: 1536
    .kernarg_segment_align: 8
    .kernarg_segment_size: 96
    .language:       OpenCL C
    .language_version:
      - 2
      - 0
    .max_flat_workgroup_size: 96
    .name:           _ZN9rocsparseL23gebsrmvn_general_kernelILj96ELj32E21rocsparse_complex_numIdEEEvi20rocsparse_direction_NS_24const_host_device_scalarIT1_EEPKiS8_PKS5_iiSA_S6_PS5_21rocsparse_index_base_b
    .private_segment_fixed_size: 0
    .sgpr_count:     30
    .sgpr_spill_count: 0
    .symbol:         _ZN9rocsparseL23gebsrmvn_general_kernelILj96ELj32E21rocsparse_complex_numIdEEEvi20rocsparse_direction_NS_24const_host_device_scalarIT1_EEPKiS8_PKS5_iiSA_S6_PS5_21rocsparse_index_base_b.kd
    .uniform_work_group_size: 1
    .uses_dynamic_stack: false
    .vgpr_count:     32
    .vgpr_spill_count: 0
    .wavefront_size: 32
    .workgroup_processor_mode: 1
amdhsa.target:   amdgcn-amd-amdhsa--gfx1100
amdhsa.version:
  - 1
  - 2
...

	.end_amdgpu_metadata
